;; amdgpu-corpus repo=ROCm/rocSPARSE kind=compiled arch=gfx1250 opt=O3
	.amdgcn_target "amdgcn-amd-amdhsa--gfx1250"
	.amdhsa_code_object_version 6
	.section	.text._ZN9rocsparseL23csrsm_solve_copy_y_to_BILj1024EfEEvlPT0_lPKS1_,"axG",@progbits,_ZN9rocsparseL23csrsm_solve_copy_y_to_BILj1024EfEEvlPT0_lPKS1_,comdat
	.globl	_ZN9rocsparseL23csrsm_solve_copy_y_to_BILj1024EfEEvlPT0_lPKS1_ ; -- Begin function _ZN9rocsparseL23csrsm_solve_copy_y_to_BILj1024EfEEvlPT0_lPKS1_
	.p2align	8
	.type	_ZN9rocsparseL23csrsm_solve_copy_y_to_BILj1024EfEEvlPT0_lPKS1_,@function
_ZN9rocsparseL23csrsm_solve_copy_y_to_BILj1024EfEEvlPT0_lPKS1_: ; @_ZN9rocsparseL23csrsm_solve_copy_y_to_BILj1024EfEEvlPT0_lPKS1_
; %bb.0:
	s_load_b256 s[4:11], s[0:1], 0x0
	s_wait_xcnt 0x0
	s_bfe_u32 s0, ttmp6, 0x4000c
	s_and_b32 s1, ttmp6, 15
	s_add_co_i32 s0, s0, 1
	s_getreg_b32 s2, hwreg(HW_REG_IB_STS2, 6, 4)
	s_mul_i32 s0, ttmp9, s0
	v_mov_b32_e32 v1, 0
	s_add_co_i32 s1, s1, s0
	s_cmp_eq_u32 s2, 0
	s_cselect_b32 s0, ttmp9, s1
	s_delay_alu instid0(SALU_CYCLE_1) | instskip(SKIP_2) | instid1(VALU_DEP_1)
	v_lshl_or_b32 v0, s0, 10, v0
	s_mov_b32 s0, exec_lo
	s_wait_kmcnt 0x0
	v_cmpx_gt_u64_e64 s[4:5], v[0:1]
	s_cbranch_execz .LBB0_2
; %bb.1:
	v_lshl_add_u64 v[2:3], v[0:1], 2, s[10:11]
	v_mul_u64_e32 v[0:1], s[8:9], v[0:1]
	global_load_b32 v2, v[2:3], off
	v_lshl_add_u64 v[0:1], v[0:1], 2, s[6:7]
	s_wait_loadcnt 0x0
	global_store_b32 v[0:1], v2, off
.LBB0_2:
	s_endpgm
	.section	.rodata,"a",@progbits
	.p2align	6, 0x0
	.amdhsa_kernel _ZN9rocsparseL23csrsm_solve_copy_y_to_BILj1024EfEEvlPT0_lPKS1_
		.amdhsa_group_segment_fixed_size 0
		.amdhsa_private_segment_fixed_size 0
		.amdhsa_kernarg_size 32
		.amdhsa_user_sgpr_count 2
		.amdhsa_user_sgpr_dispatch_ptr 0
		.amdhsa_user_sgpr_queue_ptr 0
		.amdhsa_user_sgpr_kernarg_segment_ptr 1
		.amdhsa_user_sgpr_dispatch_id 0
		.amdhsa_user_sgpr_kernarg_preload_length 0
		.amdhsa_user_sgpr_kernarg_preload_offset 0
		.amdhsa_user_sgpr_private_segment_size 0
		.amdhsa_wavefront_size32 1
		.amdhsa_uses_dynamic_stack 0
		.amdhsa_enable_private_segment 0
		.amdhsa_system_sgpr_workgroup_id_x 1
		.amdhsa_system_sgpr_workgroup_id_y 0
		.amdhsa_system_sgpr_workgroup_id_z 0
		.amdhsa_system_sgpr_workgroup_info 0
		.amdhsa_system_vgpr_workitem_id 0
		.amdhsa_next_free_vgpr 4
		.amdhsa_next_free_sgpr 12
		.amdhsa_named_barrier_count 0
		.amdhsa_reserve_vcc 0
		.amdhsa_float_round_mode_32 0
		.amdhsa_float_round_mode_16_64 0
		.amdhsa_float_denorm_mode_32 3
		.amdhsa_float_denorm_mode_16_64 3
		.amdhsa_fp16_overflow 0
		.amdhsa_memory_ordered 1
		.amdhsa_forward_progress 1
		.amdhsa_inst_pref_size 2
		.amdhsa_round_robin_scheduling 0
		.amdhsa_exception_fp_ieee_invalid_op 0
		.amdhsa_exception_fp_denorm_src 0
		.amdhsa_exception_fp_ieee_div_zero 0
		.amdhsa_exception_fp_ieee_overflow 0
		.amdhsa_exception_fp_ieee_underflow 0
		.amdhsa_exception_fp_ieee_inexact 0
		.amdhsa_exception_int_div_zero 0
	.end_amdhsa_kernel
	.section	.text._ZN9rocsparseL23csrsm_solve_copy_y_to_BILj1024EfEEvlPT0_lPKS1_,"axG",@progbits,_ZN9rocsparseL23csrsm_solve_copy_y_to_BILj1024EfEEvlPT0_lPKS1_,comdat
.Lfunc_end0:
	.size	_ZN9rocsparseL23csrsm_solve_copy_y_to_BILj1024EfEEvlPT0_lPKS1_, .Lfunc_end0-_ZN9rocsparseL23csrsm_solve_copy_y_to_BILj1024EfEEvlPT0_lPKS1_
                                        ; -- End function
	.set _ZN9rocsparseL23csrsm_solve_copy_y_to_BILj1024EfEEvlPT0_lPKS1_.num_vgpr, 4
	.set _ZN9rocsparseL23csrsm_solve_copy_y_to_BILj1024EfEEvlPT0_lPKS1_.num_agpr, 0
	.set _ZN9rocsparseL23csrsm_solve_copy_y_to_BILj1024EfEEvlPT0_lPKS1_.numbered_sgpr, 12
	.set _ZN9rocsparseL23csrsm_solve_copy_y_to_BILj1024EfEEvlPT0_lPKS1_.num_named_barrier, 0
	.set _ZN9rocsparseL23csrsm_solve_copy_y_to_BILj1024EfEEvlPT0_lPKS1_.private_seg_size, 0
	.set _ZN9rocsparseL23csrsm_solve_copy_y_to_BILj1024EfEEvlPT0_lPKS1_.uses_vcc, 0
	.set _ZN9rocsparseL23csrsm_solve_copy_y_to_BILj1024EfEEvlPT0_lPKS1_.uses_flat_scratch, 0
	.set _ZN9rocsparseL23csrsm_solve_copy_y_to_BILj1024EfEEvlPT0_lPKS1_.has_dyn_sized_stack, 0
	.set _ZN9rocsparseL23csrsm_solve_copy_y_to_BILj1024EfEEvlPT0_lPKS1_.has_recursion, 0
	.set _ZN9rocsparseL23csrsm_solve_copy_y_to_BILj1024EfEEvlPT0_lPKS1_.has_indirect_call, 0
	.section	.AMDGPU.csdata,"",@progbits
; Kernel info:
; codeLenInByte = 136
; TotalNumSgprs: 12
; NumVgprs: 4
; ScratchSize: 0
; MemoryBound: 0
; FloatMode: 240
; IeeeMode: 1
; LDSByteSize: 0 bytes/workgroup (compile time only)
; SGPRBlocks: 0
; VGPRBlocks: 0
; NumSGPRsForWavesPerEU: 12
; NumVGPRsForWavesPerEU: 4
; NamedBarCnt: 0
; Occupancy: 16
; WaveLimiterHint : 0
; COMPUTE_PGM_RSRC2:SCRATCH_EN: 0
; COMPUTE_PGM_RSRC2:USER_SGPR: 2
; COMPUTE_PGM_RSRC2:TRAP_HANDLER: 0
; COMPUTE_PGM_RSRC2:TGID_X_EN: 1
; COMPUTE_PGM_RSRC2:TGID_Y_EN: 0
; COMPUTE_PGM_RSRC2:TGID_Z_EN: 0
; COMPUTE_PGM_RSRC2:TIDIG_COMP_CNT: 0
	.section	.text._ZN9rocsparseL5csrsmILj64ELj64ELb1EiifEEv20rocsparse_operation_T3_S2_NS_24const_host_device_scalarIT4_EEPKT2_PKS2_PKS4_PS4_lPiSA_PS2_21rocsparse_index_base_20rocsparse_fill_mode_20rocsparse_diag_type_b,"axG",@progbits,_ZN9rocsparseL5csrsmILj64ELj64ELb1EiifEEv20rocsparse_operation_T3_S2_NS_24const_host_device_scalarIT4_EEPKT2_PKS2_PKS4_PS4_lPiSA_PS2_21rocsparse_index_base_20rocsparse_fill_mode_20rocsparse_diag_type_b,comdat
	.globl	_ZN9rocsparseL5csrsmILj64ELj64ELb1EiifEEv20rocsparse_operation_T3_S2_NS_24const_host_device_scalarIT4_EEPKT2_PKS2_PKS4_PS4_lPiSA_PS2_21rocsparse_index_base_20rocsparse_fill_mode_20rocsparse_diag_type_b ; -- Begin function _ZN9rocsparseL5csrsmILj64ELj64ELb1EiifEEv20rocsparse_operation_T3_S2_NS_24const_host_device_scalarIT4_EEPKT2_PKS2_PKS4_PS4_lPiSA_PS2_21rocsparse_index_base_20rocsparse_fill_mode_20rocsparse_diag_type_b
	.p2align	8
	.type	_ZN9rocsparseL5csrsmILj64ELj64ELb1EiifEEv20rocsparse_operation_T3_S2_NS_24const_host_device_scalarIT4_EEPKT2_PKS2_PKS4_PS4_lPiSA_PS2_21rocsparse_index_base_20rocsparse_fill_mode_20rocsparse_diag_type_b,@function
_ZN9rocsparseL5csrsmILj64ELj64ELb1EiifEEv20rocsparse_operation_T3_S2_NS_24const_host_device_scalarIT4_EEPKT2_PKS2_PKS4_PS4_lPiSA_PS2_21rocsparse_index_base_20rocsparse_fill_mode_20rocsparse_diag_type_b: ; @_ZN9rocsparseL5csrsmILj64ELj64ELb1EiifEEv20rocsparse_operation_T3_S2_NS_24const_host_device_scalarIT4_EEPKT2_PKS2_PKS4_PS4_lPiSA_PS2_21rocsparse_index_base_20rocsparse_fill_mode_20rocsparse_diag_type_b
; %bb.0:
	s_clause 0x2
	s_load_b128 s[4:7], s[0:1], 0x58
	s_load_b128 s[12:15], s[0:1], 0x10
	s_load_b64 s[2:3], s[0:1], 0x48
	s_wait_kmcnt 0x0
	s_bitcmp1_b32 s7, 0
	s_cselect_b32 s7, -1, 0
	s_delay_alu instid0(SALU_CYCLE_1)
	s_and_b32 vcc_lo, exec_lo, s7
	s_cbranch_vccnz .LBB1_2
; %bb.1:
	s_load_b32 s12, s[12:13], 0x0
.LBB1_2:
	s_nop 0
	s_load_b64 s[20:21], s[0:1], 0x4
	s_bfe_u32 s9, ttmp6, 0x4000c
	s_and_b32 s8, ttmp6, 15
	s_add_co_i32 s9, s9, 1
	s_getreg_b32 s11, hwreg(HW_REG_IB_STS2, 6, 4)
	s_mul_i32 s9, ttmp9, s9
	v_mov_b32_e32 v6, 0
	s_add_co_i32 s8, s8, s9
	s_wait_kmcnt 0x0
	s_cvt_f32_u32 s7, s20
	s_sub_co_i32 s10, 0, s20
	s_delay_alu instid0(SALU_CYCLE_2) | instskip(SKIP_1) | instid1(TRANS32_DEP_1)
	v_rcp_iflag_f32_e32 v1, s7
	v_nop
	v_readfirstlane_b32 s7, v1
	s_mul_f32 s7, s7, 0x4f7ffffe
	s_delay_alu instid0(SALU_CYCLE_3) | instskip(NEXT) | instid1(SALU_CYCLE_3)
	s_cvt_u32_f32 s7, s7
	s_mul_i32 s10, s10, s7
	s_delay_alu instid0(SALU_CYCLE_1) | instskip(NEXT) | instid1(SALU_CYCLE_1)
	s_mul_hi_u32 s10, s7, s10
	s_add_co_i32 s7, s7, s10
	s_cmp_eq_u32 s11, 0
	s_cselect_b32 s8, ttmp9, s8
	s_delay_alu instid0(SALU_CYCLE_1) | instskip(NEXT) | instid1(SALU_CYCLE_1)
	s_mul_hi_u32 s7, s8, s7
	s_mul_i32 s9, s7, s20
	s_add_co_i32 s10, s7, 1
	s_sub_co_i32 s9, s8, s9
	s_delay_alu instid0(SALU_CYCLE_1)
	s_sub_co_i32 s11, s9, s20
	s_cmp_ge_u32 s9, s20
	s_cselect_b32 s7, s10, s7
	s_cselect_b32 s9, s11, s9
	s_add_co_i32 s10, s7, 1
	s_cmp_ge_u32 s9, s20
	s_cselect_b32 s13, s10, s7
	s_delay_alu instid0(SALU_CYCLE_1) | instskip(SKIP_2) | instid1(SALU_CYCLE_1)
	s_mul_i32 s7, s13, s20
	v_lshl_or_b32 v2, s13, 6, v0
	s_sub_co_i32 s8, s8, s7
	s_ashr_i32 s9, s8, 31
	s_delay_alu instid0(VALU_DEP_1) | instskip(SKIP_1) | instid1(SALU_CYCLE_1)
	v_ashrrev_i32_e32 v3, 31, v2
	s_lshl_b64 s[8:9], s[8:9], 2
	s_add_nc_u64 s[2:3], s[2:3], s[8:9]
	s_load_b128 s[8:11], s[0:1], 0x30
	s_load_b32 s16, s[2:3], 0x0
	s_wait_kmcnt 0x0
	s_ashr_i32 s17, s16, 31
	s_delay_alu instid0(SALU_CYCLE_1) | instskip(NEXT) | instid1(SALU_CYCLE_1)
	s_lshl_b64 s[2:3], s[16:17], 2
	s_add_nc_u64 s[2:3], s[14:15], s[2:3]
	s_load_b64 s[18:19], s[0:1], 0x40
	s_load_b64 s[22:23], s[2:3], 0x0
	s_wait_xcnt 0x0
	v_cmp_gt_i32_e64 s2, s21, v2
	s_mul_u64 s[20:21], s[10:11], s[16:17]
	s_and_saveexec_b32 s3, s2
	s_cbranch_execz .LBB1_4
; %bb.3:
	v_add_nc_u64_e32 v[4:5], s[20:21], v[2:3]
	s_delay_alu instid0(VALU_DEP_1)
	v_lshl_add_u64 v[4:5], v[4:5], 2, s[8:9]
	global_load_b32 v1, v[4:5], off
	s_wait_loadcnt 0x0
	v_mul_f32_e32 v6, s12, v1
.LBB1_4:
	s_or_b32 exec_lo, exec_lo, s3
	v_lshl_add_u64 v[2:3], v[2:3], 2, s[8:9]
	v_mov_b32_e32 v9, 1.0
	v_cmp_eq_u32_e64 s3, 0, v0
	s_wait_kmcnt 0x0
	s_cmp_ge_i32 s22, s23
	s_cbranch_scc1 .LBB1_43
; %bb.5:
	s_clause 0x1
	s_load_b64 s[8:9], s[0:1], 0x50
	s_load_b128 s[12:15], s[0:1], 0x20
	v_dual_lshlrev_b32 v1, 2, v0 :: v_dual_mov_b32 v7, 1.0
	s_sub_co_i32 s17, s22, s4
	s_sub_co_i32 s26, s23, s4
	s_cmp_lg_u32 s6, 0
	s_delay_alu instid0(VALU_DEP_1)
	v_or_b32_e32 v4, 0x100, v1
	s_cselect_b32 s27, -1, 0
	s_wait_xcnt 0x0
	v_cmp_ne_u32_e64 s0, 0, v0
	s_add_co_i32 s28, s16, s4
	v_mov_b32_e32 v5, 0
	s_cmp_eq_u32 s6, 0
	s_mov_b32 s29, s17
	s_cselect_b32 s1, -1, 0
	s_sub_co_i32 s22, s29, s17
	s_delay_alu instid0(SALU_CYCLE_1) | instskip(NEXT) | instid1(SALU_CYCLE_1)
	s_and_b32 s22, s22, 63
	s_cmp_lg_u32 s22, 0
	s_cbranch_scc1 .LBB1_9
.LBB1_6:
	s_sub_co_i32 s23, s26, s29
	v_dual_mov_b32 v8, -1.0 :: v_dual_mov_b32 v9, -1
	v_cmp_gt_u32_e32 vcc_lo, s23, v0
	s_and_saveexec_b32 s23, vcc_lo
	s_cbranch_execz .LBB1_8
; %bb.7:
	v_add_nc_u32_e32 v9, s29, v0
	s_wait_kmcnt 0x0
	s_clause 0x1
	global_load_b32 v10, v9, s[12:13] scale_offset
	global_load_b32 v8, v9, s[14:15] scale_offset
	s_wait_loadcnt 0x1
	s_wait_xcnt 0x0
	v_subrev_nc_u32_e32 v9, s4, v10
.LBB1_8:
	s_or_b32 exec_lo, exec_lo, s23
	ds_store_b32 v1, v9
	s_wait_loadcnt 0x0
	ds_store_b32 v4, v8
.LBB1_9:                                ; =>This Loop Header: Depth=1
                                        ;     Child Loop BB1_41 Depth 2
                                        ;       Child Loop BB1_42 Depth 3
	s_lshl_b32 s22, s22, 2
	s_wait_dscnt 0x0
	v_mov_b32_e32 v8, s22
	s_barrier_signal -1
	s_barrier_wait -1
	ds_load_2addr_stride64_b32 v[8:9], v8 offset1:1
	s_wait_dscnt 0x0
	v_readfirstlane_b32 s22, v8
	v_cmp_neq_f32_e32 vcc_lo, 0, v9
	s_cmp_lg_u32 s22, s16
	s_cselect_b32 s23, -1, 0
	s_delay_alu instid0(SALU_CYCLE_1) | instskip(NEXT) | instid1(SALU_CYCLE_1)
	s_or_b32 s23, s27, s23
	s_or_b32 vcc_lo, vcc_lo, s23
	v_cndmask_b32_e32 v8, 1.0, v9, vcc_lo
	s_nor_b32 s24, s0, vcc_lo
	s_delay_alu instid0(SALU_CYCLE_1)
	s_and_saveexec_b32 s23, s24
	s_cbranch_execz .LBB1_13
; %bb.10:                               ;   in Loop: Header=BB1_9 Depth=1
	v_mbcnt_lo_u32_b32 v8, exec_lo, 0
	s_mov_b32 s24, exec_lo
	s_delay_alu instid0(VALU_DEP_1)
	v_cmpx_eq_u32_e32 0, v8
	s_cbranch_execz .LBB1_12
; %bb.11:                               ;   in Loop: Header=BB1_9 Depth=1
	v_mov_b32_e32 v8, s28
	s_wait_kmcnt 0x0
	global_atomic_min_i32 v5, v8, s[8:9] scope:SCOPE_DEV
.LBB1_12:                               ;   in Loop: Header=BB1_9 Depth=1
	s_wait_xcnt 0x0
	s_or_b32 exec_lo, exec_lo, s24
	v_mov_b32_e32 v8, 1.0
.LBB1_13:                               ;   in Loop: Header=BB1_9 Depth=1
	s_or_b32 exec_lo, exec_lo, s23
	s_mov_b32 s25, -1
	s_mov_b32 s23, 0
	s_cmp_lt_i32 s5, 1
	s_mov_b32 s24, 0
                                        ; implicit-def: $vgpr9
	s_cbranch_scc0 .LBB1_20
; %bb.14:                               ;   in Loop: Header=BB1_9 Depth=1
	s_and_b32 vcc_lo, exec_lo, s25
	s_mov_b32 s25, 4
	s_cbranch_vccnz .LBB1_25
.LBB1_15:                               ;   in Loop: Header=BB1_9 Depth=1
	v_mov_b32_e32 v10, v6
	s_and_b32 vcc_lo, exec_lo, s24
	s_cbranch_vccnz .LBB1_30
.LBB1_16:                               ;   in Loop: Header=BB1_9 Depth=1
	s_and_b32 vcc_lo, exec_lo, s23
	s_cbranch_vccnz .LBB1_35
.LBB1_17:                               ;   in Loop: Header=BB1_9 Depth=1
	s_mov_b32 s22, -1
	s_cmp_gt_i32 s25, 3
	s_mov_b32 s23, -1
	s_cbranch_scc0 .LBB1_36
.LBB1_18:                               ;   in Loop: Header=BB1_9 Depth=1
	s_and_not1_b32 vcc_lo, exec_lo, s23
	s_cbranch_vccz .LBB1_37
.LBB1_19:                               ;   in Loop: Header=BB1_9 Depth=1
	s_and_not1_b32 vcc_lo, exec_lo, s22
	s_cbranch_vccnz .LBB1_38
	s_branch .LBB1_44
.LBB1_20:                               ;   in Loop: Header=BB1_9 Depth=1
	s_cmp_eq_u32 s5, 1
	s_mov_b32 s24, -1
                                        ; implicit-def: $vgpr9
	s_cbranch_scc0 .LBB1_24
; %bb.21:                               ;   in Loop: Header=BB1_9 Depth=1
	v_mov_b32_e32 v9, v7
	s_cmp_ge_i32 s22, s16
	s_mov_b32 s24, 0
	s_cbranch_scc0 .LBB1_24
; %bb.22:                               ;   in Loop: Header=BB1_9 Depth=1
	s_cmp_eq_u32 s22, s16
	s_mov_b32 s24, -1
                                        ; implicit-def: $vgpr9
	s_cbranch_scc0 .LBB1_24
; %bb.23:                               ;   in Loop: Header=BB1_9 Depth=1
	v_div_scale_f32 v9, null, v8, v8, 1.0
	s_mov_b32 s24, 0
	v_rcp_f32_e32 v10, v9
	v_nop
	s_delay_alu instid0(TRANS32_DEP_1) | instskip(NEXT) | instid1(VALU_DEP_1)
	v_fma_f32 v11, -v9, v10, 1.0
	v_fmac_f32_e32 v10, v11, v10
	v_div_scale_f32 v11, vcc_lo, 1.0, v8, 1.0
	s_delay_alu instid0(VALU_DEP_1) | instskip(NEXT) | instid1(VALU_DEP_1)
	v_mul_f32_e32 v12, v11, v10
	v_fma_f32 v13, -v9, v12, v11
	s_delay_alu instid0(VALU_DEP_1) | instskip(NEXT) | instid1(VALU_DEP_1)
	v_fmac_f32_e32 v12, v13, v10
	v_fma_f32 v9, -v9, v12, v11
	s_delay_alu instid0(VALU_DEP_1) | instskip(NEXT) | instid1(VALU_DEP_1)
	v_div_fmas_f32 v9, v9, v10, v12
	v_div_fixup_f32 v9, v9, v8, 1.0
	s_delay_alu instid0(VALU_DEP_1)
	v_cndmask_b32_e64 v9, v7, v9, s1
.LBB1_24:                               ;   in Loop: Header=BB1_9 Depth=1
	s_mov_b32 s25, 4
	s_branch .LBB1_15
.LBB1_25:                               ;   in Loop: Header=BB1_9 Depth=1
	s_cmp_eq_u32 s5, 0
	s_cbranch_scc1 .LBB1_27
; %bb.26:                               ;   in Loop: Header=BB1_9 Depth=1
	s_mov_b32 s24, -1
	s_branch .LBB1_29
.LBB1_27:                               ;   in Loop: Header=BB1_9 Depth=1
	s_cmp_le_i32 s22, s16
	s_mov_b32 s24, 0
	s_cbranch_scc0 .LBB1_29
; %bb.28:                               ;   in Loop: Header=BB1_9 Depth=1
	s_cmp_lg_u32 s22, s16
	s_mov_b32 s23, -1
	s_cselect_b32 s24, -1, 0
.LBB1_29:                               ;   in Loop: Header=BB1_9 Depth=1
	v_mov_b32_e32 v9, v7
	s_mov_b32 s25, 2
	v_mov_b32_e32 v10, v6
	s_and_b32 vcc_lo, exec_lo, s24
	s_cbranch_vccz .LBB1_16
.LBB1_30:                               ;   in Loop: Header=BB1_9 Depth=1
	s_and_saveexec_b32 s23, s3
	s_cbranch_execz .LBB1_32
; %bb.31:                               ;   in Loop: Header=BB1_9 Depth=1
	s_add_co_i32 s24, s22, s7
	s_delay_alu instid0(SALU_CYCLE_1)
	v_mov_b32_e32 v9, s24
	global_load_b32 v9, v9, s[18:19] scale_offset scope:SCOPE_DEV
	s_wait_loadcnt 0x0
	v_cmp_ne_u32_e32 vcc_lo, 0, v9
	s_cbranch_vccz .LBB1_39
.LBB1_32:                               ;   in Loop: Header=BB1_9 Depth=1
	s_wait_xcnt 0x0
	s_or_b32 exec_lo, exec_lo, s23
	v_mov_b32_e32 v10, 0
	s_wait_storecnt 0x0
	s_barrier_signal -1
	s_barrier_wait -1
	global_inv scope:SCOPE_DEV
	s_and_saveexec_b32 s24, s2
	s_cbranch_execz .LBB1_34
; %bb.33:                               ;   in Loop: Header=BB1_9 Depth=1
	s_ashr_i32 s23, s22, 31
	s_delay_alu instid0(SALU_CYCLE_1) | instskip(NEXT) | instid1(SALU_CYCLE_1)
	s_mul_u64 s[22:23], s[10:11], s[22:23]
	v_lshl_add_u64 v[10:11], s[22:23], 2, v[2:3]
	global_load_b32 v9, v[10:11], off
	s_wait_loadcnt 0x0
	v_fma_f32 v10, -v8, v9, v6
.LBB1_34:                               ;   in Loop: Header=BB1_9 Depth=1
	s_or_b32 exec_lo, exec_lo, s24
	v_mov_b32_e32 v9, v7
	s_mov_b32 s25, 0
	s_branch .LBB1_17
.LBB1_35:                               ;   in Loop: Header=BB1_9 Depth=1
	v_div_scale_f32 v9, null, v8, v8, 1.0
	v_div_scale_f32 v12, vcc_lo, 1.0, v8, 1.0
	s_mov_b32 s25, 2
	v_rcp_f32_e32 v10, v9
	v_nop
	s_delay_alu instid0(TRANS32_DEP_1) | instskip(NEXT) | instid1(VALU_DEP_1)
	v_fma_f32 v11, -v9, v10, 1.0
	v_fmac_f32_e32 v10, v11, v10
	s_delay_alu instid0(VALU_DEP_1) | instskip(NEXT) | instid1(VALU_DEP_1)
	v_mul_f32_e32 v11, v12, v10
	v_fma_f32 v13, -v9, v11, v12
	s_delay_alu instid0(VALU_DEP_1) | instskip(NEXT) | instid1(VALU_DEP_1)
	v_fmac_f32_e32 v11, v13, v10
	v_fma_f32 v9, -v9, v11, v12
	s_delay_alu instid0(VALU_DEP_1) | instskip(SKIP_1) | instid1(VALU_DEP_2)
	v_div_fmas_f32 v9, v9, v10, v11
	v_mov_b32_e32 v10, v6
	v_div_fixup_f32 v8, v9, v8, 1.0
	s_delay_alu instid0(VALU_DEP_1)
	v_cndmask_b32_e64 v9, v7, v8, s1
	s_mov_b32 s22, -1
	s_cmp_gt_i32 s25, 3
	s_mov_b32 s23, -1
	s_cbranch_scc1 .LBB1_18
.LBB1_36:                               ;   in Loop: Header=BB1_9 Depth=1
	s_cmp_eq_u32 s25, 0
	s_cselect_b32 s23, -1, 0
	s_delay_alu instid0(SALU_CYCLE_1)
	s_and_not1_b32 vcc_lo, exec_lo, s23
	s_cbranch_vccnz .LBB1_19
.LBB1_37:                               ;   in Loop: Header=BB1_9 Depth=1
	s_add_co_i32 s29, s29, 1
	s_delay_alu instid0(SALU_CYCLE_1) | instskip(SKIP_1) | instid1(SALU_CYCLE_1)
	s_cmp_ge_i32 s29, s26
	s_cselect_b32 s22, -1, 0
	s_and_not1_b32 vcc_lo, exec_lo, s22
	s_cbranch_vccz .LBB1_44
.LBB1_38:                               ;   in Loop: Header=BB1_9 Depth=1
	v_dual_mov_b32 v6, v10 :: v_dual_mov_b32 v7, v9
	s_sub_co_i32 s22, s29, s17
	s_delay_alu instid0(SALU_CYCLE_1) | instskip(NEXT) | instid1(SALU_CYCLE_1)
	s_and_b32 s22, s22, 63
	s_cmp_lg_u32 s22, 0
	s_cbranch_scc1 .LBB1_9
	s_branch .LBB1_6
.LBB1_39:                               ;   in Loop: Header=BB1_9 Depth=1
	s_ashr_i32 s25, s24, 31
	s_mov_b32 s30, 0
	s_lshl_b64 s[24:25], s[24:25], 2
	s_delay_alu instid0(SALU_CYCLE_1)
	s_add_nc_u64 s[24:25], s[18:19], s[24:25]
	s_branch .LBB1_41
.LBB1_40:                               ;   in Loop: Header=BB1_41 Depth=2
	global_load_b32 v9, v5, s[24:25] scope:SCOPE_DEV
	s_cmp_lt_u32 s30, 0xf43
	s_cselect_b32 s31, -1, 0
	s_delay_alu instid0(SALU_CYCLE_1)
	s_cmp_lg_u32 s31, 0
	s_add_co_ci_u32 s30, s30, 0
	s_wait_loadcnt 0x0
	v_cmp_ne_u32_e32 vcc_lo, 0, v9
	s_cbranch_vccnz .LBB1_32
.LBB1_41:                               ;   Parent Loop BB1_9 Depth=1
                                        ; =>  This Loop Header: Depth=2
                                        ;       Child Loop BB1_42 Depth 3
	s_cmp_eq_u32 s30, 0
	s_mov_b32 s31, s30
	s_cbranch_scc1 .LBB1_40
.LBB1_42:                               ;   Parent Loop BB1_9 Depth=1
                                        ;     Parent Loop BB1_41 Depth=2
                                        ; =>    This Inner Loop Header: Depth=3
	s_add_co_i32 s31, s31, -1
	s_sleep 1
	s_cmp_eq_u32 s31, 0
	s_cbranch_scc0 .LBB1_42
	s_branch .LBB1_40
.LBB1_43:
	v_mov_b32_e32 v10, v6
.LBB1_44:
	s_and_saveexec_b32 s0, s2
	s_cbranch_execz .LBB1_46
; %bb.45:
	s_delay_alu instid0(VALU_DEP_1) | instskip(SKIP_3) | instid1(VALU_DEP_2)
	v_mul_f32_e32 v1, v9, v10
	s_cmp_eq_u32 s6, 0
	v_lshl_add_u64 v[2:3], s[20:21], 2, v[2:3]
	s_cselect_b32 vcc_lo, -1, 0
	v_cndmask_b32_e32 v1, v10, v1, vcc_lo
	global_store_b32 v[2:3], v1, off
.LBB1_46:
	s_wait_xcnt 0x0
	s_or_b32 exec_lo, exec_lo, s0
	global_wb scope:SCOPE_DEV
	s_wait_loadcnt 0x0
	s_wait_storecnt 0x0
	global_inv scope:SCOPE_DEV
	s_wait_loadcnt 0x0
	s_barrier_signal -1
	s_barrier_wait -1
	s_mov_b32 s0, exec_lo
	v_cmpx_eq_u32_e32 0, v0
	s_cbranch_execz .LBB1_48
; %bb.47:
	s_add_co_i32 s0, s16, s7
	s_delay_alu instid0(SALU_CYCLE_1)
	v_dual_mov_b32 v0, 1 :: v_dual_mov_b32 v1, s0
	global_store_b32 v1, v0, s[18:19] scale_offset scope:SCOPE_DEV
.LBB1_48:
	s_endpgm
	.section	.rodata,"a",@progbits
	.p2align	6, 0x0
	.amdhsa_kernel _ZN9rocsparseL5csrsmILj64ELj64ELb1EiifEEv20rocsparse_operation_T3_S2_NS_24const_host_device_scalarIT4_EEPKT2_PKS2_PKS4_PS4_lPiSA_PS2_21rocsparse_index_base_20rocsparse_fill_mode_20rocsparse_diag_type_b
		.amdhsa_group_segment_fixed_size 512
		.amdhsa_private_segment_fixed_size 0
		.amdhsa_kernarg_size 104
		.amdhsa_user_sgpr_count 2
		.amdhsa_user_sgpr_dispatch_ptr 0
		.amdhsa_user_sgpr_queue_ptr 0
		.amdhsa_user_sgpr_kernarg_segment_ptr 1
		.amdhsa_user_sgpr_dispatch_id 0
		.amdhsa_user_sgpr_kernarg_preload_length 0
		.amdhsa_user_sgpr_kernarg_preload_offset 0
		.amdhsa_user_sgpr_private_segment_size 0
		.amdhsa_wavefront_size32 1
		.amdhsa_uses_dynamic_stack 0
		.amdhsa_enable_private_segment 0
		.amdhsa_system_sgpr_workgroup_id_x 1
		.amdhsa_system_sgpr_workgroup_id_y 0
		.amdhsa_system_sgpr_workgroup_id_z 0
		.amdhsa_system_sgpr_workgroup_info 0
		.amdhsa_system_vgpr_workitem_id 0
		.amdhsa_next_free_vgpr 14
		.amdhsa_next_free_sgpr 32
		.amdhsa_named_barrier_count 0
		.amdhsa_reserve_vcc 1
		.amdhsa_float_round_mode_32 0
		.amdhsa_float_round_mode_16_64 0
		.amdhsa_float_denorm_mode_32 3
		.amdhsa_float_denorm_mode_16_64 3
		.amdhsa_fp16_overflow 0
		.amdhsa_memory_ordered 1
		.amdhsa_forward_progress 1
		.amdhsa_inst_pref_size 14
		.amdhsa_round_robin_scheduling 0
		.amdhsa_exception_fp_ieee_invalid_op 0
		.amdhsa_exception_fp_denorm_src 0
		.amdhsa_exception_fp_ieee_div_zero 0
		.amdhsa_exception_fp_ieee_overflow 0
		.amdhsa_exception_fp_ieee_underflow 0
		.amdhsa_exception_fp_ieee_inexact 0
		.amdhsa_exception_int_div_zero 0
	.end_amdhsa_kernel
	.section	.text._ZN9rocsparseL5csrsmILj64ELj64ELb1EiifEEv20rocsparse_operation_T3_S2_NS_24const_host_device_scalarIT4_EEPKT2_PKS2_PKS4_PS4_lPiSA_PS2_21rocsparse_index_base_20rocsparse_fill_mode_20rocsparse_diag_type_b,"axG",@progbits,_ZN9rocsparseL5csrsmILj64ELj64ELb1EiifEEv20rocsparse_operation_T3_S2_NS_24const_host_device_scalarIT4_EEPKT2_PKS2_PKS4_PS4_lPiSA_PS2_21rocsparse_index_base_20rocsparse_fill_mode_20rocsparse_diag_type_b,comdat
.Lfunc_end1:
	.size	_ZN9rocsparseL5csrsmILj64ELj64ELb1EiifEEv20rocsparse_operation_T3_S2_NS_24const_host_device_scalarIT4_EEPKT2_PKS2_PKS4_PS4_lPiSA_PS2_21rocsparse_index_base_20rocsparse_fill_mode_20rocsparse_diag_type_b, .Lfunc_end1-_ZN9rocsparseL5csrsmILj64ELj64ELb1EiifEEv20rocsparse_operation_T3_S2_NS_24const_host_device_scalarIT4_EEPKT2_PKS2_PKS4_PS4_lPiSA_PS2_21rocsparse_index_base_20rocsparse_fill_mode_20rocsparse_diag_type_b
                                        ; -- End function
	.set _ZN9rocsparseL5csrsmILj64ELj64ELb1EiifEEv20rocsparse_operation_T3_S2_NS_24const_host_device_scalarIT4_EEPKT2_PKS2_PKS4_PS4_lPiSA_PS2_21rocsparse_index_base_20rocsparse_fill_mode_20rocsparse_diag_type_b.num_vgpr, 14
	.set _ZN9rocsparseL5csrsmILj64ELj64ELb1EiifEEv20rocsparse_operation_T3_S2_NS_24const_host_device_scalarIT4_EEPKT2_PKS2_PKS4_PS4_lPiSA_PS2_21rocsparse_index_base_20rocsparse_fill_mode_20rocsparse_diag_type_b.num_agpr, 0
	.set _ZN9rocsparseL5csrsmILj64ELj64ELb1EiifEEv20rocsparse_operation_T3_S2_NS_24const_host_device_scalarIT4_EEPKT2_PKS2_PKS4_PS4_lPiSA_PS2_21rocsparse_index_base_20rocsparse_fill_mode_20rocsparse_diag_type_b.numbered_sgpr, 32
	.set _ZN9rocsparseL5csrsmILj64ELj64ELb1EiifEEv20rocsparse_operation_T3_S2_NS_24const_host_device_scalarIT4_EEPKT2_PKS2_PKS4_PS4_lPiSA_PS2_21rocsparse_index_base_20rocsparse_fill_mode_20rocsparse_diag_type_b.num_named_barrier, 0
	.set _ZN9rocsparseL5csrsmILj64ELj64ELb1EiifEEv20rocsparse_operation_T3_S2_NS_24const_host_device_scalarIT4_EEPKT2_PKS2_PKS4_PS4_lPiSA_PS2_21rocsparse_index_base_20rocsparse_fill_mode_20rocsparse_diag_type_b.private_seg_size, 0
	.set _ZN9rocsparseL5csrsmILj64ELj64ELb1EiifEEv20rocsparse_operation_T3_S2_NS_24const_host_device_scalarIT4_EEPKT2_PKS2_PKS4_PS4_lPiSA_PS2_21rocsparse_index_base_20rocsparse_fill_mode_20rocsparse_diag_type_b.uses_vcc, 1
	.set _ZN9rocsparseL5csrsmILj64ELj64ELb1EiifEEv20rocsparse_operation_T3_S2_NS_24const_host_device_scalarIT4_EEPKT2_PKS2_PKS4_PS4_lPiSA_PS2_21rocsparse_index_base_20rocsparse_fill_mode_20rocsparse_diag_type_b.uses_flat_scratch, 0
	.set _ZN9rocsparseL5csrsmILj64ELj64ELb1EiifEEv20rocsparse_operation_T3_S2_NS_24const_host_device_scalarIT4_EEPKT2_PKS2_PKS4_PS4_lPiSA_PS2_21rocsparse_index_base_20rocsparse_fill_mode_20rocsparse_diag_type_b.has_dyn_sized_stack, 0
	.set _ZN9rocsparseL5csrsmILj64ELj64ELb1EiifEEv20rocsparse_operation_T3_S2_NS_24const_host_device_scalarIT4_EEPKT2_PKS2_PKS4_PS4_lPiSA_PS2_21rocsparse_index_base_20rocsparse_fill_mode_20rocsparse_diag_type_b.has_recursion, 0
	.set _ZN9rocsparseL5csrsmILj64ELj64ELb1EiifEEv20rocsparse_operation_T3_S2_NS_24const_host_device_scalarIT4_EEPKT2_PKS2_PKS4_PS4_lPiSA_PS2_21rocsparse_index_base_20rocsparse_fill_mode_20rocsparse_diag_type_b.has_indirect_call, 0
	.section	.AMDGPU.csdata,"",@progbits
; Kernel info:
; codeLenInByte = 1668
; TotalNumSgprs: 34
; NumVgprs: 14
; ScratchSize: 0
; MemoryBound: 0
; FloatMode: 240
; IeeeMode: 1
; LDSByteSize: 512 bytes/workgroup (compile time only)
; SGPRBlocks: 0
; VGPRBlocks: 0
; NumSGPRsForWavesPerEU: 34
; NumVGPRsForWavesPerEU: 14
; NamedBarCnt: 0
; Occupancy: 16
; WaveLimiterHint : 1
; COMPUTE_PGM_RSRC2:SCRATCH_EN: 0
; COMPUTE_PGM_RSRC2:USER_SGPR: 2
; COMPUTE_PGM_RSRC2:TRAP_HANDLER: 0
; COMPUTE_PGM_RSRC2:TGID_X_EN: 1
; COMPUTE_PGM_RSRC2:TGID_Y_EN: 0
; COMPUTE_PGM_RSRC2:TGID_Z_EN: 0
; COMPUTE_PGM_RSRC2:TIDIG_COMP_CNT: 0
	.section	.text._ZN9rocsparseL5csrsmILj64ELj64ELb0EiifEEv20rocsparse_operation_T3_S2_NS_24const_host_device_scalarIT4_EEPKT2_PKS2_PKS4_PS4_lPiSA_PS2_21rocsparse_index_base_20rocsparse_fill_mode_20rocsparse_diag_type_b,"axG",@progbits,_ZN9rocsparseL5csrsmILj64ELj64ELb0EiifEEv20rocsparse_operation_T3_S2_NS_24const_host_device_scalarIT4_EEPKT2_PKS2_PKS4_PS4_lPiSA_PS2_21rocsparse_index_base_20rocsparse_fill_mode_20rocsparse_diag_type_b,comdat
	.globl	_ZN9rocsparseL5csrsmILj64ELj64ELb0EiifEEv20rocsparse_operation_T3_S2_NS_24const_host_device_scalarIT4_EEPKT2_PKS2_PKS4_PS4_lPiSA_PS2_21rocsparse_index_base_20rocsparse_fill_mode_20rocsparse_diag_type_b ; -- Begin function _ZN9rocsparseL5csrsmILj64ELj64ELb0EiifEEv20rocsparse_operation_T3_S2_NS_24const_host_device_scalarIT4_EEPKT2_PKS2_PKS4_PS4_lPiSA_PS2_21rocsparse_index_base_20rocsparse_fill_mode_20rocsparse_diag_type_b
	.p2align	8
	.type	_ZN9rocsparseL5csrsmILj64ELj64ELb0EiifEEv20rocsparse_operation_T3_S2_NS_24const_host_device_scalarIT4_EEPKT2_PKS2_PKS4_PS4_lPiSA_PS2_21rocsparse_index_base_20rocsparse_fill_mode_20rocsparse_diag_type_b,@function
_ZN9rocsparseL5csrsmILj64ELj64ELb0EiifEEv20rocsparse_operation_T3_S2_NS_24const_host_device_scalarIT4_EEPKT2_PKS2_PKS4_PS4_lPiSA_PS2_21rocsparse_index_base_20rocsparse_fill_mode_20rocsparse_diag_type_b: ; @_ZN9rocsparseL5csrsmILj64ELj64ELb0EiifEEv20rocsparse_operation_T3_S2_NS_24const_host_device_scalarIT4_EEPKT2_PKS2_PKS4_PS4_lPiSA_PS2_21rocsparse_index_base_20rocsparse_fill_mode_20rocsparse_diag_type_b
; %bb.0:
	s_clause 0x2
	s_load_b128 s[4:7], s[0:1], 0x58
	s_load_b128 s[12:15], s[0:1], 0x10
	s_load_b64 s[2:3], s[0:1], 0x48
	s_wait_kmcnt 0x0
	s_bitcmp1_b32 s7, 0
	s_cselect_b32 s7, -1, 0
	s_delay_alu instid0(SALU_CYCLE_1)
	s_and_b32 vcc_lo, exec_lo, s7
	s_cbranch_vccnz .LBB2_2
; %bb.1:
	s_load_b32 s12, s[12:13], 0x0
.LBB2_2:
	s_nop 0
	s_load_b64 s[20:21], s[0:1], 0x4
	s_bfe_u32 s9, ttmp6, 0x4000c
	s_and_b32 s8, ttmp6, 15
	s_add_co_i32 s9, s9, 1
	s_getreg_b32 s11, hwreg(HW_REG_IB_STS2, 6, 4)
	s_mul_i32 s9, ttmp9, s9
	v_mov_b32_e32 v6, 0
	s_add_co_i32 s8, s8, s9
	s_wait_kmcnt 0x0
	s_cvt_f32_u32 s7, s20
	s_sub_co_i32 s10, 0, s20
	s_delay_alu instid0(SALU_CYCLE_2) | instskip(SKIP_1) | instid1(TRANS32_DEP_1)
	v_rcp_iflag_f32_e32 v1, s7
	v_nop
	v_readfirstlane_b32 s7, v1
	s_mul_f32 s7, s7, 0x4f7ffffe
	s_delay_alu instid0(SALU_CYCLE_3) | instskip(NEXT) | instid1(SALU_CYCLE_3)
	s_cvt_u32_f32 s7, s7
	s_mul_i32 s10, s10, s7
	s_delay_alu instid0(SALU_CYCLE_1) | instskip(NEXT) | instid1(SALU_CYCLE_1)
	s_mul_hi_u32 s10, s7, s10
	s_add_co_i32 s7, s7, s10
	s_cmp_eq_u32 s11, 0
	s_cselect_b32 s8, ttmp9, s8
	s_delay_alu instid0(SALU_CYCLE_1) | instskip(NEXT) | instid1(SALU_CYCLE_1)
	s_mul_hi_u32 s7, s8, s7
	s_mul_i32 s9, s7, s20
	s_add_co_i32 s10, s7, 1
	s_sub_co_i32 s9, s8, s9
	s_delay_alu instid0(SALU_CYCLE_1)
	s_sub_co_i32 s11, s9, s20
	s_cmp_ge_u32 s9, s20
	s_cselect_b32 s7, s10, s7
	s_cselect_b32 s9, s11, s9
	s_add_co_i32 s10, s7, 1
	s_cmp_ge_u32 s9, s20
	s_cselect_b32 s13, s10, s7
	s_delay_alu instid0(SALU_CYCLE_1) | instskip(SKIP_2) | instid1(SALU_CYCLE_1)
	s_mul_i32 s7, s13, s20
	v_lshl_or_b32 v2, s13, 6, v0
	s_sub_co_i32 s8, s8, s7
	s_ashr_i32 s9, s8, 31
	s_delay_alu instid0(VALU_DEP_1) | instskip(SKIP_1) | instid1(SALU_CYCLE_1)
	v_ashrrev_i32_e32 v3, 31, v2
	s_lshl_b64 s[8:9], s[8:9], 2
	s_add_nc_u64 s[2:3], s[2:3], s[8:9]
	s_load_b128 s[8:11], s[0:1], 0x30
	s_load_b32 s16, s[2:3], 0x0
	s_wait_kmcnt 0x0
	s_ashr_i32 s17, s16, 31
	s_delay_alu instid0(SALU_CYCLE_1) | instskip(NEXT) | instid1(SALU_CYCLE_1)
	s_lshl_b64 s[2:3], s[16:17], 2
	s_add_nc_u64 s[2:3], s[14:15], s[2:3]
	s_load_b64 s[18:19], s[0:1], 0x40
	s_load_b64 s[22:23], s[2:3], 0x0
	s_wait_xcnt 0x0
	v_cmp_gt_i32_e64 s2, s21, v2
	s_mul_u64 s[20:21], s[10:11], s[16:17]
	s_and_saveexec_b32 s3, s2
	s_cbranch_execz .LBB2_4
; %bb.3:
	v_add_nc_u64_e32 v[4:5], s[20:21], v[2:3]
	s_delay_alu instid0(VALU_DEP_1)
	v_lshl_add_u64 v[4:5], v[4:5], 2, s[8:9]
	global_load_b32 v1, v[4:5], off
	s_wait_loadcnt 0x0
	v_mul_f32_e32 v6, s12, v1
.LBB2_4:
	s_or_b32 exec_lo, exec_lo, s3
	v_lshl_add_u64 v[2:3], v[2:3], 2, s[8:9]
	v_mov_b32_e32 v9, 1.0
	v_cmp_eq_u32_e64 s3, 0, v0
	s_wait_kmcnt 0x0
	s_cmp_ge_i32 s22, s23
	s_cbranch_scc1 .LBB2_41
; %bb.5:
	s_clause 0x1
	s_load_b64 s[8:9], s[0:1], 0x50
	s_load_b128 s[12:15], s[0:1], 0x20
	v_dual_lshlrev_b32 v1, 2, v0 :: v_dual_mov_b32 v7, 1.0
	s_sub_co_i32 s17, s22, s4
	s_sub_co_i32 s26, s23, s4
	s_cmp_lg_u32 s6, 0
	s_delay_alu instid0(VALU_DEP_1)
	v_or_b32_e32 v4, 0x100, v1
	s_cselect_b32 s27, -1, 0
	s_wait_xcnt 0x0
	v_cmp_ne_u32_e64 s0, 0, v0
	s_add_co_i32 s28, s16, s4
	v_mov_b32_e32 v5, 0
	s_cmp_eq_u32 s6, 0
	s_mov_b32 s29, s17
	s_cselect_b32 s1, -1, 0
	s_sub_co_i32 s22, s29, s17
	s_delay_alu instid0(SALU_CYCLE_1) | instskip(NEXT) | instid1(SALU_CYCLE_1)
	s_and_b32 s22, s22, 63
	s_cmp_lg_u32 s22, 0
	s_cbranch_scc1 .LBB2_9
.LBB2_6:
	s_sub_co_i32 s23, s26, s29
	v_dual_mov_b32 v8, -1.0 :: v_dual_mov_b32 v9, -1
	v_cmp_gt_u32_e32 vcc_lo, s23, v0
	s_and_saveexec_b32 s23, vcc_lo
	s_cbranch_execz .LBB2_8
; %bb.7:
	v_add_nc_u32_e32 v9, s29, v0
	s_wait_kmcnt 0x0
	s_clause 0x1
	global_load_b32 v10, v9, s[12:13] scale_offset
	global_load_b32 v8, v9, s[14:15] scale_offset
	s_wait_loadcnt 0x1
	s_wait_xcnt 0x0
	v_subrev_nc_u32_e32 v9, s4, v10
.LBB2_8:
	s_or_b32 exec_lo, exec_lo, s23
	ds_store_b32 v1, v9
	s_wait_loadcnt 0x0
	ds_store_b32 v4, v8
.LBB2_9:                                ; =>This Loop Header: Depth=1
                                        ;     Child Loop BB2_33 Depth 2
	s_lshl_b32 s22, s22, 2
	s_wait_dscnt 0x0
	v_mov_b32_e32 v8, s22
	s_barrier_signal -1
	s_barrier_wait -1
	ds_load_2addr_stride64_b32 v[8:9], v8 offset1:1
	s_wait_dscnt 0x0
	v_readfirstlane_b32 s22, v8
	v_cmp_neq_f32_e32 vcc_lo, 0, v9
	s_cmp_lg_u32 s22, s16
	s_cselect_b32 s23, -1, 0
	s_delay_alu instid0(SALU_CYCLE_1) | instskip(NEXT) | instid1(SALU_CYCLE_1)
	s_or_b32 s23, s27, s23
	s_or_b32 vcc_lo, vcc_lo, s23
	v_cndmask_b32_e32 v8, 1.0, v9, vcc_lo
	s_nor_b32 s24, s0, vcc_lo
	s_delay_alu instid0(SALU_CYCLE_1)
	s_and_saveexec_b32 s23, s24
	s_cbranch_execz .LBB2_13
; %bb.10:                               ;   in Loop: Header=BB2_9 Depth=1
	v_mbcnt_lo_u32_b32 v8, exec_lo, 0
	s_mov_b32 s24, exec_lo
	s_delay_alu instid0(VALU_DEP_1)
	v_cmpx_eq_u32_e32 0, v8
	s_cbranch_execz .LBB2_12
; %bb.11:                               ;   in Loop: Header=BB2_9 Depth=1
	v_mov_b32_e32 v8, s28
	s_wait_kmcnt 0x0
	global_atomic_min_i32 v5, v8, s[8:9] scope:SCOPE_DEV
.LBB2_12:                               ;   in Loop: Header=BB2_9 Depth=1
	s_wait_xcnt 0x0
	s_or_b32 exec_lo, exec_lo, s24
	v_mov_b32_e32 v8, 1.0
.LBB2_13:                               ;   in Loop: Header=BB2_9 Depth=1
	s_or_b32 exec_lo, exec_lo, s23
	s_mov_b32 s25, -1
	s_mov_b32 s23, 0
	s_cmp_lt_i32 s5, 1
	s_mov_b32 s24, 0
                                        ; implicit-def: $vgpr9
	s_cbranch_scc0 .LBB2_20
; %bb.14:                               ;   in Loop: Header=BB2_9 Depth=1
	s_and_b32 vcc_lo, exec_lo, s25
	s_mov_b32 s25, 4
	s_cbranch_vccnz .LBB2_25
.LBB2_15:                               ;   in Loop: Header=BB2_9 Depth=1
	v_mov_b32_e32 v10, v6
	s_and_b32 vcc_lo, exec_lo, s24
	s_cbranch_vccnz .LBB2_30
.LBB2_16:                               ;   in Loop: Header=BB2_9 Depth=1
	s_and_b32 vcc_lo, exec_lo, s23
	s_cbranch_vccnz .LBB2_37
.LBB2_17:                               ;   in Loop: Header=BB2_9 Depth=1
	s_mov_b32 s22, -1
	s_cmp_gt_i32 s25, 3
	s_mov_b32 s23, -1
	s_cbranch_scc0 .LBB2_38
.LBB2_18:                               ;   in Loop: Header=BB2_9 Depth=1
	s_and_not1_b32 vcc_lo, exec_lo, s23
	s_cbranch_vccz .LBB2_39
.LBB2_19:                               ;   in Loop: Header=BB2_9 Depth=1
	s_and_not1_b32 vcc_lo, exec_lo, s22
	s_cbranch_vccnz .LBB2_40
	s_branch .LBB2_42
.LBB2_20:                               ;   in Loop: Header=BB2_9 Depth=1
	s_cmp_eq_u32 s5, 1
	s_mov_b32 s24, -1
                                        ; implicit-def: $vgpr9
	s_cbranch_scc0 .LBB2_24
; %bb.21:                               ;   in Loop: Header=BB2_9 Depth=1
	v_mov_b32_e32 v9, v7
	s_cmp_ge_i32 s22, s16
	s_mov_b32 s24, 0
	s_cbranch_scc0 .LBB2_24
; %bb.22:                               ;   in Loop: Header=BB2_9 Depth=1
	s_cmp_eq_u32 s22, s16
	s_mov_b32 s24, -1
                                        ; implicit-def: $vgpr9
	s_cbranch_scc0 .LBB2_24
; %bb.23:                               ;   in Loop: Header=BB2_9 Depth=1
	v_div_scale_f32 v9, null, v8, v8, 1.0
	s_mov_b32 s24, 0
	v_rcp_f32_e32 v10, v9
	v_nop
	s_delay_alu instid0(TRANS32_DEP_1) | instskip(NEXT) | instid1(VALU_DEP_1)
	v_fma_f32 v11, -v9, v10, 1.0
	v_fmac_f32_e32 v10, v11, v10
	v_div_scale_f32 v11, vcc_lo, 1.0, v8, 1.0
	s_delay_alu instid0(VALU_DEP_1) | instskip(NEXT) | instid1(VALU_DEP_1)
	v_mul_f32_e32 v12, v11, v10
	v_fma_f32 v13, -v9, v12, v11
	s_delay_alu instid0(VALU_DEP_1) | instskip(NEXT) | instid1(VALU_DEP_1)
	v_fmac_f32_e32 v12, v13, v10
	v_fma_f32 v9, -v9, v12, v11
	s_delay_alu instid0(VALU_DEP_1) | instskip(NEXT) | instid1(VALU_DEP_1)
	v_div_fmas_f32 v9, v9, v10, v12
	v_div_fixup_f32 v9, v9, v8, 1.0
	s_delay_alu instid0(VALU_DEP_1)
	v_cndmask_b32_e64 v9, v7, v9, s1
.LBB2_24:                               ;   in Loop: Header=BB2_9 Depth=1
	s_mov_b32 s25, 4
	s_branch .LBB2_15
.LBB2_25:                               ;   in Loop: Header=BB2_9 Depth=1
	s_cmp_eq_u32 s5, 0
	s_cbranch_scc1 .LBB2_27
; %bb.26:                               ;   in Loop: Header=BB2_9 Depth=1
	s_mov_b32 s24, -1
	s_branch .LBB2_29
.LBB2_27:                               ;   in Loop: Header=BB2_9 Depth=1
	s_cmp_le_i32 s22, s16
	s_mov_b32 s24, 0
	s_cbranch_scc0 .LBB2_29
; %bb.28:                               ;   in Loop: Header=BB2_9 Depth=1
	s_cmp_lg_u32 s22, s16
	s_mov_b32 s23, -1
	s_cselect_b32 s24, -1, 0
.LBB2_29:                               ;   in Loop: Header=BB2_9 Depth=1
	v_mov_b32_e32 v9, v7
	s_mov_b32 s25, 2
	v_mov_b32_e32 v10, v6
	s_and_b32 vcc_lo, exec_lo, s24
	s_cbranch_vccz .LBB2_16
.LBB2_30:                               ;   in Loop: Header=BB2_9 Depth=1
	s_and_saveexec_b32 s23, s3
	s_cbranch_execz .LBB2_34
; %bb.31:                               ;   in Loop: Header=BB2_9 Depth=1
	s_add_co_i32 s24, s22, s7
	s_delay_alu instid0(SALU_CYCLE_1)
	v_mov_b32_e32 v9, s24
	global_load_b32 v9, v9, s[18:19] scale_offset scope:SCOPE_DEV
	s_wait_loadcnt 0x0
	v_cmp_ne_u32_e32 vcc_lo, 0, v9
	s_cbranch_vccnz .LBB2_34
; %bb.32:                               ;   in Loop: Header=BB2_9 Depth=1
	s_ashr_i32 s25, s24, 31
	s_delay_alu instid0(SALU_CYCLE_1) | instskip(NEXT) | instid1(SALU_CYCLE_1)
	s_lshl_b64 s[24:25], s[24:25], 2
	s_add_nc_u64 s[24:25], s[18:19], s[24:25]
.LBB2_33:                               ;   Parent Loop BB2_9 Depth=1
                                        ; =>  This Inner Loop Header: Depth=2
	global_load_b32 v9, v5, s[24:25] scope:SCOPE_DEV
	s_wait_loadcnt 0x0
	v_cmp_eq_u32_e32 vcc_lo, 0, v9
	s_cbranch_vccnz .LBB2_33
.LBB2_34:                               ;   in Loop: Header=BB2_9 Depth=1
	s_wait_xcnt 0x0
	s_or_b32 exec_lo, exec_lo, s23
	v_mov_b32_e32 v10, 0
	s_wait_storecnt 0x0
	s_barrier_signal -1
	s_barrier_wait -1
	global_inv scope:SCOPE_DEV
	s_and_saveexec_b32 s24, s2
	s_cbranch_execz .LBB2_36
; %bb.35:                               ;   in Loop: Header=BB2_9 Depth=1
	s_ashr_i32 s23, s22, 31
	s_delay_alu instid0(SALU_CYCLE_1) | instskip(NEXT) | instid1(SALU_CYCLE_1)
	s_mul_u64 s[22:23], s[10:11], s[22:23]
	v_lshl_add_u64 v[10:11], s[22:23], 2, v[2:3]
	global_load_b32 v9, v[10:11], off
	s_wait_loadcnt 0x0
	v_fma_f32 v10, -v8, v9, v6
.LBB2_36:                               ;   in Loop: Header=BB2_9 Depth=1
	s_or_b32 exec_lo, exec_lo, s24
	v_mov_b32_e32 v9, v7
	s_mov_b32 s25, 0
	s_branch .LBB2_17
.LBB2_37:                               ;   in Loop: Header=BB2_9 Depth=1
	v_div_scale_f32 v9, null, v8, v8, 1.0
	v_div_scale_f32 v12, vcc_lo, 1.0, v8, 1.0
	s_mov_b32 s25, 2
	v_rcp_f32_e32 v10, v9
	v_nop
	s_delay_alu instid0(TRANS32_DEP_1) | instskip(NEXT) | instid1(VALU_DEP_1)
	v_fma_f32 v11, -v9, v10, 1.0
	v_fmac_f32_e32 v10, v11, v10
	s_delay_alu instid0(VALU_DEP_1) | instskip(NEXT) | instid1(VALU_DEP_1)
	v_mul_f32_e32 v11, v12, v10
	v_fma_f32 v13, -v9, v11, v12
	s_delay_alu instid0(VALU_DEP_1) | instskip(NEXT) | instid1(VALU_DEP_1)
	v_fmac_f32_e32 v11, v13, v10
	v_fma_f32 v9, -v9, v11, v12
	s_delay_alu instid0(VALU_DEP_1) | instskip(SKIP_1) | instid1(VALU_DEP_2)
	v_div_fmas_f32 v9, v9, v10, v11
	v_mov_b32_e32 v10, v6
	v_div_fixup_f32 v8, v9, v8, 1.0
	s_delay_alu instid0(VALU_DEP_1)
	v_cndmask_b32_e64 v9, v7, v8, s1
	s_mov_b32 s22, -1
	s_cmp_gt_i32 s25, 3
	s_mov_b32 s23, -1
	s_cbranch_scc1 .LBB2_18
.LBB2_38:                               ;   in Loop: Header=BB2_9 Depth=1
	s_cmp_eq_u32 s25, 0
	s_cselect_b32 s23, -1, 0
	s_delay_alu instid0(SALU_CYCLE_1)
	s_and_not1_b32 vcc_lo, exec_lo, s23
	s_cbranch_vccnz .LBB2_19
.LBB2_39:                               ;   in Loop: Header=BB2_9 Depth=1
	s_add_co_i32 s29, s29, 1
	s_delay_alu instid0(SALU_CYCLE_1) | instskip(SKIP_1) | instid1(SALU_CYCLE_1)
	s_cmp_ge_i32 s29, s26
	s_cselect_b32 s22, -1, 0
	s_and_not1_b32 vcc_lo, exec_lo, s22
	s_cbranch_vccz .LBB2_42
.LBB2_40:                               ;   in Loop: Header=BB2_9 Depth=1
	v_dual_mov_b32 v6, v10 :: v_dual_mov_b32 v7, v9
	s_sub_co_i32 s22, s29, s17
	s_delay_alu instid0(SALU_CYCLE_1) | instskip(NEXT) | instid1(SALU_CYCLE_1)
	s_and_b32 s22, s22, 63
	s_cmp_lg_u32 s22, 0
	s_cbranch_scc1 .LBB2_9
	s_branch .LBB2_6
.LBB2_41:
	v_mov_b32_e32 v10, v6
.LBB2_42:
	s_and_saveexec_b32 s0, s2
	s_cbranch_execz .LBB2_44
; %bb.43:
	s_delay_alu instid0(VALU_DEP_1) | instskip(SKIP_3) | instid1(VALU_DEP_2)
	v_mul_f32_e32 v1, v9, v10
	s_cmp_eq_u32 s6, 0
	v_lshl_add_u64 v[2:3], s[20:21], 2, v[2:3]
	s_cselect_b32 vcc_lo, -1, 0
	v_cndmask_b32_e32 v1, v10, v1, vcc_lo
	global_store_b32 v[2:3], v1, off
.LBB2_44:
	s_wait_xcnt 0x0
	s_or_b32 exec_lo, exec_lo, s0
	global_wb scope:SCOPE_DEV
	s_wait_loadcnt 0x0
	s_wait_storecnt 0x0
	global_inv scope:SCOPE_DEV
	s_wait_loadcnt 0x0
	s_barrier_signal -1
	s_barrier_wait -1
	s_mov_b32 s0, exec_lo
	v_cmpx_eq_u32_e32 0, v0
	s_cbranch_execz .LBB2_46
; %bb.45:
	s_add_co_i32 s0, s16, s7
	s_delay_alu instid0(SALU_CYCLE_1)
	v_dual_mov_b32 v0, 1 :: v_dual_mov_b32 v1, s0
	global_store_b32 v1, v0, s[18:19] scale_offset scope:SCOPE_DEV
.LBB2_46:
	s_endpgm
	.section	.rodata,"a",@progbits
	.p2align	6, 0x0
	.amdhsa_kernel _ZN9rocsparseL5csrsmILj64ELj64ELb0EiifEEv20rocsparse_operation_T3_S2_NS_24const_host_device_scalarIT4_EEPKT2_PKS2_PKS4_PS4_lPiSA_PS2_21rocsparse_index_base_20rocsparse_fill_mode_20rocsparse_diag_type_b
		.amdhsa_group_segment_fixed_size 512
		.amdhsa_private_segment_fixed_size 0
		.amdhsa_kernarg_size 104
		.amdhsa_user_sgpr_count 2
		.amdhsa_user_sgpr_dispatch_ptr 0
		.amdhsa_user_sgpr_queue_ptr 0
		.amdhsa_user_sgpr_kernarg_segment_ptr 1
		.amdhsa_user_sgpr_dispatch_id 0
		.amdhsa_user_sgpr_kernarg_preload_length 0
		.amdhsa_user_sgpr_kernarg_preload_offset 0
		.amdhsa_user_sgpr_private_segment_size 0
		.amdhsa_wavefront_size32 1
		.amdhsa_uses_dynamic_stack 0
		.amdhsa_enable_private_segment 0
		.amdhsa_system_sgpr_workgroup_id_x 1
		.amdhsa_system_sgpr_workgroup_id_y 0
		.amdhsa_system_sgpr_workgroup_id_z 0
		.amdhsa_system_sgpr_workgroup_info 0
		.amdhsa_system_vgpr_workitem_id 0
		.amdhsa_next_free_vgpr 14
		.amdhsa_next_free_sgpr 30
		.amdhsa_named_barrier_count 0
		.amdhsa_reserve_vcc 1
		.amdhsa_float_round_mode_32 0
		.amdhsa_float_round_mode_16_64 0
		.amdhsa_float_denorm_mode_32 3
		.amdhsa_float_denorm_mode_16_64 3
		.amdhsa_fp16_overflow 0
		.amdhsa_memory_ordered 1
		.amdhsa_forward_progress 1
		.amdhsa_inst_pref_size 13
		.amdhsa_round_robin_scheduling 0
		.amdhsa_exception_fp_ieee_invalid_op 0
		.amdhsa_exception_fp_denorm_src 0
		.amdhsa_exception_fp_ieee_div_zero 0
		.amdhsa_exception_fp_ieee_overflow 0
		.amdhsa_exception_fp_ieee_underflow 0
		.amdhsa_exception_fp_ieee_inexact 0
		.amdhsa_exception_int_div_zero 0
	.end_amdhsa_kernel
	.section	.text._ZN9rocsparseL5csrsmILj64ELj64ELb0EiifEEv20rocsparse_operation_T3_S2_NS_24const_host_device_scalarIT4_EEPKT2_PKS2_PKS4_PS4_lPiSA_PS2_21rocsparse_index_base_20rocsparse_fill_mode_20rocsparse_diag_type_b,"axG",@progbits,_ZN9rocsparseL5csrsmILj64ELj64ELb0EiifEEv20rocsparse_operation_T3_S2_NS_24const_host_device_scalarIT4_EEPKT2_PKS2_PKS4_PS4_lPiSA_PS2_21rocsparse_index_base_20rocsparse_fill_mode_20rocsparse_diag_type_b,comdat
.Lfunc_end2:
	.size	_ZN9rocsparseL5csrsmILj64ELj64ELb0EiifEEv20rocsparse_operation_T3_S2_NS_24const_host_device_scalarIT4_EEPKT2_PKS2_PKS4_PS4_lPiSA_PS2_21rocsparse_index_base_20rocsparse_fill_mode_20rocsparse_diag_type_b, .Lfunc_end2-_ZN9rocsparseL5csrsmILj64ELj64ELb0EiifEEv20rocsparse_operation_T3_S2_NS_24const_host_device_scalarIT4_EEPKT2_PKS2_PKS4_PS4_lPiSA_PS2_21rocsparse_index_base_20rocsparse_fill_mode_20rocsparse_diag_type_b
                                        ; -- End function
	.set _ZN9rocsparseL5csrsmILj64ELj64ELb0EiifEEv20rocsparse_operation_T3_S2_NS_24const_host_device_scalarIT4_EEPKT2_PKS2_PKS4_PS4_lPiSA_PS2_21rocsparse_index_base_20rocsparse_fill_mode_20rocsparse_diag_type_b.num_vgpr, 14
	.set _ZN9rocsparseL5csrsmILj64ELj64ELb0EiifEEv20rocsparse_operation_T3_S2_NS_24const_host_device_scalarIT4_EEPKT2_PKS2_PKS4_PS4_lPiSA_PS2_21rocsparse_index_base_20rocsparse_fill_mode_20rocsparse_diag_type_b.num_agpr, 0
	.set _ZN9rocsparseL5csrsmILj64ELj64ELb0EiifEEv20rocsparse_operation_T3_S2_NS_24const_host_device_scalarIT4_EEPKT2_PKS2_PKS4_PS4_lPiSA_PS2_21rocsparse_index_base_20rocsparse_fill_mode_20rocsparse_diag_type_b.numbered_sgpr, 30
	.set _ZN9rocsparseL5csrsmILj64ELj64ELb0EiifEEv20rocsparse_operation_T3_S2_NS_24const_host_device_scalarIT4_EEPKT2_PKS2_PKS4_PS4_lPiSA_PS2_21rocsparse_index_base_20rocsparse_fill_mode_20rocsparse_diag_type_b.num_named_barrier, 0
	.set _ZN9rocsparseL5csrsmILj64ELj64ELb0EiifEEv20rocsparse_operation_T3_S2_NS_24const_host_device_scalarIT4_EEPKT2_PKS2_PKS4_PS4_lPiSA_PS2_21rocsparse_index_base_20rocsparse_fill_mode_20rocsparse_diag_type_b.private_seg_size, 0
	.set _ZN9rocsparseL5csrsmILj64ELj64ELb0EiifEEv20rocsparse_operation_T3_S2_NS_24const_host_device_scalarIT4_EEPKT2_PKS2_PKS4_PS4_lPiSA_PS2_21rocsparse_index_base_20rocsparse_fill_mode_20rocsparse_diag_type_b.uses_vcc, 1
	.set _ZN9rocsparseL5csrsmILj64ELj64ELb0EiifEEv20rocsparse_operation_T3_S2_NS_24const_host_device_scalarIT4_EEPKT2_PKS2_PKS4_PS4_lPiSA_PS2_21rocsparse_index_base_20rocsparse_fill_mode_20rocsparse_diag_type_b.uses_flat_scratch, 0
	.set _ZN9rocsparseL5csrsmILj64ELj64ELb0EiifEEv20rocsparse_operation_T3_S2_NS_24const_host_device_scalarIT4_EEPKT2_PKS2_PKS4_PS4_lPiSA_PS2_21rocsparse_index_base_20rocsparse_fill_mode_20rocsparse_diag_type_b.has_dyn_sized_stack, 0
	.set _ZN9rocsparseL5csrsmILj64ELj64ELb0EiifEEv20rocsparse_operation_T3_S2_NS_24const_host_device_scalarIT4_EEPKT2_PKS2_PKS4_PS4_lPiSA_PS2_21rocsparse_index_base_20rocsparse_fill_mode_20rocsparse_diag_type_b.has_recursion, 0
	.set _ZN9rocsparseL5csrsmILj64ELj64ELb0EiifEEv20rocsparse_operation_T3_S2_NS_24const_host_device_scalarIT4_EEPKT2_PKS2_PKS4_PS4_lPiSA_PS2_21rocsparse_index_base_20rocsparse_fill_mode_20rocsparse_diag_type_b.has_indirect_call, 0
	.section	.AMDGPU.csdata,"",@progbits
; Kernel info:
; codeLenInByte = 1604
; TotalNumSgprs: 32
; NumVgprs: 14
; ScratchSize: 0
; MemoryBound: 0
; FloatMode: 240
; IeeeMode: 1
; LDSByteSize: 512 bytes/workgroup (compile time only)
; SGPRBlocks: 0
; VGPRBlocks: 0
; NumSGPRsForWavesPerEU: 32
; NumVGPRsForWavesPerEU: 14
; NamedBarCnt: 0
; Occupancy: 16
; WaveLimiterHint : 1
; COMPUTE_PGM_RSRC2:SCRATCH_EN: 0
; COMPUTE_PGM_RSRC2:USER_SGPR: 2
; COMPUTE_PGM_RSRC2:TRAP_HANDLER: 0
; COMPUTE_PGM_RSRC2:TGID_X_EN: 1
; COMPUTE_PGM_RSRC2:TGID_Y_EN: 0
; COMPUTE_PGM_RSRC2:TGID_Z_EN: 0
; COMPUTE_PGM_RSRC2:TIDIG_COMP_CNT: 0
	.section	.text._ZN9rocsparseL5csrsmILj128ELj64ELb1EiifEEv20rocsparse_operation_T3_S2_NS_24const_host_device_scalarIT4_EEPKT2_PKS2_PKS4_PS4_lPiSA_PS2_21rocsparse_index_base_20rocsparse_fill_mode_20rocsparse_diag_type_b,"axG",@progbits,_ZN9rocsparseL5csrsmILj128ELj64ELb1EiifEEv20rocsparse_operation_T3_S2_NS_24const_host_device_scalarIT4_EEPKT2_PKS2_PKS4_PS4_lPiSA_PS2_21rocsparse_index_base_20rocsparse_fill_mode_20rocsparse_diag_type_b,comdat
	.globl	_ZN9rocsparseL5csrsmILj128ELj64ELb1EiifEEv20rocsparse_operation_T3_S2_NS_24const_host_device_scalarIT4_EEPKT2_PKS2_PKS4_PS4_lPiSA_PS2_21rocsparse_index_base_20rocsparse_fill_mode_20rocsparse_diag_type_b ; -- Begin function _ZN9rocsparseL5csrsmILj128ELj64ELb1EiifEEv20rocsparse_operation_T3_S2_NS_24const_host_device_scalarIT4_EEPKT2_PKS2_PKS4_PS4_lPiSA_PS2_21rocsparse_index_base_20rocsparse_fill_mode_20rocsparse_diag_type_b
	.p2align	8
	.type	_ZN9rocsparseL5csrsmILj128ELj64ELb1EiifEEv20rocsparse_operation_T3_S2_NS_24const_host_device_scalarIT4_EEPKT2_PKS2_PKS4_PS4_lPiSA_PS2_21rocsparse_index_base_20rocsparse_fill_mode_20rocsparse_diag_type_b,@function
_ZN9rocsparseL5csrsmILj128ELj64ELb1EiifEEv20rocsparse_operation_T3_S2_NS_24const_host_device_scalarIT4_EEPKT2_PKS2_PKS4_PS4_lPiSA_PS2_21rocsparse_index_base_20rocsparse_fill_mode_20rocsparse_diag_type_b: ; @_ZN9rocsparseL5csrsmILj128ELj64ELb1EiifEEv20rocsparse_operation_T3_S2_NS_24const_host_device_scalarIT4_EEPKT2_PKS2_PKS4_PS4_lPiSA_PS2_21rocsparse_index_base_20rocsparse_fill_mode_20rocsparse_diag_type_b
; %bb.0:
	s_clause 0x2
	s_load_b128 s[4:7], s[0:1], 0x58
	s_load_b128 s[12:15], s[0:1], 0x10
	s_load_b64 s[2:3], s[0:1], 0x48
	s_wait_kmcnt 0x0
	s_bitcmp1_b32 s7, 0
	s_cselect_b32 s7, -1, 0
	s_delay_alu instid0(SALU_CYCLE_1)
	s_and_b32 vcc_lo, exec_lo, s7
	s_cbranch_vccnz .LBB3_2
; %bb.1:
	s_load_b32 s12, s[12:13], 0x0
.LBB3_2:
	s_nop 0
	s_load_b64 s[20:21], s[0:1], 0x4
	s_bfe_u32 s9, ttmp6, 0x4000c
	s_and_b32 s8, ttmp6, 15
	s_add_co_i32 s9, s9, 1
	s_getreg_b32 s11, hwreg(HW_REG_IB_STS2, 6, 4)
	s_mul_i32 s9, ttmp9, s9
	v_mov_b32_e32 v6, 0
	s_add_co_i32 s8, s8, s9
	s_wait_kmcnt 0x0
	s_cvt_f32_u32 s7, s20
	s_sub_co_i32 s10, 0, s20
	s_delay_alu instid0(SALU_CYCLE_2) | instskip(SKIP_1) | instid1(TRANS32_DEP_1)
	v_rcp_iflag_f32_e32 v1, s7
	v_nop
	v_readfirstlane_b32 s7, v1
	s_mul_f32 s7, s7, 0x4f7ffffe
	s_delay_alu instid0(SALU_CYCLE_3) | instskip(NEXT) | instid1(SALU_CYCLE_3)
	s_cvt_u32_f32 s7, s7
	s_mul_i32 s10, s10, s7
	s_delay_alu instid0(SALU_CYCLE_1) | instskip(NEXT) | instid1(SALU_CYCLE_1)
	s_mul_hi_u32 s10, s7, s10
	s_add_co_i32 s7, s7, s10
	s_cmp_eq_u32 s11, 0
	s_cselect_b32 s8, ttmp9, s8
	s_delay_alu instid0(SALU_CYCLE_1) | instskip(NEXT) | instid1(SALU_CYCLE_1)
	s_mul_hi_u32 s7, s8, s7
	s_mul_i32 s9, s7, s20
	s_add_co_i32 s10, s7, 1
	s_sub_co_i32 s9, s8, s9
	s_delay_alu instid0(SALU_CYCLE_1)
	s_sub_co_i32 s11, s9, s20
	s_cmp_ge_u32 s9, s20
	s_cselect_b32 s7, s10, s7
	s_cselect_b32 s9, s11, s9
	s_add_co_i32 s10, s7, 1
	s_cmp_ge_u32 s9, s20
	s_cselect_b32 s13, s10, s7
	s_delay_alu instid0(SALU_CYCLE_1) | instskip(SKIP_2) | instid1(SALU_CYCLE_1)
	s_mul_i32 s7, s13, s20
	v_lshl_or_b32 v2, s13, 7, v0
	s_sub_co_i32 s8, s8, s7
	s_ashr_i32 s9, s8, 31
	s_delay_alu instid0(VALU_DEP_1) | instskip(SKIP_1) | instid1(SALU_CYCLE_1)
	v_ashrrev_i32_e32 v3, 31, v2
	s_lshl_b64 s[8:9], s[8:9], 2
	s_add_nc_u64 s[2:3], s[2:3], s[8:9]
	s_load_b128 s[8:11], s[0:1], 0x30
	s_load_b32 s16, s[2:3], 0x0
	s_wait_kmcnt 0x0
	s_ashr_i32 s17, s16, 31
	s_delay_alu instid0(SALU_CYCLE_1) | instskip(NEXT) | instid1(SALU_CYCLE_1)
	s_lshl_b64 s[2:3], s[16:17], 2
	s_add_nc_u64 s[2:3], s[14:15], s[2:3]
	s_load_b64 s[18:19], s[0:1], 0x40
	s_load_b64 s[22:23], s[2:3], 0x0
	s_wait_xcnt 0x0
	v_cmp_gt_i32_e64 s2, s21, v2
	s_mul_u64 s[20:21], s[10:11], s[16:17]
	s_and_saveexec_b32 s3, s2
	s_cbranch_execz .LBB3_4
; %bb.3:
	v_add_nc_u64_e32 v[4:5], s[20:21], v[2:3]
	s_delay_alu instid0(VALU_DEP_1)
	v_lshl_add_u64 v[4:5], v[4:5], 2, s[8:9]
	global_load_b32 v1, v[4:5], off
	s_wait_loadcnt 0x0
	v_mul_f32_e32 v6, s12, v1
.LBB3_4:
	s_or_b32 exec_lo, exec_lo, s3
	v_lshl_add_u64 v[2:3], v[2:3], 2, s[8:9]
	v_mov_b32_e32 v9, 1.0
	v_cmp_eq_u32_e64 s3, 0, v0
	s_wait_kmcnt 0x0
	s_cmp_ge_i32 s22, s23
	s_cbranch_scc1 .LBB3_43
; %bb.5:
	s_clause 0x1
	s_load_b64 s[8:9], s[0:1], 0x50
	s_load_b128 s[12:15], s[0:1], 0x20
	v_dual_lshlrev_b32 v1, 2, v0 :: v_dual_mov_b32 v7, 1.0
	s_sub_co_i32 s17, s22, s4
	s_sub_co_i32 s26, s23, s4
	s_cmp_lg_u32 s6, 0
	s_delay_alu instid0(VALU_DEP_1)
	v_or_b32_e32 v4, 0x200, v1
	s_cselect_b32 s27, -1, 0
	s_wait_xcnt 0x0
	v_cmp_ne_u32_e64 s0, 0, v0
	s_add_co_i32 s28, s16, s4
	v_mov_b32_e32 v5, 0
	s_cmp_eq_u32 s6, 0
	s_mov_b32 s29, s17
	s_cselect_b32 s1, -1, 0
	s_sub_co_i32 s22, s29, s17
	s_delay_alu instid0(SALU_CYCLE_1) | instskip(NEXT) | instid1(SALU_CYCLE_1)
	s_and_b32 s22, s22, 0x7f
	s_cmp_lg_u32 s22, 0
	s_cbranch_scc1 .LBB3_9
.LBB3_6:
	s_sub_co_i32 s23, s26, s29
	v_dual_mov_b32 v8, -1.0 :: v_dual_mov_b32 v9, -1
	v_cmp_gt_u32_e32 vcc_lo, s23, v0
	s_and_saveexec_b32 s23, vcc_lo
	s_cbranch_execz .LBB3_8
; %bb.7:
	v_add_nc_u32_e32 v9, s29, v0
	s_wait_kmcnt 0x0
	s_clause 0x1
	global_load_b32 v10, v9, s[12:13] scale_offset
	global_load_b32 v8, v9, s[14:15] scale_offset
	s_wait_loadcnt 0x1
	s_wait_xcnt 0x0
	v_subrev_nc_u32_e32 v9, s4, v10
.LBB3_8:
	s_or_b32 exec_lo, exec_lo, s23
	ds_store_b32 v1, v9
	s_wait_loadcnt 0x0
	ds_store_b32 v4, v8
.LBB3_9:                                ; =>This Loop Header: Depth=1
                                        ;     Child Loop BB3_41 Depth 2
                                        ;       Child Loop BB3_42 Depth 3
	s_lshl_b32 s22, s22, 2
	s_wait_dscnt 0x0
	v_mov_b32_e32 v8, s22
	s_barrier_signal -1
	s_barrier_wait -1
	ds_load_2addr_stride64_b32 v[8:9], v8 offset1:2
	s_wait_dscnt 0x0
	v_readfirstlane_b32 s22, v8
	v_cmp_neq_f32_e32 vcc_lo, 0, v9
	s_cmp_lg_u32 s22, s16
	s_cselect_b32 s23, -1, 0
	s_delay_alu instid0(SALU_CYCLE_1) | instskip(NEXT) | instid1(SALU_CYCLE_1)
	s_or_b32 s23, s27, s23
	s_or_b32 vcc_lo, vcc_lo, s23
	v_cndmask_b32_e32 v8, 1.0, v9, vcc_lo
	s_nor_b32 s24, s0, vcc_lo
	s_delay_alu instid0(SALU_CYCLE_1)
	s_and_saveexec_b32 s23, s24
	s_cbranch_execz .LBB3_13
; %bb.10:                               ;   in Loop: Header=BB3_9 Depth=1
	v_mbcnt_lo_u32_b32 v8, exec_lo, 0
	s_mov_b32 s24, exec_lo
	s_delay_alu instid0(VALU_DEP_1)
	v_cmpx_eq_u32_e32 0, v8
	s_cbranch_execz .LBB3_12
; %bb.11:                               ;   in Loop: Header=BB3_9 Depth=1
	v_mov_b32_e32 v8, s28
	s_wait_kmcnt 0x0
	global_atomic_min_i32 v5, v8, s[8:9] scope:SCOPE_DEV
.LBB3_12:                               ;   in Loop: Header=BB3_9 Depth=1
	s_wait_xcnt 0x0
	s_or_b32 exec_lo, exec_lo, s24
	v_mov_b32_e32 v8, 1.0
.LBB3_13:                               ;   in Loop: Header=BB3_9 Depth=1
	s_or_b32 exec_lo, exec_lo, s23
	s_mov_b32 s25, -1
	s_mov_b32 s23, 0
	s_cmp_lt_i32 s5, 1
	s_mov_b32 s24, 0
                                        ; implicit-def: $vgpr9
	s_cbranch_scc0 .LBB3_20
; %bb.14:                               ;   in Loop: Header=BB3_9 Depth=1
	s_and_b32 vcc_lo, exec_lo, s25
	s_mov_b32 s25, 4
	s_cbranch_vccnz .LBB3_25
.LBB3_15:                               ;   in Loop: Header=BB3_9 Depth=1
	v_mov_b32_e32 v10, v6
	s_and_b32 vcc_lo, exec_lo, s24
	s_cbranch_vccnz .LBB3_30
.LBB3_16:                               ;   in Loop: Header=BB3_9 Depth=1
	s_and_b32 vcc_lo, exec_lo, s23
	s_cbranch_vccnz .LBB3_35
.LBB3_17:                               ;   in Loop: Header=BB3_9 Depth=1
	s_mov_b32 s22, -1
	s_cmp_gt_i32 s25, 3
	s_mov_b32 s23, -1
	s_cbranch_scc0 .LBB3_36
.LBB3_18:                               ;   in Loop: Header=BB3_9 Depth=1
	s_and_not1_b32 vcc_lo, exec_lo, s23
	s_cbranch_vccz .LBB3_37
.LBB3_19:                               ;   in Loop: Header=BB3_9 Depth=1
	s_and_not1_b32 vcc_lo, exec_lo, s22
	s_cbranch_vccnz .LBB3_38
	s_branch .LBB3_44
.LBB3_20:                               ;   in Loop: Header=BB3_9 Depth=1
	s_cmp_eq_u32 s5, 1
	s_mov_b32 s24, -1
                                        ; implicit-def: $vgpr9
	s_cbranch_scc0 .LBB3_24
; %bb.21:                               ;   in Loop: Header=BB3_9 Depth=1
	v_mov_b32_e32 v9, v7
	s_cmp_ge_i32 s22, s16
	s_mov_b32 s24, 0
	s_cbranch_scc0 .LBB3_24
; %bb.22:                               ;   in Loop: Header=BB3_9 Depth=1
	s_cmp_eq_u32 s22, s16
	s_mov_b32 s24, -1
                                        ; implicit-def: $vgpr9
	s_cbranch_scc0 .LBB3_24
; %bb.23:                               ;   in Loop: Header=BB3_9 Depth=1
	v_div_scale_f32 v9, null, v8, v8, 1.0
	s_mov_b32 s24, 0
	v_rcp_f32_e32 v10, v9
	v_nop
	s_delay_alu instid0(TRANS32_DEP_1) | instskip(NEXT) | instid1(VALU_DEP_1)
	v_fma_f32 v11, -v9, v10, 1.0
	v_fmac_f32_e32 v10, v11, v10
	v_div_scale_f32 v11, vcc_lo, 1.0, v8, 1.0
	s_delay_alu instid0(VALU_DEP_1) | instskip(NEXT) | instid1(VALU_DEP_1)
	v_mul_f32_e32 v12, v11, v10
	v_fma_f32 v13, -v9, v12, v11
	s_delay_alu instid0(VALU_DEP_1) | instskip(NEXT) | instid1(VALU_DEP_1)
	v_fmac_f32_e32 v12, v13, v10
	v_fma_f32 v9, -v9, v12, v11
	s_delay_alu instid0(VALU_DEP_1) | instskip(NEXT) | instid1(VALU_DEP_1)
	v_div_fmas_f32 v9, v9, v10, v12
	v_div_fixup_f32 v9, v9, v8, 1.0
	s_delay_alu instid0(VALU_DEP_1)
	v_cndmask_b32_e64 v9, v7, v9, s1
.LBB3_24:                               ;   in Loop: Header=BB3_9 Depth=1
	s_mov_b32 s25, 4
	s_branch .LBB3_15
.LBB3_25:                               ;   in Loop: Header=BB3_9 Depth=1
	s_cmp_eq_u32 s5, 0
	s_cbranch_scc1 .LBB3_27
; %bb.26:                               ;   in Loop: Header=BB3_9 Depth=1
	s_mov_b32 s24, -1
	s_branch .LBB3_29
.LBB3_27:                               ;   in Loop: Header=BB3_9 Depth=1
	s_cmp_le_i32 s22, s16
	s_mov_b32 s24, 0
	s_cbranch_scc0 .LBB3_29
; %bb.28:                               ;   in Loop: Header=BB3_9 Depth=1
	s_cmp_lg_u32 s22, s16
	s_mov_b32 s23, -1
	s_cselect_b32 s24, -1, 0
.LBB3_29:                               ;   in Loop: Header=BB3_9 Depth=1
	v_mov_b32_e32 v9, v7
	s_mov_b32 s25, 2
	v_mov_b32_e32 v10, v6
	s_and_b32 vcc_lo, exec_lo, s24
	s_cbranch_vccz .LBB3_16
.LBB3_30:                               ;   in Loop: Header=BB3_9 Depth=1
	s_and_saveexec_b32 s23, s3
	s_cbranch_execz .LBB3_32
; %bb.31:                               ;   in Loop: Header=BB3_9 Depth=1
	s_add_co_i32 s24, s22, s7
	s_delay_alu instid0(SALU_CYCLE_1)
	v_mov_b32_e32 v9, s24
	global_load_b32 v9, v9, s[18:19] scale_offset scope:SCOPE_DEV
	s_wait_loadcnt 0x0
	v_cmp_ne_u32_e32 vcc_lo, 0, v9
	s_cbranch_vccz .LBB3_39
.LBB3_32:                               ;   in Loop: Header=BB3_9 Depth=1
	s_wait_xcnt 0x0
	s_or_b32 exec_lo, exec_lo, s23
	v_mov_b32_e32 v10, 0
	s_wait_storecnt 0x0
	s_barrier_signal -1
	s_barrier_wait -1
	global_inv scope:SCOPE_DEV
	s_and_saveexec_b32 s24, s2
	s_cbranch_execz .LBB3_34
; %bb.33:                               ;   in Loop: Header=BB3_9 Depth=1
	s_ashr_i32 s23, s22, 31
	s_delay_alu instid0(SALU_CYCLE_1) | instskip(NEXT) | instid1(SALU_CYCLE_1)
	s_mul_u64 s[22:23], s[10:11], s[22:23]
	v_lshl_add_u64 v[10:11], s[22:23], 2, v[2:3]
	global_load_b32 v9, v[10:11], off
	s_wait_loadcnt 0x0
	v_fma_f32 v10, -v8, v9, v6
.LBB3_34:                               ;   in Loop: Header=BB3_9 Depth=1
	s_or_b32 exec_lo, exec_lo, s24
	v_mov_b32_e32 v9, v7
	s_mov_b32 s25, 0
	s_branch .LBB3_17
.LBB3_35:                               ;   in Loop: Header=BB3_9 Depth=1
	v_div_scale_f32 v9, null, v8, v8, 1.0
	v_div_scale_f32 v12, vcc_lo, 1.0, v8, 1.0
	s_mov_b32 s25, 2
	v_rcp_f32_e32 v10, v9
	v_nop
	s_delay_alu instid0(TRANS32_DEP_1) | instskip(NEXT) | instid1(VALU_DEP_1)
	v_fma_f32 v11, -v9, v10, 1.0
	v_fmac_f32_e32 v10, v11, v10
	s_delay_alu instid0(VALU_DEP_1) | instskip(NEXT) | instid1(VALU_DEP_1)
	v_mul_f32_e32 v11, v12, v10
	v_fma_f32 v13, -v9, v11, v12
	s_delay_alu instid0(VALU_DEP_1) | instskip(NEXT) | instid1(VALU_DEP_1)
	v_fmac_f32_e32 v11, v13, v10
	v_fma_f32 v9, -v9, v11, v12
	s_delay_alu instid0(VALU_DEP_1) | instskip(SKIP_1) | instid1(VALU_DEP_2)
	v_div_fmas_f32 v9, v9, v10, v11
	v_mov_b32_e32 v10, v6
	v_div_fixup_f32 v8, v9, v8, 1.0
	s_delay_alu instid0(VALU_DEP_1)
	v_cndmask_b32_e64 v9, v7, v8, s1
	s_mov_b32 s22, -1
	s_cmp_gt_i32 s25, 3
	s_mov_b32 s23, -1
	s_cbranch_scc1 .LBB3_18
.LBB3_36:                               ;   in Loop: Header=BB3_9 Depth=1
	s_cmp_eq_u32 s25, 0
	s_cselect_b32 s23, -1, 0
	s_delay_alu instid0(SALU_CYCLE_1)
	s_and_not1_b32 vcc_lo, exec_lo, s23
	s_cbranch_vccnz .LBB3_19
.LBB3_37:                               ;   in Loop: Header=BB3_9 Depth=1
	s_add_co_i32 s29, s29, 1
	s_delay_alu instid0(SALU_CYCLE_1) | instskip(SKIP_1) | instid1(SALU_CYCLE_1)
	s_cmp_ge_i32 s29, s26
	s_cselect_b32 s22, -1, 0
	s_and_not1_b32 vcc_lo, exec_lo, s22
	s_cbranch_vccz .LBB3_44
.LBB3_38:                               ;   in Loop: Header=BB3_9 Depth=1
	v_dual_mov_b32 v6, v10 :: v_dual_mov_b32 v7, v9
	s_sub_co_i32 s22, s29, s17
	s_delay_alu instid0(SALU_CYCLE_1) | instskip(NEXT) | instid1(SALU_CYCLE_1)
	s_and_b32 s22, s22, 0x7f
	s_cmp_lg_u32 s22, 0
	s_cbranch_scc1 .LBB3_9
	s_branch .LBB3_6
.LBB3_39:                               ;   in Loop: Header=BB3_9 Depth=1
	s_ashr_i32 s25, s24, 31
	s_mov_b32 s30, 0
	s_lshl_b64 s[24:25], s[24:25], 2
	s_delay_alu instid0(SALU_CYCLE_1)
	s_add_nc_u64 s[24:25], s[18:19], s[24:25]
	s_branch .LBB3_41
.LBB3_40:                               ;   in Loop: Header=BB3_41 Depth=2
	global_load_b32 v9, v5, s[24:25] scope:SCOPE_DEV
	s_cmp_lt_u32 s30, 0xf43
	s_cselect_b32 s31, -1, 0
	s_delay_alu instid0(SALU_CYCLE_1)
	s_cmp_lg_u32 s31, 0
	s_add_co_ci_u32 s30, s30, 0
	s_wait_loadcnt 0x0
	v_cmp_ne_u32_e32 vcc_lo, 0, v9
	s_cbranch_vccnz .LBB3_32
.LBB3_41:                               ;   Parent Loop BB3_9 Depth=1
                                        ; =>  This Loop Header: Depth=2
                                        ;       Child Loop BB3_42 Depth 3
	s_cmp_eq_u32 s30, 0
	s_mov_b32 s31, s30
	s_cbranch_scc1 .LBB3_40
.LBB3_42:                               ;   Parent Loop BB3_9 Depth=1
                                        ;     Parent Loop BB3_41 Depth=2
                                        ; =>    This Inner Loop Header: Depth=3
	s_add_co_i32 s31, s31, -1
	s_sleep 1
	s_cmp_eq_u32 s31, 0
	s_cbranch_scc0 .LBB3_42
	s_branch .LBB3_40
.LBB3_43:
	v_mov_b32_e32 v10, v6
.LBB3_44:
	s_and_saveexec_b32 s0, s2
	s_cbranch_execz .LBB3_46
; %bb.45:
	s_delay_alu instid0(VALU_DEP_1) | instskip(SKIP_3) | instid1(VALU_DEP_2)
	v_mul_f32_e32 v1, v9, v10
	s_cmp_eq_u32 s6, 0
	v_lshl_add_u64 v[2:3], s[20:21], 2, v[2:3]
	s_cselect_b32 vcc_lo, -1, 0
	v_cndmask_b32_e32 v1, v10, v1, vcc_lo
	global_store_b32 v[2:3], v1, off
.LBB3_46:
	s_wait_xcnt 0x0
	s_or_b32 exec_lo, exec_lo, s0
	global_wb scope:SCOPE_DEV
	s_wait_loadcnt 0x0
	s_wait_storecnt 0x0
	global_inv scope:SCOPE_DEV
	s_wait_loadcnt 0x0
	s_barrier_signal -1
	s_barrier_wait -1
	s_mov_b32 s0, exec_lo
	v_cmpx_eq_u32_e32 0, v0
	s_cbranch_execz .LBB3_48
; %bb.47:
	s_add_co_i32 s0, s16, s7
	s_delay_alu instid0(SALU_CYCLE_1)
	v_dual_mov_b32 v0, 1 :: v_dual_mov_b32 v1, s0
	global_store_b32 v1, v0, s[18:19] scale_offset scope:SCOPE_DEV
.LBB3_48:
	s_endpgm
	.section	.rodata,"a",@progbits
	.p2align	6, 0x0
	.amdhsa_kernel _ZN9rocsparseL5csrsmILj128ELj64ELb1EiifEEv20rocsparse_operation_T3_S2_NS_24const_host_device_scalarIT4_EEPKT2_PKS2_PKS4_PS4_lPiSA_PS2_21rocsparse_index_base_20rocsparse_fill_mode_20rocsparse_diag_type_b
		.amdhsa_group_segment_fixed_size 1024
		.amdhsa_private_segment_fixed_size 0
		.amdhsa_kernarg_size 104
		.amdhsa_user_sgpr_count 2
		.amdhsa_user_sgpr_dispatch_ptr 0
		.amdhsa_user_sgpr_queue_ptr 0
		.amdhsa_user_sgpr_kernarg_segment_ptr 1
		.amdhsa_user_sgpr_dispatch_id 0
		.amdhsa_user_sgpr_kernarg_preload_length 0
		.amdhsa_user_sgpr_kernarg_preload_offset 0
		.amdhsa_user_sgpr_private_segment_size 0
		.amdhsa_wavefront_size32 1
		.amdhsa_uses_dynamic_stack 0
		.amdhsa_enable_private_segment 0
		.amdhsa_system_sgpr_workgroup_id_x 1
		.amdhsa_system_sgpr_workgroup_id_y 0
		.amdhsa_system_sgpr_workgroup_id_z 0
		.amdhsa_system_sgpr_workgroup_info 0
		.amdhsa_system_vgpr_workitem_id 0
		.amdhsa_next_free_vgpr 14
		.amdhsa_next_free_sgpr 32
		.amdhsa_named_barrier_count 0
		.amdhsa_reserve_vcc 1
		.amdhsa_float_round_mode_32 0
		.amdhsa_float_round_mode_16_64 0
		.amdhsa_float_denorm_mode_32 3
		.amdhsa_float_denorm_mode_16_64 3
		.amdhsa_fp16_overflow 0
		.amdhsa_memory_ordered 1
		.amdhsa_forward_progress 1
		.amdhsa_inst_pref_size 14
		.amdhsa_round_robin_scheduling 0
		.amdhsa_exception_fp_ieee_invalid_op 0
		.amdhsa_exception_fp_denorm_src 0
		.amdhsa_exception_fp_ieee_div_zero 0
		.amdhsa_exception_fp_ieee_overflow 0
		.amdhsa_exception_fp_ieee_underflow 0
		.amdhsa_exception_fp_ieee_inexact 0
		.amdhsa_exception_int_div_zero 0
	.end_amdhsa_kernel
	.section	.text._ZN9rocsparseL5csrsmILj128ELj64ELb1EiifEEv20rocsparse_operation_T3_S2_NS_24const_host_device_scalarIT4_EEPKT2_PKS2_PKS4_PS4_lPiSA_PS2_21rocsparse_index_base_20rocsparse_fill_mode_20rocsparse_diag_type_b,"axG",@progbits,_ZN9rocsparseL5csrsmILj128ELj64ELb1EiifEEv20rocsparse_operation_T3_S2_NS_24const_host_device_scalarIT4_EEPKT2_PKS2_PKS4_PS4_lPiSA_PS2_21rocsparse_index_base_20rocsparse_fill_mode_20rocsparse_diag_type_b,comdat
.Lfunc_end3:
	.size	_ZN9rocsparseL5csrsmILj128ELj64ELb1EiifEEv20rocsparse_operation_T3_S2_NS_24const_host_device_scalarIT4_EEPKT2_PKS2_PKS4_PS4_lPiSA_PS2_21rocsparse_index_base_20rocsparse_fill_mode_20rocsparse_diag_type_b, .Lfunc_end3-_ZN9rocsparseL5csrsmILj128ELj64ELb1EiifEEv20rocsparse_operation_T3_S2_NS_24const_host_device_scalarIT4_EEPKT2_PKS2_PKS4_PS4_lPiSA_PS2_21rocsparse_index_base_20rocsparse_fill_mode_20rocsparse_diag_type_b
                                        ; -- End function
	.set _ZN9rocsparseL5csrsmILj128ELj64ELb1EiifEEv20rocsparse_operation_T3_S2_NS_24const_host_device_scalarIT4_EEPKT2_PKS2_PKS4_PS4_lPiSA_PS2_21rocsparse_index_base_20rocsparse_fill_mode_20rocsparse_diag_type_b.num_vgpr, 14
	.set _ZN9rocsparseL5csrsmILj128ELj64ELb1EiifEEv20rocsparse_operation_T3_S2_NS_24const_host_device_scalarIT4_EEPKT2_PKS2_PKS4_PS4_lPiSA_PS2_21rocsparse_index_base_20rocsparse_fill_mode_20rocsparse_diag_type_b.num_agpr, 0
	.set _ZN9rocsparseL5csrsmILj128ELj64ELb1EiifEEv20rocsparse_operation_T3_S2_NS_24const_host_device_scalarIT4_EEPKT2_PKS2_PKS4_PS4_lPiSA_PS2_21rocsparse_index_base_20rocsparse_fill_mode_20rocsparse_diag_type_b.numbered_sgpr, 32
	.set _ZN9rocsparseL5csrsmILj128ELj64ELb1EiifEEv20rocsparse_operation_T3_S2_NS_24const_host_device_scalarIT4_EEPKT2_PKS2_PKS4_PS4_lPiSA_PS2_21rocsparse_index_base_20rocsparse_fill_mode_20rocsparse_diag_type_b.num_named_barrier, 0
	.set _ZN9rocsparseL5csrsmILj128ELj64ELb1EiifEEv20rocsparse_operation_T3_S2_NS_24const_host_device_scalarIT4_EEPKT2_PKS2_PKS4_PS4_lPiSA_PS2_21rocsparse_index_base_20rocsparse_fill_mode_20rocsparse_diag_type_b.private_seg_size, 0
	.set _ZN9rocsparseL5csrsmILj128ELj64ELb1EiifEEv20rocsparse_operation_T3_S2_NS_24const_host_device_scalarIT4_EEPKT2_PKS2_PKS4_PS4_lPiSA_PS2_21rocsparse_index_base_20rocsparse_fill_mode_20rocsparse_diag_type_b.uses_vcc, 1
	.set _ZN9rocsparseL5csrsmILj128ELj64ELb1EiifEEv20rocsparse_operation_T3_S2_NS_24const_host_device_scalarIT4_EEPKT2_PKS2_PKS4_PS4_lPiSA_PS2_21rocsparse_index_base_20rocsparse_fill_mode_20rocsparse_diag_type_b.uses_flat_scratch, 0
	.set _ZN9rocsparseL5csrsmILj128ELj64ELb1EiifEEv20rocsparse_operation_T3_S2_NS_24const_host_device_scalarIT4_EEPKT2_PKS2_PKS4_PS4_lPiSA_PS2_21rocsparse_index_base_20rocsparse_fill_mode_20rocsparse_diag_type_b.has_dyn_sized_stack, 0
	.set _ZN9rocsparseL5csrsmILj128ELj64ELb1EiifEEv20rocsparse_operation_T3_S2_NS_24const_host_device_scalarIT4_EEPKT2_PKS2_PKS4_PS4_lPiSA_PS2_21rocsparse_index_base_20rocsparse_fill_mode_20rocsparse_diag_type_b.has_recursion, 0
	.set _ZN9rocsparseL5csrsmILj128ELj64ELb1EiifEEv20rocsparse_operation_T3_S2_NS_24const_host_device_scalarIT4_EEPKT2_PKS2_PKS4_PS4_lPiSA_PS2_21rocsparse_index_base_20rocsparse_fill_mode_20rocsparse_diag_type_b.has_indirect_call, 0
	.section	.AMDGPU.csdata,"",@progbits
; Kernel info:
; codeLenInByte = 1676
; TotalNumSgprs: 34
; NumVgprs: 14
; ScratchSize: 0
; MemoryBound: 0
; FloatMode: 240
; IeeeMode: 1
; LDSByteSize: 1024 bytes/workgroup (compile time only)
; SGPRBlocks: 0
; VGPRBlocks: 0
; NumSGPRsForWavesPerEU: 34
; NumVGPRsForWavesPerEU: 14
; NamedBarCnt: 0
; Occupancy: 16
; WaveLimiterHint : 1
; COMPUTE_PGM_RSRC2:SCRATCH_EN: 0
; COMPUTE_PGM_RSRC2:USER_SGPR: 2
; COMPUTE_PGM_RSRC2:TRAP_HANDLER: 0
; COMPUTE_PGM_RSRC2:TGID_X_EN: 1
; COMPUTE_PGM_RSRC2:TGID_Y_EN: 0
; COMPUTE_PGM_RSRC2:TGID_Z_EN: 0
; COMPUTE_PGM_RSRC2:TIDIG_COMP_CNT: 0
	.section	.text._ZN9rocsparseL5csrsmILj128ELj64ELb0EiifEEv20rocsparse_operation_T3_S2_NS_24const_host_device_scalarIT4_EEPKT2_PKS2_PKS4_PS4_lPiSA_PS2_21rocsparse_index_base_20rocsparse_fill_mode_20rocsparse_diag_type_b,"axG",@progbits,_ZN9rocsparseL5csrsmILj128ELj64ELb0EiifEEv20rocsparse_operation_T3_S2_NS_24const_host_device_scalarIT4_EEPKT2_PKS2_PKS4_PS4_lPiSA_PS2_21rocsparse_index_base_20rocsparse_fill_mode_20rocsparse_diag_type_b,comdat
	.globl	_ZN9rocsparseL5csrsmILj128ELj64ELb0EiifEEv20rocsparse_operation_T3_S2_NS_24const_host_device_scalarIT4_EEPKT2_PKS2_PKS4_PS4_lPiSA_PS2_21rocsparse_index_base_20rocsparse_fill_mode_20rocsparse_diag_type_b ; -- Begin function _ZN9rocsparseL5csrsmILj128ELj64ELb0EiifEEv20rocsparse_operation_T3_S2_NS_24const_host_device_scalarIT4_EEPKT2_PKS2_PKS4_PS4_lPiSA_PS2_21rocsparse_index_base_20rocsparse_fill_mode_20rocsparse_diag_type_b
	.p2align	8
	.type	_ZN9rocsparseL5csrsmILj128ELj64ELb0EiifEEv20rocsparse_operation_T3_S2_NS_24const_host_device_scalarIT4_EEPKT2_PKS2_PKS4_PS4_lPiSA_PS2_21rocsparse_index_base_20rocsparse_fill_mode_20rocsparse_diag_type_b,@function
_ZN9rocsparseL5csrsmILj128ELj64ELb0EiifEEv20rocsparse_operation_T3_S2_NS_24const_host_device_scalarIT4_EEPKT2_PKS2_PKS4_PS4_lPiSA_PS2_21rocsparse_index_base_20rocsparse_fill_mode_20rocsparse_diag_type_b: ; @_ZN9rocsparseL5csrsmILj128ELj64ELb0EiifEEv20rocsparse_operation_T3_S2_NS_24const_host_device_scalarIT4_EEPKT2_PKS2_PKS4_PS4_lPiSA_PS2_21rocsparse_index_base_20rocsparse_fill_mode_20rocsparse_diag_type_b
; %bb.0:
	s_clause 0x2
	s_load_b128 s[4:7], s[0:1], 0x58
	s_load_b128 s[12:15], s[0:1], 0x10
	s_load_b64 s[2:3], s[0:1], 0x48
	s_wait_kmcnt 0x0
	s_bitcmp1_b32 s7, 0
	s_cselect_b32 s7, -1, 0
	s_delay_alu instid0(SALU_CYCLE_1)
	s_and_b32 vcc_lo, exec_lo, s7
	s_cbranch_vccnz .LBB4_2
; %bb.1:
	s_load_b32 s12, s[12:13], 0x0
.LBB4_2:
	s_nop 0
	s_load_b64 s[20:21], s[0:1], 0x4
	s_bfe_u32 s9, ttmp6, 0x4000c
	s_and_b32 s8, ttmp6, 15
	s_add_co_i32 s9, s9, 1
	s_getreg_b32 s11, hwreg(HW_REG_IB_STS2, 6, 4)
	s_mul_i32 s9, ttmp9, s9
	v_mov_b32_e32 v6, 0
	s_add_co_i32 s8, s8, s9
	s_wait_kmcnt 0x0
	s_cvt_f32_u32 s7, s20
	s_sub_co_i32 s10, 0, s20
	s_delay_alu instid0(SALU_CYCLE_2) | instskip(SKIP_1) | instid1(TRANS32_DEP_1)
	v_rcp_iflag_f32_e32 v1, s7
	v_nop
	v_readfirstlane_b32 s7, v1
	s_mul_f32 s7, s7, 0x4f7ffffe
	s_delay_alu instid0(SALU_CYCLE_3) | instskip(NEXT) | instid1(SALU_CYCLE_3)
	s_cvt_u32_f32 s7, s7
	s_mul_i32 s10, s10, s7
	s_delay_alu instid0(SALU_CYCLE_1) | instskip(NEXT) | instid1(SALU_CYCLE_1)
	s_mul_hi_u32 s10, s7, s10
	s_add_co_i32 s7, s7, s10
	s_cmp_eq_u32 s11, 0
	s_cselect_b32 s8, ttmp9, s8
	s_delay_alu instid0(SALU_CYCLE_1) | instskip(NEXT) | instid1(SALU_CYCLE_1)
	s_mul_hi_u32 s7, s8, s7
	s_mul_i32 s9, s7, s20
	s_add_co_i32 s10, s7, 1
	s_sub_co_i32 s9, s8, s9
	s_delay_alu instid0(SALU_CYCLE_1)
	s_sub_co_i32 s11, s9, s20
	s_cmp_ge_u32 s9, s20
	s_cselect_b32 s7, s10, s7
	s_cselect_b32 s9, s11, s9
	s_add_co_i32 s10, s7, 1
	s_cmp_ge_u32 s9, s20
	s_cselect_b32 s13, s10, s7
	s_delay_alu instid0(SALU_CYCLE_1) | instskip(SKIP_2) | instid1(SALU_CYCLE_1)
	s_mul_i32 s7, s13, s20
	v_lshl_or_b32 v2, s13, 7, v0
	s_sub_co_i32 s8, s8, s7
	s_ashr_i32 s9, s8, 31
	s_delay_alu instid0(VALU_DEP_1) | instskip(SKIP_1) | instid1(SALU_CYCLE_1)
	v_ashrrev_i32_e32 v3, 31, v2
	s_lshl_b64 s[8:9], s[8:9], 2
	s_add_nc_u64 s[2:3], s[2:3], s[8:9]
	s_load_b128 s[8:11], s[0:1], 0x30
	s_load_b32 s16, s[2:3], 0x0
	s_wait_kmcnt 0x0
	s_ashr_i32 s17, s16, 31
	s_delay_alu instid0(SALU_CYCLE_1) | instskip(NEXT) | instid1(SALU_CYCLE_1)
	s_lshl_b64 s[2:3], s[16:17], 2
	s_add_nc_u64 s[2:3], s[14:15], s[2:3]
	s_load_b64 s[18:19], s[0:1], 0x40
	s_load_b64 s[22:23], s[2:3], 0x0
	s_wait_xcnt 0x0
	v_cmp_gt_i32_e64 s2, s21, v2
	s_mul_u64 s[20:21], s[10:11], s[16:17]
	s_and_saveexec_b32 s3, s2
	s_cbranch_execz .LBB4_4
; %bb.3:
	v_add_nc_u64_e32 v[4:5], s[20:21], v[2:3]
	s_delay_alu instid0(VALU_DEP_1)
	v_lshl_add_u64 v[4:5], v[4:5], 2, s[8:9]
	global_load_b32 v1, v[4:5], off
	s_wait_loadcnt 0x0
	v_mul_f32_e32 v6, s12, v1
.LBB4_4:
	s_or_b32 exec_lo, exec_lo, s3
	v_lshl_add_u64 v[2:3], v[2:3], 2, s[8:9]
	v_mov_b32_e32 v9, 1.0
	v_cmp_eq_u32_e64 s3, 0, v0
	s_wait_kmcnt 0x0
	s_cmp_ge_i32 s22, s23
	s_cbranch_scc1 .LBB4_41
; %bb.5:
	s_clause 0x1
	s_load_b64 s[8:9], s[0:1], 0x50
	s_load_b128 s[12:15], s[0:1], 0x20
	v_dual_lshlrev_b32 v1, 2, v0 :: v_dual_mov_b32 v7, 1.0
	s_sub_co_i32 s17, s22, s4
	s_sub_co_i32 s26, s23, s4
	s_cmp_lg_u32 s6, 0
	s_delay_alu instid0(VALU_DEP_1)
	v_or_b32_e32 v4, 0x200, v1
	s_cselect_b32 s27, -1, 0
	s_wait_xcnt 0x0
	v_cmp_ne_u32_e64 s0, 0, v0
	s_add_co_i32 s28, s16, s4
	v_mov_b32_e32 v5, 0
	s_cmp_eq_u32 s6, 0
	s_mov_b32 s29, s17
	s_cselect_b32 s1, -1, 0
	s_sub_co_i32 s22, s29, s17
	s_delay_alu instid0(SALU_CYCLE_1) | instskip(NEXT) | instid1(SALU_CYCLE_1)
	s_and_b32 s22, s22, 0x7f
	s_cmp_lg_u32 s22, 0
	s_cbranch_scc1 .LBB4_9
.LBB4_6:
	s_sub_co_i32 s23, s26, s29
	v_dual_mov_b32 v8, -1.0 :: v_dual_mov_b32 v9, -1
	v_cmp_gt_u32_e32 vcc_lo, s23, v0
	s_and_saveexec_b32 s23, vcc_lo
	s_cbranch_execz .LBB4_8
; %bb.7:
	v_add_nc_u32_e32 v9, s29, v0
	s_wait_kmcnt 0x0
	s_clause 0x1
	global_load_b32 v10, v9, s[12:13] scale_offset
	global_load_b32 v8, v9, s[14:15] scale_offset
	s_wait_loadcnt 0x1
	s_wait_xcnt 0x0
	v_subrev_nc_u32_e32 v9, s4, v10
.LBB4_8:
	s_or_b32 exec_lo, exec_lo, s23
	ds_store_b32 v1, v9
	s_wait_loadcnt 0x0
	ds_store_b32 v4, v8
.LBB4_9:                                ; =>This Loop Header: Depth=1
                                        ;     Child Loop BB4_33 Depth 2
	s_lshl_b32 s22, s22, 2
	s_wait_dscnt 0x0
	v_mov_b32_e32 v8, s22
	s_barrier_signal -1
	s_barrier_wait -1
	ds_load_2addr_stride64_b32 v[8:9], v8 offset1:2
	s_wait_dscnt 0x0
	v_readfirstlane_b32 s22, v8
	v_cmp_neq_f32_e32 vcc_lo, 0, v9
	s_cmp_lg_u32 s22, s16
	s_cselect_b32 s23, -1, 0
	s_delay_alu instid0(SALU_CYCLE_1) | instskip(NEXT) | instid1(SALU_CYCLE_1)
	s_or_b32 s23, s27, s23
	s_or_b32 vcc_lo, vcc_lo, s23
	v_cndmask_b32_e32 v8, 1.0, v9, vcc_lo
	s_nor_b32 s24, s0, vcc_lo
	s_delay_alu instid0(SALU_CYCLE_1)
	s_and_saveexec_b32 s23, s24
	s_cbranch_execz .LBB4_13
; %bb.10:                               ;   in Loop: Header=BB4_9 Depth=1
	v_mbcnt_lo_u32_b32 v8, exec_lo, 0
	s_mov_b32 s24, exec_lo
	s_delay_alu instid0(VALU_DEP_1)
	v_cmpx_eq_u32_e32 0, v8
	s_cbranch_execz .LBB4_12
; %bb.11:                               ;   in Loop: Header=BB4_9 Depth=1
	v_mov_b32_e32 v8, s28
	s_wait_kmcnt 0x0
	global_atomic_min_i32 v5, v8, s[8:9] scope:SCOPE_DEV
.LBB4_12:                               ;   in Loop: Header=BB4_9 Depth=1
	s_wait_xcnt 0x0
	s_or_b32 exec_lo, exec_lo, s24
	v_mov_b32_e32 v8, 1.0
.LBB4_13:                               ;   in Loop: Header=BB4_9 Depth=1
	s_or_b32 exec_lo, exec_lo, s23
	s_mov_b32 s25, -1
	s_mov_b32 s23, 0
	s_cmp_lt_i32 s5, 1
	s_mov_b32 s24, 0
                                        ; implicit-def: $vgpr9
	s_cbranch_scc0 .LBB4_20
; %bb.14:                               ;   in Loop: Header=BB4_9 Depth=1
	s_and_b32 vcc_lo, exec_lo, s25
	s_mov_b32 s25, 4
	s_cbranch_vccnz .LBB4_25
.LBB4_15:                               ;   in Loop: Header=BB4_9 Depth=1
	v_mov_b32_e32 v10, v6
	s_and_b32 vcc_lo, exec_lo, s24
	s_cbranch_vccnz .LBB4_30
.LBB4_16:                               ;   in Loop: Header=BB4_9 Depth=1
	s_and_b32 vcc_lo, exec_lo, s23
	s_cbranch_vccnz .LBB4_37
.LBB4_17:                               ;   in Loop: Header=BB4_9 Depth=1
	s_mov_b32 s22, -1
	s_cmp_gt_i32 s25, 3
	s_mov_b32 s23, -1
	s_cbranch_scc0 .LBB4_38
.LBB4_18:                               ;   in Loop: Header=BB4_9 Depth=1
	s_and_not1_b32 vcc_lo, exec_lo, s23
	s_cbranch_vccz .LBB4_39
.LBB4_19:                               ;   in Loop: Header=BB4_9 Depth=1
	s_and_not1_b32 vcc_lo, exec_lo, s22
	s_cbranch_vccnz .LBB4_40
	s_branch .LBB4_42
.LBB4_20:                               ;   in Loop: Header=BB4_9 Depth=1
	s_cmp_eq_u32 s5, 1
	s_mov_b32 s24, -1
                                        ; implicit-def: $vgpr9
	s_cbranch_scc0 .LBB4_24
; %bb.21:                               ;   in Loop: Header=BB4_9 Depth=1
	v_mov_b32_e32 v9, v7
	s_cmp_ge_i32 s22, s16
	s_mov_b32 s24, 0
	s_cbranch_scc0 .LBB4_24
; %bb.22:                               ;   in Loop: Header=BB4_9 Depth=1
	s_cmp_eq_u32 s22, s16
	s_mov_b32 s24, -1
                                        ; implicit-def: $vgpr9
	s_cbranch_scc0 .LBB4_24
; %bb.23:                               ;   in Loop: Header=BB4_9 Depth=1
	v_div_scale_f32 v9, null, v8, v8, 1.0
	s_mov_b32 s24, 0
	v_rcp_f32_e32 v10, v9
	v_nop
	s_delay_alu instid0(TRANS32_DEP_1) | instskip(NEXT) | instid1(VALU_DEP_1)
	v_fma_f32 v11, -v9, v10, 1.0
	v_fmac_f32_e32 v10, v11, v10
	v_div_scale_f32 v11, vcc_lo, 1.0, v8, 1.0
	s_delay_alu instid0(VALU_DEP_1) | instskip(NEXT) | instid1(VALU_DEP_1)
	v_mul_f32_e32 v12, v11, v10
	v_fma_f32 v13, -v9, v12, v11
	s_delay_alu instid0(VALU_DEP_1) | instskip(NEXT) | instid1(VALU_DEP_1)
	v_fmac_f32_e32 v12, v13, v10
	v_fma_f32 v9, -v9, v12, v11
	s_delay_alu instid0(VALU_DEP_1) | instskip(NEXT) | instid1(VALU_DEP_1)
	v_div_fmas_f32 v9, v9, v10, v12
	v_div_fixup_f32 v9, v9, v8, 1.0
	s_delay_alu instid0(VALU_DEP_1)
	v_cndmask_b32_e64 v9, v7, v9, s1
.LBB4_24:                               ;   in Loop: Header=BB4_9 Depth=1
	s_mov_b32 s25, 4
	s_branch .LBB4_15
.LBB4_25:                               ;   in Loop: Header=BB4_9 Depth=1
	s_cmp_eq_u32 s5, 0
	s_cbranch_scc1 .LBB4_27
; %bb.26:                               ;   in Loop: Header=BB4_9 Depth=1
	s_mov_b32 s24, -1
	s_branch .LBB4_29
.LBB4_27:                               ;   in Loop: Header=BB4_9 Depth=1
	s_cmp_le_i32 s22, s16
	s_mov_b32 s24, 0
	s_cbranch_scc0 .LBB4_29
; %bb.28:                               ;   in Loop: Header=BB4_9 Depth=1
	s_cmp_lg_u32 s22, s16
	s_mov_b32 s23, -1
	s_cselect_b32 s24, -1, 0
.LBB4_29:                               ;   in Loop: Header=BB4_9 Depth=1
	v_mov_b32_e32 v9, v7
	s_mov_b32 s25, 2
	v_mov_b32_e32 v10, v6
	s_and_b32 vcc_lo, exec_lo, s24
	s_cbranch_vccz .LBB4_16
.LBB4_30:                               ;   in Loop: Header=BB4_9 Depth=1
	s_and_saveexec_b32 s23, s3
	s_cbranch_execz .LBB4_34
; %bb.31:                               ;   in Loop: Header=BB4_9 Depth=1
	s_add_co_i32 s24, s22, s7
	s_delay_alu instid0(SALU_CYCLE_1)
	v_mov_b32_e32 v9, s24
	global_load_b32 v9, v9, s[18:19] scale_offset scope:SCOPE_DEV
	s_wait_loadcnt 0x0
	v_cmp_ne_u32_e32 vcc_lo, 0, v9
	s_cbranch_vccnz .LBB4_34
; %bb.32:                               ;   in Loop: Header=BB4_9 Depth=1
	s_ashr_i32 s25, s24, 31
	s_delay_alu instid0(SALU_CYCLE_1) | instskip(NEXT) | instid1(SALU_CYCLE_1)
	s_lshl_b64 s[24:25], s[24:25], 2
	s_add_nc_u64 s[24:25], s[18:19], s[24:25]
.LBB4_33:                               ;   Parent Loop BB4_9 Depth=1
                                        ; =>  This Inner Loop Header: Depth=2
	global_load_b32 v9, v5, s[24:25] scope:SCOPE_DEV
	s_wait_loadcnt 0x0
	v_cmp_eq_u32_e32 vcc_lo, 0, v9
	s_cbranch_vccnz .LBB4_33
.LBB4_34:                               ;   in Loop: Header=BB4_9 Depth=1
	s_wait_xcnt 0x0
	s_or_b32 exec_lo, exec_lo, s23
	v_mov_b32_e32 v10, 0
	s_wait_storecnt 0x0
	s_barrier_signal -1
	s_barrier_wait -1
	global_inv scope:SCOPE_DEV
	s_and_saveexec_b32 s24, s2
	s_cbranch_execz .LBB4_36
; %bb.35:                               ;   in Loop: Header=BB4_9 Depth=1
	s_ashr_i32 s23, s22, 31
	s_delay_alu instid0(SALU_CYCLE_1) | instskip(NEXT) | instid1(SALU_CYCLE_1)
	s_mul_u64 s[22:23], s[10:11], s[22:23]
	v_lshl_add_u64 v[10:11], s[22:23], 2, v[2:3]
	global_load_b32 v9, v[10:11], off
	s_wait_loadcnt 0x0
	v_fma_f32 v10, -v8, v9, v6
.LBB4_36:                               ;   in Loop: Header=BB4_9 Depth=1
	s_or_b32 exec_lo, exec_lo, s24
	v_mov_b32_e32 v9, v7
	s_mov_b32 s25, 0
	s_branch .LBB4_17
.LBB4_37:                               ;   in Loop: Header=BB4_9 Depth=1
	v_div_scale_f32 v9, null, v8, v8, 1.0
	v_div_scale_f32 v12, vcc_lo, 1.0, v8, 1.0
	s_mov_b32 s25, 2
	v_rcp_f32_e32 v10, v9
	v_nop
	s_delay_alu instid0(TRANS32_DEP_1) | instskip(NEXT) | instid1(VALU_DEP_1)
	v_fma_f32 v11, -v9, v10, 1.0
	v_fmac_f32_e32 v10, v11, v10
	s_delay_alu instid0(VALU_DEP_1) | instskip(NEXT) | instid1(VALU_DEP_1)
	v_mul_f32_e32 v11, v12, v10
	v_fma_f32 v13, -v9, v11, v12
	s_delay_alu instid0(VALU_DEP_1) | instskip(NEXT) | instid1(VALU_DEP_1)
	v_fmac_f32_e32 v11, v13, v10
	v_fma_f32 v9, -v9, v11, v12
	s_delay_alu instid0(VALU_DEP_1) | instskip(SKIP_1) | instid1(VALU_DEP_2)
	v_div_fmas_f32 v9, v9, v10, v11
	v_mov_b32_e32 v10, v6
	v_div_fixup_f32 v8, v9, v8, 1.0
	s_delay_alu instid0(VALU_DEP_1)
	v_cndmask_b32_e64 v9, v7, v8, s1
	s_mov_b32 s22, -1
	s_cmp_gt_i32 s25, 3
	s_mov_b32 s23, -1
	s_cbranch_scc1 .LBB4_18
.LBB4_38:                               ;   in Loop: Header=BB4_9 Depth=1
	s_cmp_eq_u32 s25, 0
	s_cselect_b32 s23, -1, 0
	s_delay_alu instid0(SALU_CYCLE_1)
	s_and_not1_b32 vcc_lo, exec_lo, s23
	s_cbranch_vccnz .LBB4_19
.LBB4_39:                               ;   in Loop: Header=BB4_9 Depth=1
	s_add_co_i32 s29, s29, 1
	s_delay_alu instid0(SALU_CYCLE_1) | instskip(SKIP_1) | instid1(SALU_CYCLE_1)
	s_cmp_ge_i32 s29, s26
	s_cselect_b32 s22, -1, 0
	s_and_not1_b32 vcc_lo, exec_lo, s22
	s_cbranch_vccz .LBB4_42
.LBB4_40:                               ;   in Loop: Header=BB4_9 Depth=1
	v_dual_mov_b32 v6, v10 :: v_dual_mov_b32 v7, v9
	s_sub_co_i32 s22, s29, s17
	s_delay_alu instid0(SALU_CYCLE_1) | instskip(NEXT) | instid1(SALU_CYCLE_1)
	s_and_b32 s22, s22, 0x7f
	s_cmp_lg_u32 s22, 0
	s_cbranch_scc1 .LBB4_9
	s_branch .LBB4_6
.LBB4_41:
	v_mov_b32_e32 v10, v6
.LBB4_42:
	s_and_saveexec_b32 s0, s2
	s_cbranch_execz .LBB4_44
; %bb.43:
	s_delay_alu instid0(VALU_DEP_1) | instskip(SKIP_3) | instid1(VALU_DEP_2)
	v_mul_f32_e32 v1, v9, v10
	s_cmp_eq_u32 s6, 0
	v_lshl_add_u64 v[2:3], s[20:21], 2, v[2:3]
	s_cselect_b32 vcc_lo, -1, 0
	v_cndmask_b32_e32 v1, v10, v1, vcc_lo
	global_store_b32 v[2:3], v1, off
.LBB4_44:
	s_wait_xcnt 0x0
	s_or_b32 exec_lo, exec_lo, s0
	global_wb scope:SCOPE_DEV
	s_wait_loadcnt 0x0
	s_wait_storecnt 0x0
	global_inv scope:SCOPE_DEV
	s_wait_loadcnt 0x0
	s_barrier_signal -1
	s_barrier_wait -1
	s_mov_b32 s0, exec_lo
	v_cmpx_eq_u32_e32 0, v0
	s_cbranch_execz .LBB4_46
; %bb.45:
	s_add_co_i32 s0, s16, s7
	s_delay_alu instid0(SALU_CYCLE_1)
	v_dual_mov_b32 v0, 1 :: v_dual_mov_b32 v1, s0
	global_store_b32 v1, v0, s[18:19] scale_offset scope:SCOPE_DEV
.LBB4_46:
	s_endpgm
	.section	.rodata,"a",@progbits
	.p2align	6, 0x0
	.amdhsa_kernel _ZN9rocsparseL5csrsmILj128ELj64ELb0EiifEEv20rocsparse_operation_T3_S2_NS_24const_host_device_scalarIT4_EEPKT2_PKS2_PKS4_PS4_lPiSA_PS2_21rocsparse_index_base_20rocsparse_fill_mode_20rocsparse_diag_type_b
		.amdhsa_group_segment_fixed_size 1024
		.amdhsa_private_segment_fixed_size 0
		.amdhsa_kernarg_size 104
		.amdhsa_user_sgpr_count 2
		.amdhsa_user_sgpr_dispatch_ptr 0
		.amdhsa_user_sgpr_queue_ptr 0
		.amdhsa_user_sgpr_kernarg_segment_ptr 1
		.amdhsa_user_sgpr_dispatch_id 0
		.amdhsa_user_sgpr_kernarg_preload_length 0
		.amdhsa_user_sgpr_kernarg_preload_offset 0
		.amdhsa_user_sgpr_private_segment_size 0
		.amdhsa_wavefront_size32 1
		.amdhsa_uses_dynamic_stack 0
		.amdhsa_enable_private_segment 0
		.amdhsa_system_sgpr_workgroup_id_x 1
		.amdhsa_system_sgpr_workgroup_id_y 0
		.amdhsa_system_sgpr_workgroup_id_z 0
		.amdhsa_system_sgpr_workgroup_info 0
		.amdhsa_system_vgpr_workitem_id 0
		.amdhsa_next_free_vgpr 14
		.amdhsa_next_free_sgpr 30
		.amdhsa_named_barrier_count 0
		.amdhsa_reserve_vcc 1
		.amdhsa_float_round_mode_32 0
		.amdhsa_float_round_mode_16_64 0
		.amdhsa_float_denorm_mode_32 3
		.amdhsa_float_denorm_mode_16_64 3
		.amdhsa_fp16_overflow 0
		.amdhsa_memory_ordered 1
		.amdhsa_forward_progress 1
		.amdhsa_inst_pref_size 13
		.amdhsa_round_robin_scheduling 0
		.amdhsa_exception_fp_ieee_invalid_op 0
		.amdhsa_exception_fp_denorm_src 0
		.amdhsa_exception_fp_ieee_div_zero 0
		.amdhsa_exception_fp_ieee_overflow 0
		.amdhsa_exception_fp_ieee_underflow 0
		.amdhsa_exception_fp_ieee_inexact 0
		.amdhsa_exception_int_div_zero 0
	.end_amdhsa_kernel
	.section	.text._ZN9rocsparseL5csrsmILj128ELj64ELb0EiifEEv20rocsparse_operation_T3_S2_NS_24const_host_device_scalarIT4_EEPKT2_PKS2_PKS4_PS4_lPiSA_PS2_21rocsparse_index_base_20rocsparse_fill_mode_20rocsparse_diag_type_b,"axG",@progbits,_ZN9rocsparseL5csrsmILj128ELj64ELb0EiifEEv20rocsparse_operation_T3_S2_NS_24const_host_device_scalarIT4_EEPKT2_PKS2_PKS4_PS4_lPiSA_PS2_21rocsparse_index_base_20rocsparse_fill_mode_20rocsparse_diag_type_b,comdat
.Lfunc_end4:
	.size	_ZN9rocsparseL5csrsmILj128ELj64ELb0EiifEEv20rocsparse_operation_T3_S2_NS_24const_host_device_scalarIT4_EEPKT2_PKS2_PKS4_PS4_lPiSA_PS2_21rocsparse_index_base_20rocsparse_fill_mode_20rocsparse_diag_type_b, .Lfunc_end4-_ZN9rocsparseL5csrsmILj128ELj64ELb0EiifEEv20rocsparse_operation_T3_S2_NS_24const_host_device_scalarIT4_EEPKT2_PKS2_PKS4_PS4_lPiSA_PS2_21rocsparse_index_base_20rocsparse_fill_mode_20rocsparse_diag_type_b
                                        ; -- End function
	.set _ZN9rocsparseL5csrsmILj128ELj64ELb0EiifEEv20rocsparse_operation_T3_S2_NS_24const_host_device_scalarIT4_EEPKT2_PKS2_PKS4_PS4_lPiSA_PS2_21rocsparse_index_base_20rocsparse_fill_mode_20rocsparse_diag_type_b.num_vgpr, 14
	.set _ZN9rocsparseL5csrsmILj128ELj64ELb0EiifEEv20rocsparse_operation_T3_S2_NS_24const_host_device_scalarIT4_EEPKT2_PKS2_PKS4_PS4_lPiSA_PS2_21rocsparse_index_base_20rocsparse_fill_mode_20rocsparse_diag_type_b.num_agpr, 0
	.set _ZN9rocsparseL5csrsmILj128ELj64ELb0EiifEEv20rocsparse_operation_T3_S2_NS_24const_host_device_scalarIT4_EEPKT2_PKS2_PKS4_PS4_lPiSA_PS2_21rocsparse_index_base_20rocsparse_fill_mode_20rocsparse_diag_type_b.numbered_sgpr, 30
	.set _ZN9rocsparseL5csrsmILj128ELj64ELb0EiifEEv20rocsparse_operation_T3_S2_NS_24const_host_device_scalarIT4_EEPKT2_PKS2_PKS4_PS4_lPiSA_PS2_21rocsparse_index_base_20rocsparse_fill_mode_20rocsparse_diag_type_b.num_named_barrier, 0
	.set _ZN9rocsparseL5csrsmILj128ELj64ELb0EiifEEv20rocsparse_operation_T3_S2_NS_24const_host_device_scalarIT4_EEPKT2_PKS2_PKS4_PS4_lPiSA_PS2_21rocsparse_index_base_20rocsparse_fill_mode_20rocsparse_diag_type_b.private_seg_size, 0
	.set _ZN9rocsparseL5csrsmILj128ELj64ELb0EiifEEv20rocsparse_operation_T3_S2_NS_24const_host_device_scalarIT4_EEPKT2_PKS2_PKS4_PS4_lPiSA_PS2_21rocsparse_index_base_20rocsparse_fill_mode_20rocsparse_diag_type_b.uses_vcc, 1
	.set _ZN9rocsparseL5csrsmILj128ELj64ELb0EiifEEv20rocsparse_operation_T3_S2_NS_24const_host_device_scalarIT4_EEPKT2_PKS2_PKS4_PS4_lPiSA_PS2_21rocsparse_index_base_20rocsparse_fill_mode_20rocsparse_diag_type_b.uses_flat_scratch, 0
	.set _ZN9rocsparseL5csrsmILj128ELj64ELb0EiifEEv20rocsparse_operation_T3_S2_NS_24const_host_device_scalarIT4_EEPKT2_PKS2_PKS4_PS4_lPiSA_PS2_21rocsparse_index_base_20rocsparse_fill_mode_20rocsparse_diag_type_b.has_dyn_sized_stack, 0
	.set _ZN9rocsparseL5csrsmILj128ELj64ELb0EiifEEv20rocsparse_operation_T3_S2_NS_24const_host_device_scalarIT4_EEPKT2_PKS2_PKS4_PS4_lPiSA_PS2_21rocsparse_index_base_20rocsparse_fill_mode_20rocsparse_diag_type_b.has_recursion, 0
	.set _ZN9rocsparseL5csrsmILj128ELj64ELb0EiifEEv20rocsparse_operation_T3_S2_NS_24const_host_device_scalarIT4_EEPKT2_PKS2_PKS4_PS4_lPiSA_PS2_21rocsparse_index_base_20rocsparse_fill_mode_20rocsparse_diag_type_b.has_indirect_call, 0
	.section	.AMDGPU.csdata,"",@progbits
; Kernel info:
; codeLenInByte = 1612
; TotalNumSgprs: 32
; NumVgprs: 14
; ScratchSize: 0
; MemoryBound: 0
; FloatMode: 240
; IeeeMode: 1
; LDSByteSize: 1024 bytes/workgroup (compile time only)
; SGPRBlocks: 0
; VGPRBlocks: 0
; NumSGPRsForWavesPerEU: 32
; NumVGPRsForWavesPerEU: 14
; NamedBarCnt: 0
; Occupancy: 16
; WaveLimiterHint : 1
; COMPUTE_PGM_RSRC2:SCRATCH_EN: 0
; COMPUTE_PGM_RSRC2:USER_SGPR: 2
; COMPUTE_PGM_RSRC2:TRAP_HANDLER: 0
; COMPUTE_PGM_RSRC2:TGID_X_EN: 1
; COMPUTE_PGM_RSRC2:TGID_Y_EN: 0
; COMPUTE_PGM_RSRC2:TGID_Z_EN: 0
; COMPUTE_PGM_RSRC2:TIDIG_COMP_CNT: 0
	.section	.text._ZN9rocsparseL5csrsmILj256ELj64ELb1EiifEEv20rocsparse_operation_T3_S2_NS_24const_host_device_scalarIT4_EEPKT2_PKS2_PKS4_PS4_lPiSA_PS2_21rocsparse_index_base_20rocsparse_fill_mode_20rocsparse_diag_type_b,"axG",@progbits,_ZN9rocsparseL5csrsmILj256ELj64ELb1EiifEEv20rocsparse_operation_T3_S2_NS_24const_host_device_scalarIT4_EEPKT2_PKS2_PKS4_PS4_lPiSA_PS2_21rocsparse_index_base_20rocsparse_fill_mode_20rocsparse_diag_type_b,comdat
	.globl	_ZN9rocsparseL5csrsmILj256ELj64ELb1EiifEEv20rocsparse_operation_T3_S2_NS_24const_host_device_scalarIT4_EEPKT2_PKS2_PKS4_PS4_lPiSA_PS2_21rocsparse_index_base_20rocsparse_fill_mode_20rocsparse_diag_type_b ; -- Begin function _ZN9rocsparseL5csrsmILj256ELj64ELb1EiifEEv20rocsparse_operation_T3_S2_NS_24const_host_device_scalarIT4_EEPKT2_PKS2_PKS4_PS4_lPiSA_PS2_21rocsparse_index_base_20rocsparse_fill_mode_20rocsparse_diag_type_b
	.p2align	8
	.type	_ZN9rocsparseL5csrsmILj256ELj64ELb1EiifEEv20rocsparse_operation_T3_S2_NS_24const_host_device_scalarIT4_EEPKT2_PKS2_PKS4_PS4_lPiSA_PS2_21rocsparse_index_base_20rocsparse_fill_mode_20rocsparse_diag_type_b,@function
_ZN9rocsparseL5csrsmILj256ELj64ELb1EiifEEv20rocsparse_operation_T3_S2_NS_24const_host_device_scalarIT4_EEPKT2_PKS2_PKS4_PS4_lPiSA_PS2_21rocsparse_index_base_20rocsparse_fill_mode_20rocsparse_diag_type_b: ; @_ZN9rocsparseL5csrsmILj256ELj64ELb1EiifEEv20rocsparse_operation_T3_S2_NS_24const_host_device_scalarIT4_EEPKT2_PKS2_PKS4_PS4_lPiSA_PS2_21rocsparse_index_base_20rocsparse_fill_mode_20rocsparse_diag_type_b
; %bb.0:
	s_clause 0x2
	s_load_b128 s[4:7], s[0:1], 0x58
	s_load_b128 s[12:15], s[0:1], 0x10
	s_load_b64 s[2:3], s[0:1], 0x48
	s_wait_kmcnt 0x0
	s_bitcmp1_b32 s7, 0
	s_cselect_b32 s7, -1, 0
	s_delay_alu instid0(SALU_CYCLE_1)
	s_and_b32 vcc_lo, exec_lo, s7
	s_cbranch_vccnz .LBB5_2
; %bb.1:
	s_load_b32 s12, s[12:13], 0x0
.LBB5_2:
	s_nop 0
	s_load_b64 s[20:21], s[0:1], 0x4
	s_bfe_u32 s9, ttmp6, 0x4000c
	s_and_b32 s8, ttmp6, 15
	s_add_co_i32 s9, s9, 1
	s_getreg_b32 s11, hwreg(HW_REG_IB_STS2, 6, 4)
	s_mul_i32 s9, ttmp9, s9
	v_mov_b32_e32 v6, 0
	s_add_co_i32 s8, s8, s9
	s_wait_kmcnt 0x0
	s_cvt_f32_u32 s7, s20
	s_sub_co_i32 s10, 0, s20
	s_delay_alu instid0(SALU_CYCLE_2) | instskip(SKIP_1) | instid1(TRANS32_DEP_1)
	v_rcp_iflag_f32_e32 v1, s7
	v_nop
	v_readfirstlane_b32 s7, v1
	s_mul_f32 s7, s7, 0x4f7ffffe
	s_delay_alu instid0(SALU_CYCLE_3) | instskip(NEXT) | instid1(SALU_CYCLE_3)
	s_cvt_u32_f32 s7, s7
	s_mul_i32 s10, s10, s7
	s_delay_alu instid0(SALU_CYCLE_1) | instskip(NEXT) | instid1(SALU_CYCLE_1)
	s_mul_hi_u32 s10, s7, s10
	s_add_co_i32 s7, s7, s10
	s_cmp_eq_u32 s11, 0
	s_cselect_b32 s8, ttmp9, s8
	s_delay_alu instid0(SALU_CYCLE_1) | instskip(NEXT) | instid1(SALU_CYCLE_1)
	s_mul_hi_u32 s7, s8, s7
	s_mul_i32 s9, s7, s20
	s_add_co_i32 s10, s7, 1
	s_sub_co_i32 s9, s8, s9
	s_delay_alu instid0(SALU_CYCLE_1)
	s_sub_co_i32 s11, s9, s20
	s_cmp_ge_u32 s9, s20
	s_cselect_b32 s7, s10, s7
	s_cselect_b32 s9, s11, s9
	s_add_co_i32 s10, s7, 1
	s_cmp_ge_u32 s9, s20
	s_cselect_b32 s13, s10, s7
	s_delay_alu instid0(SALU_CYCLE_1) | instskip(SKIP_2) | instid1(SALU_CYCLE_1)
	s_mul_i32 s7, s13, s20
	v_lshl_or_b32 v2, s13, 8, v0
	s_sub_co_i32 s8, s8, s7
	s_ashr_i32 s9, s8, 31
	s_delay_alu instid0(VALU_DEP_1) | instskip(SKIP_1) | instid1(SALU_CYCLE_1)
	v_ashrrev_i32_e32 v3, 31, v2
	s_lshl_b64 s[8:9], s[8:9], 2
	s_add_nc_u64 s[2:3], s[2:3], s[8:9]
	s_load_b128 s[8:11], s[0:1], 0x30
	s_load_b32 s16, s[2:3], 0x0
	s_wait_kmcnt 0x0
	s_ashr_i32 s17, s16, 31
	s_delay_alu instid0(SALU_CYCLE_1) | instskip(NEXT) | instid1(SALU_CYCLE_1)
	s_lshl_b64 s[2:3], s[16:17], 2
	s_add_nc_u64 s[2:3], s[14:15], s[2:3]
	s_load_b64 s[18:19], s[0:1], 0x40
	s_load_b64 s[22:23], s[2:3], 0x0
	s_wait_xcnt 0x0
	v_cmp_gt_i32_e64 s2, s21, v2
	s_mul_u64 s[20:21], s[10:11], s[16:17]
	s_and_saveexec_b32 s3, s2
	s_cbranch_execz .LBB5_4
; %bb.3:
	v_add_nc_u64_e32 v[4:5], s[20:21], v[2:3]
	s_delay_alu instid0(VALU_DEP_1)
	v_lshl_add_u64 v[4:5], v[4:5], 2, s[8:9]
	global_load_b32 v1, v[4:5], off
	s_wait_loadcnt 0x0
	v_mul_f32_e32 v6, s12, v1
.LBB5_4:
	s_or_b32 exec_lo, exec_lo, s3
	v_lshl_add_u64 v[2:3], v[2:3], 2, s[8:9]
	v_mov_b32_e32 v9, 1.0
	v_cmp_eq_u32_e64 s3, 0, v0
	s_wait_kmcnt 0x0
	s_cmp_ge_i32 s22, s23
	s_cbranch_scc1 .LBB5_43
; %bb.5:
	s_clause 0x1
	s_load_b64 s[8:9], s[0:1], 0x50
	s_load_b128 s[12:15], s[0:1], 0x20
	v_dual_lshlrev_b32 v1, 2, v0 :: v_dual_mov_b32 v7, 1.0
	s_sub_co_i32 s17, s22, s4
	s_sub_co_i32 s26, s23, s4
	s_cmp_lg_u32 s6, 0
	s_delay_alu instid0(VALU_DEP_1)
	v_or_b32_e32 v4, 0x400, v1
	s_cselect_b32 s27, -1, 0
	s_wait_xcnt 0x0
	v_cmp_ne_u32_e64 s0, 0, v0
	s_add_co_i32 s28, s16, s4
	v_mov_b32_e32 v5, 0
	s_cmp_eq_u32 s6, 0
	s_mov_b32 s29, s17
	s_cselect_b32 s1, -1, 0
	s_sub_co_i32 s22, s29, s17
	s_delay_alu instid0(SALU_CYCLE_1) | instskip(NEXT) | instid1(SALU_CYCLE_1)
	s_and_b32 s22, s22, 0xff
	s_cmp_lg_u32 s22, 0
	s_cbranch_scc1 .LBB5_9
.LBB5_6:
	s_sub_co_i32 s23, s26, s29
	v_dual_mov_b32 v8, -1.0 :: v_dual_mov_b32 v9, -1
	v_cmp_gt_u32_e32 vcc_lo, s23, v0
	s_and_saveexec_b32 s23, vcc_lo
	s_cbranch_execz .LBB5_8
; %bb.7:
	v_add_nc_u32_e32 v9, s29, v0
	s_wait_kmcnt 0x0
	s_clause 0x1
	global_load_b32 v10, v9, s[12:13] scale_offset
	global_load_b32 v8, v9, s[14:15] scale_offset
	s_wait_loadcnt 0x1
	s_wait_xcnt 0x0
	v_subrev_nc_u32_e32 v9, s4, v10
.LBB5_8:
	s_or_b32 exec_lo, exec_lo, s23
	ds_store_b32 v1, v9
	s_wait_loadcnt 0x0
	ds_store_b32 v4, v8
.LBB5_9:                                ; =>This Loop Header: Depth=1
                                        ;     Child Loop BB5_41 Depth 2
                                        ;       Child Loop BB5_42 Depth 3
	s_lshl_b32 s22, s22, 2
	s_wait_dscnt 0x0
	v_mov_b32_e32 v8, s22
	s_barrier_signal -1
	s_barrier_wait -1
	ds_load_2addr_stride64_b32 v[8:9], v8 offset1:4
	s_wait_dscnt 0x0
	v_readfirstlane_b32 s22, v8
	v_cmp_neq_f32_e32 vcc_lo, 0, v9
	s_cmp_lg_u32 s22, s16
	s_cselect_b32 s23, -1, 0
	s_delay_alu instid0(SALU_CYCLE_1) | instskip(NEXT) | instid1(SALU_CYCLE_1)
	s_or_b32 s23, s27, s23
	s_or_b32 vcc_lo, vcc_lo, s23
	v_cndmask_b32_e32 v8, 1.0, v9, vcc_lo
	s_nor_b32 s24, s0, vcc_lo
	s_delay_alu instid0(SALU_CYCLE_1)
	s_and_saveexec_b32 s23, s24
	s_cbranch_execz .LBB5_13
; %bb.10:                               ;   in Loop: Header=BB5_9 Depth=1
	v_mbcnt_lo_u32_b32 v8, exec_lo, 0
	s_mov_b32 s24, exec_lo
	s_delay_alu instid0(VALU_DEP_1)
	v_cmpx_eq_u32_e32 0, v8
	s_cbranch_execz .LBB5_12
; %bb.11:                               ;   in Loop: Header=BB5_9 Depth=1
	v_mov_b32_e32 v8, s28
	s_wait_kmcnt 0x0
	global_atomic_min_i32 v5, v8, s[8:9] scope:SCOPE_DEV
.LBB5_12:                               ;   in Loop: Header=BB5_9 Depth=1
	s_wait_xcnt 0x0
	s_or_b32 exec_lo, exec_lo, s24
	v_mov_b32_e32 v8, 1.0
.LBB5_13:                               ;   in Loop: Header=BB5_9 Depth=1
	s_or_b32 exec_lo, exec_lo, s23
	s_mov_b32 s25, -1
	s_mov_b32 s23, 0
	s_cmp_lt_i32 s5, 1
	s_mov_b32 s24, 0
                                        ; implicit-def: $vgpr9
	s_cbranch_scc0 .LBB5_20
; %bb.14:                               ;   in Loop: Header=BB5_9 Depth=1
	s_and_b32 vcc_lo, exec_lo, s25
	s_mov_b32 s25, 4
	s_cbranch_vccnz .LBB5_25
.LBB5_15:                               ;   in Loop: Header=BB5_9 Depth=1
	v_mov_b32_e32 v10, v6
	s_and_b32 vcc_lo, exec_lo, s24
	s_cbranch_vccnz .LBB5_30
.LBB5_16:                               ;   in Loop: Header=BB5_9 Depth=1
	s_and_b32 vcc_lo, exec_lo, s23
	s_cbranch_vccnz .LBB5_35
.LBB5_17:                               ;   in Loop: Header=BB5_9 Depth=1
	s_mov_b32 s22, -1
	s_cmp_gt_i32 s25, 3
	s_mov_b32 s23, -1
	s_cbranch_scc0 .LBB5_36
.LBB5_18:                               ;   in Loop: Header=BB5_9 Depth=1
	s_and_not1_b32 vcc_lo, exec_lo, s23
	s_cbranch_vccz .LBB5_37
.LBB5_19:                               ;   in Loop: Header=BB5_9 Depth=1
	s_and_not1_b32 vcc_lo, exec_lo, s22
	s_cbranch_vccnz .LBB5_38
	s_branch .LBB5_44
.LBB5_20:                               ;   in Loop: Header=BB5_9 Depth=1
	s_cmp_eq_u32 s5, 1
	s_mov_b32 s24, -1
                                        ; implicit-def: $vgpr9
	s_cbranch_scc0 .LBB5_24
; %bb.21:                               ;   in Loop: Header=BB5_9 Depth=1
	v_mov_b32_e32 v9, v7
	s_cmp_ge_i32 s22, s16
	s_mov_b32 s24, 0
	s_cbranch_scc0 .LBB5_24
; %bb.22:                               ;   in Loop: Header=BB5_9 Depth=1
	s_cmp_eq_u32 s22, s16
	s_mov_b32 s24, -1
                                        ; implicit-def: $vgpr9
	s_cbranch_scc0 .LBB5_24
; %bb.23:                               ;   in Loop: Header=BB5_9 Depth=1
	v_div_scale_f32 v9, null, v8, v8, 1.0
	s_mov_b32 s24, 0
	v_rcp_f32_e32 v10, v9
	v_nop
	s_delay_alu instid0(TRANS32_DEP_1) | instskip(NEXT) | instid1(VALU_DEP_1)
	v_fma_f32 v11, -v9, v10, 1.0
	v_fmac_f32_e32 v10, v11, v10
	v_div_scale_f32 v11, vcc_lo, 1.0, v8, 1.0
	s_delay_alu instid0(VALU_DEP_1) | instskip(NEXT) | instid1(VALU_DEP_1)
	v_mul_f32_e32 v12, v11, v10
	v_fma_f32 v13, -v9, v12, v11
	s_delay_alu instid0(VALU_DEP_1) | instskip(NEXT) | instid1(VALU_DEP_1)
	v_fmac_f32_e32 v12, v13, v10
	v_fma_f32 v9, -v9, v12, v11
	s_delay_alu instid0(VALU_DEP_1) | instskip(NEXT) | instid1(VALU_DEP_1)
	v_div_fmas_f32 v9, v9, v10, v12
	v_div_fixup_f32 v9, v9, v8, 1.0
	s_delay_alu instid0(VALU_DEP_1)
	v_cndmask_b32_e64 v9, v7, v9, s1
.LBB5_24:                               ;   in Loop: Header=BB5_9 Depth=1
	s_mov_b32 s25, 4
	s_branch .LBB5_15
.LBB5_25:                               ;   in Loop: Header=BB5_9 Depth=1
	s_cmp_eq_u32 s5, 0
	s_cbranch_scc1 .LBB5_27
; %bb.26:                               ;   in Loop: Header=BB5_9 Depth=1
	s_mov_b32 s24, -1
	s_branch .LBB5_29
.LBB5_27:                               ;   in Loop: Header=BB5_9 Depth=1
	s_cmp_le_i32 s22, s16
	s_mov_b32 s24, 0
	s_cbranch_scc0 .LBB5_29
; %bb.28:                               ;   in Loop: Header=BB5_9 Depth=1
	s_cmp_lg_u32 s22, s16
	s_mov_b32 s23, -1
	s_cselect_b32 s24, -1, 0
.LBB5_29:                               ;   in Loop: Header=BB5_9 Depth=1
	v_mov_b32_e32 v9, v7
	s_mov_b32 s25, 2
	v_mov_b32_e32 v10, v6
	s_and_b32 vcc_lo, exec_lo, s24
	s_cbranch_vccz .LBB5_16
.LBB5_30:                               ;   in Loop: Header=BB5_9 Depth=1
	s_and_saveexec_b32 s23, s3
	s_cbranch_execz .LBB5_32
; %bb.31:                               ;   in Loop: Header=BB5_9 Depth=1
	s_add_co_i32 s24, s22, s7
	s_delay_alu instid0(SALU_CYCLE_1)
	v_mov_b32_e32 v9, s24
	global_load_b32 v9, v9, s[18:19] scale_offset scope:SCOPE_DEV
	s_wait_loadcnt 0x0
	v_cmp_ne_u32_e32 vcc_lo, 0, v9
	s_cbranch_vccz .LBB5_39
.LBB5_32:                               ;   in Loop: Header=BB5_9 Depth=1
	s_wait_xcnt 0x0
	s_or_b32 exec_lo, exec_lo, s23
	v_mov_b32_e32 v10, 0
	s_wait_storecnt 0x0
	s_barrier_signal -1
	s_barrier_wait -1
	global_inv scope:SCOPE_DEV
	s_and_saveexec_b32 s24, s2
	s_cbranch_execz .LBB5_34
; %bb.33:                               ;   in Loop: Header=BB5_9 Depth=1
	s_ashr_i32 s23, s22, 31
	s_delay_alu instid0(SALU_CYCLE_1) | instskip(NEXT) | instid1(SALU_CYCLE_1)
	s_mul_u64 s[22:23], s[10:11], s[22:23]
	v_lshl_add_u64 v[10:11], s[22:23], 2, v[2:3]
	global_load_b32 v9, v[10:11], off
	s_wait_loadcnt 0x0
	v_fma_f32 v10, -v8, v9, v6
.LBB5_34:                               ;   in Loop: Header=BB5_9 Depth=1
	s_or_b32 exec_lo, exec_lo, s24
	v_mov_b32_e32 v9, v7
	s_mov_b32 s25, 0
	s_branch .LBB5_17
.LBB5_35:                               ;   in Loop: Header=BB5_9 Depth=1
	v_div_scale_f32 v9, null, v8, v8, 1.0
	v_div_scale_f32 v12, vcc_lo, 1.0, v8, 1.0
	s_mov_b32 s25, 2
	v_rcp_f32_e32 v10, v9
	v_nop
	s_delay_alu instid0(TRANS32_DEP_1) | instskip(NEXT) | instid1(VALU_DEP_1)
	v_fma_f32 v11, -v9, v10, 1.0
	v_fmac_f32_e32 v10, v11, v10
	s_delay_alu instid0(VALU_DEP_1) | instskip(NEXT) | instid1(VALU_DEP_1)
	v_mul_f32_e32 v11, v12, v10
	v_fma_f32 v13, -v9, v11, v12
	s_delay_alu instid0(VALU_DEP_1) | instskip(NEXT) | instid1(VALU_DEP_1)
	v_fmac_f32_e32 v11, v13, v10
	v_fma_f32 v9, -v9, v11, v12
	s_delay_alu instid0(VALU_DEP_1) | instskip(SKIP_1) | instid1(VALU_DEP_2)
	v_div_fmas_f32 v9, v9, v10, v11
	v_mov_b32_e32 v10, v6
	v_div_fixup_f32 v8, v9, v8, 1.0
	s_delay_alu instid0(VALU_DEP_1)
	v_cndmask_b32_e64 v9, v7, v8, s1
	s_mov_b32 s22, -1
	s_cmp_gt_i32 s25, 3
	s_mov_b32 s23, -1
	s_cbranch_scc1 .LBB5_18
.LBB5_36:                               ;   in Loop: Header=BB5_9 Depth=1
	s_cmp_eq_u32 s25, 0
	s_cselect_b32 s23, -1, 0
	s_delay_alu instid0(SALU_CYCLE_1)
	s_and_not1_b32 vcc_lo, exec_lo, s23
	s_cbranch_vccnz .LBB5_19
.LBB5_37:                               ;   in Loop: Header=BB5_9 Depth=1
	s_add_co_i32 s29, s29, 1
	s_delay_alu instid0(SALU_CYCLE_1) | instskip(SKIP_1) | instid1(SALU_CYCLE_1)
	s_cmp_ge_i32 s29, s26
	s_cselect_b32 s22, -1, 0
	s_and_not1_b32 vcc_lo, exec_lo, s22
	s_cbranch_vccz .LBB5_44
.LBB5_38:                               ;   in Loop: Header=BB5_9 Depth=1
	v_dual_mov_b32 v6, v10 :: v_dual_mov_b32 v7, v9
	s_sub_co_i32 s22, s29, s17
	s_delay_alu instid0(SALU_CYCLE_1) | instskip(NEXT) | instid1(SALU_CYCLE_1)
	s_and_b32 s22, s22, 0xff
	s_cmp_lg_u32 s22, 0
	s_cbranch_scc1 .LBB5_9
	s_branch .LBB5_6
.LBB5_39:                               ;   in Loop: Header=BB5_9 Depth=1
	s_ashr_i32 s25, s24, 31
	s_mov_b32 s30, 0
	s_lshl_b64 s[24:25], s[24:25], 2
	s_delay_alu instid0(SALU_CYCLE_1)
	s_add_nc_u64 s[24:25], s[18:19], s[24:25]
	s_branch .LBB5_41
.LBB5_40:                               ;   in Loop: Header=BB5_41 Depth=2
	global_load_b32 v9, v5, s[24:25] scope:SCOPE_DEV
	s_cmp_lt_u32 s30, 0xf43
	s_cselect_b32 s31, -1, 0
	s_delay_alu instid0(SALU_CYCLE_1)
	s_cmp_lg_u32 s31, 0
	s_add_co_ci_u32 s30, s30, 0
	s_wait_loadcnt 0x0
	v_cmp_ne_u32_e32 vcc_lo, 0, v9
	s_cbranch_vccnz .LBB5_32
.LBB5_41:                               ;   Parent Loop BB5_9 Depth=1
                                        ; =>  This Loop Header: Depth=2
                                        ;       Child Loop BB5_42 Depth 3
	s_cmp_eq_u32 s30, 0
	s_mov_b32 s31, s30
	s_cbranch_scc1 .LBB5_40
.LBB5_42:                               ;   Parent Loop BB5_9 Depth=1
                                        ;     Parent Loop BB5_41 Depth=2
                                        ; =>    This Inner Loop Header: Depth=3
	s_add_co_i32 s31, s31, -1
	s_sleep 1
	s_cmp_eq_u32 s31, 0
	s_cbranch_scc0 .LBB5_42
	s_branch .LBB5_40
.LBB5_43:
	v_mov_b32_e32 v10, v6
.LBB5_44:
	s_and_saveexec_b32 s0, s2
	s_cbranch_execz .LBB5_46
; %bb.45:
	s_delay_alu instid0(VALU_DEP_1) | instskip(SKIP_3) | instid1(VALU_DEP_2)
	v_mul_f32_e32 v1, v9, v10
	s_cmp_eq_u32 s6, 0
	v_lshl_add_u64 v[2:3], s[20:21], 2, v[2:3]
	s_cselect_b32 vcc_lo, -1, 0
	v_cndmask_b32_e32 v1, v10, v1, vcc_lo
	global_store_b32 v[2:3], v1, off
.LBB5_46:
	s_wait_xcnt 0x0
	s_or_b32 exec_lo, exec_lo, s0
	global_wb scope:SCOPE_DEV
	s_wait_loadcnt 0x0
	s_wait_storecnt 0x0
	global_inv scope:SCOPE_DEV
	s_wait_loadcnt 0x0
	s_barrier_signal -1
	s_barrier_wait -1
	s_mov_b32 s0, exec_lo
	v_cmpx_eq_u32_e32 0, v0
	s_cbranch_execz .LBB5_48
; %bb.47:
	s_add_co_i32 s0, s16, s7
	s_delay_alu instid0(SALU_CYCLE_1)
	v_dual_mov_b32 v0, 1 :: v_dual_mov_b32 v1, s0
	global_store_b32 v1, v0, s[18:19] scale_offset scope:SCOPE_DEV
.LBB5_48:
	s_endpgm
	.section	.rodata,"a",@progbits
	.p2align	6, 0x0
	.amdhsa_kernel _ZN9rocsparseL5csrsmILj256ELj64ELb1EiifEEv20rocsparse_operation_T3_S2_NS_24const_host_device_scalarIT4_EEPKT2_PKS2_PKS4_PS4_lPiSA_PS2_21rocsparse_index_base_20rocsparse_fill_mode_20rocsparse_diag_type_b
		.amdhsa_group_segment_fixed_size 2048
		.amdhsa_private_segment_fixed_size 0
		.amdhsa_kernarg_size 104
		.amdhsa_user_sgpr_count 2
		.amdhsa_user_sgpr_dispatch_ptr 0
		.amdhsa_user_sgpr_queue_ptr 0
		.amdhsa_user_sgpr_kernarg_segment_ptr 1
		.amdhsa_user_sgpr_dispatch_id 0
		.amdhsa_user_sgpr_kernarg_preload_length 0
		.amdhsa_user_sgpr_kernarg_preload_offset 0
		.amdhsa_user_sgpr_private_segment_size 0
		.amdhsa_wavefront_size32 1
		.amdhsa_uses_dynamic_stack 0
		.amdhsa_enable_private_segment 0
		.amdhsa_system_sgpr_workgroup_id_x 1
		.amdhsa_system_sgpr_workgroup_id_y 0
		.amdhsa_system_sgpr_workgroup_id_z 0
		.amdhsa_system_sgpr_workgroup_info 0
		.amdhsa_system_vgpr_workitem_id 0
		.amdhsa_next_free_vgpr 14
		.amdhsa_next_free_sgpr 32
		.amdhsa_named_barrier_count 0
		.amdhsa_reserve_vcc 1
		.amdhsa_float_round_mode_32 0
		.amdhsa_float_round_mode_16_64 0
		.amdhsa_float_denorm_mode_32 3
		.amdhsa_float_denorm_mode_16_64 3
		.amdhsa_fp16_overflow 0
		.amdhsa_memory_ordered 1
		.amdhsa_forward_progress 1
		.amdhsa_inst_pref_size 14
		.amdhsa_round_robin_scheduling 0
		.amdhsa_exception_fp_ieee_invalid_op 0
		.amdhsa_exception_fp_denorm_src 0
		.amdhsa_exception_fp_ieee_div_zero 0
		.amdhsa_exception_fp_ieee_overflow 0
		.amdhsa_exception_fp_ieee_underflow 0
		.amdhsa_exception_fp_ieee_inexact 0
		.amdhsa_exception_int_div_zero 0
	.end_amdhsa_kernel
	.section	.text._ZN9rocsparseL5csrsmILj256ELj64ELb1EiifEEv20rocsparse_operation_T3_S2_NS_24const_host_device_scalarIT4_EEPKT2_PKS2_PKS4_PS4_lPiSA_PS2_21rocsparse_index_base_20rocsparse_fill_mode_20rocsparse_diag_type_b,"axG",@progbits,_ZN9rocsparseL5csrsmILj256ELj64ELb1EiifEEv20rocsparse_operation_T3_S2_NS_24const_host_device_scalarIT4_EEPKT2_PKS2_PKS4_PS4_lPiSA_PS2_21rocsparse_index_base_20rocsparse_fill_mode_20rocsparse_diag_type_b,comdat
.Lfunc_end5:
	.size	_ZN9rocsparseL5csrsmILj256ELj64ELb1EiifEEv20rocsparse_operation_T3_S2_NS_24const_host_device_scalarIT4_EEPKT2_PKS2_PKS4_PS4_lPiSA_PS2_21rocsparse_index_base_20rocsparse_fill_mode_20rocsparse_diag_type_b, .Lfunc_end5-_ZN9rocsparseL5csrsmILj256ELj64ELb1EiifEEv20rocsparse_operation_T3_S2_NS_24const_host_device_scalarIT4_EEPKT2_PKS2_PKS4_PS4_lPiSA_PS2_21rocsparse_index_base_20rocsparse_fill_mode_20rocsparse_diag_type_b
                                        ; -- End function
	.set _ZN9rocsparseL5csrsmILj256ELj64ELb1EiifEEv20rocsparse_operation_T3_S2_NS_24const_host_device_scalarIT4_EEPKT2_PKS2_PKS4_PS4_lPiSA_PS2_21rocsparse_index_base_20rocsparse_fill_mode_20rocsparse_diag_type_b.num_vgpr, 14
	.set _ZN9rocsparseL5csrsmILj256ELj64ELb1EiifEEv20rocsparse_operation_T3_S2_NS_24const_host_device_scalarIT4_EEPKT2_PKS2_PKS4_PS4_lPiSA_PS2_21rocsparse_index_base_20rocsparse_fill_mode_20rocsparse_diag_type_b.num_agpr, 0
	.set _ZN9rocsparseL5csrsmILj256ELj64ELb1EiifEEv20rocsparse_operation_T3_S2_NS_24const_host_device_scalarIT4_EEPKT2_PKS2_PKS4_PS4_lPiSA_PS2_21rocsparse_index_base_20rocsparse_fill_mode_20rocsparse_diag_type_b.numbered_sgpr, 32
	.set _ZN9rocsparseL5csrsmILj256ELj64ELb1EiifEEv20rocsparse_operation_T3_S2_NS_24const_host_device_scalarIT4_EEPKT2_PKS2_PKS4_PS4_lPiSA_PS2_21rocsparse_index_base_20rocsparse_fill_mode_20rocsparse_diag_type_b.num_named_barrier, 0
	.set _ZN9rocsparseL5csrsmILj256ELj64ELb1EiifEEv20rocsparse_operation_T3_S2_NS_24const_host_device_scalarIT4_EEPKT2_PKS2_PKS4_PS4_lPiSA_PS2_21rocsparse_index_base_20rocsparse_fill_mode_20rocsparse_diag_type_b.private_seg_size, 0
	.set _ZN9rocsparseL5csrsmILj256ELj64ELb1EiifEEv20rocsparse_operation_T3_S2_NS_24const_host_device_scalarIT4_EEPKT2_PKS2_PKS4_PS4_lPiSA_PS2_21rocsparse_index_base_20rocsparse_fill_mode_20rocsparse_diag_type_b.uses_vcc, 1
	.set _ZN9rocsparseL5csrsmILj256ELj64ELb1EiifEEv20rocsparse_operation_T3_S2_NS_24const_host_device_scalarIT4_EEPKT2_PKS2_PKS4_PS4_lPiSA_PS2_21rocsparse_index_base_20rocsparse_fill_mode_20rocsparse_diag_type_b.uses_flat_scratch, 0
	.set _ZN9rocsparseL5csrsmILj256ELj64ELb1EiifEEv20rocsparse_operation_T3_S2_NS_24const_host_device_scalarIT4_EEPKT2_PKS2_PKS4_PS4_lPiSA_PS2_21rocsparse_index_base_20rocsparse_fill_mode_20rocsparse_diag_type_b.has_dyn_sized_stack, 0
	.set _ZN9rocsparseL5csrsmILj256ELj64ELb1EiifEEv20rocsparse_operation_T3_S2_NS_24const_host_device_scalarIT4_EEPKT2_PKS2_PKS4_PS4_lPiSA_PS2_21rocsparse_index_base_20rocsparse_fill_mode_20rocsparse_diag_type_b.has_recursion, 0
	.set _ZN9rocsparseL5csrsmILj256ELj64ELb1EiifEEv20rocsparse_operation_T3_S2_NS_24const_host_device_scalarIT4_EEPKT2_PKS2_PKS4_PS4_lPiSA_PS2_21rocsparse_index_base_20rocsparse_fill_mode_20rocsparse_diag_type_b.has_indirect_call, 0
	.section	.AMDGPU.csdata,"",@progbits
; Kernel info:
; codeLenInByte = 1676
; TotalNumSgprs: 34
; NumVgprs: 14
; ScratchSize: 0
; MemoryBound: 0
; FloatMode: 240
; IeeeMode: 1
; LDSByteSize: 2048 bytes/workgroup (compile time only)
; SGPRBlocks: 0
; VGPRBlocks: 0
; NumSGPRsForWavesPerEU: 34
; NumVGPRsForWavesPerEU: 14
; NamedBarCnt: 0
; Occupancy: 16
; WaveLimiterHint : 1
; COMPUTE_PGM_RSRC2:SCRATCH_EN: 0
; COMPUTE_PGM_RSRC2:USER_SGPR: 2
; COMPUTE_PGM_RSRC2:TRAP_HANDLER: 0
; COMPUTE_PGM_RSRC2:TGID_X_EN: 1
; COMPUTE_PGM_RSRC2:TGID_Y_EN: 0
; COMPUTE_PGM_RSRC2:TGID_Z_EN: 0
; COMPUTE_PGM_RSRC2:TIDIG_COMP_CNT: 0
	.section	.text._ZN9rocsparseL5csrsmILj256ELj64ELb0EiifEEv20rocsparse_operation_T3_S2_NS_24const_host_device_scalarIT4_EEPKT2_PKS2_PKS4_PS4_lPiSA_PS2_21rocsparse_index_base_20rocsparse_fill_mode_20rocsparse_diag_type_b,"axG",@progbits,_ZN9rocsparseL5csrsmILj256ELj64ELb0EiifEEv20rocsparse_operation_T3_S2_NS_24const_host_device_scalarIT4_EEPKT2_PKS2_PKS4_PS4_lPiSA_PS2_21rocsparse_index_base_20rocsparse_fill_mode_20rocsparse_diag_type_b,comdat
	.globl	_ZN9rocsparseL5csrsmILj256ELj64ELb0EiifEEv20rocsparse_operation_T3_S2_NS_24const_host_device_scalarIT4_EEPKT2_PKS2_PKS4_PS4_lPiSA_PS2_21rocsparse_index_base_20rocsparse_fill_mode_20rocsparse_diag_type_b ; -- Begin function _ZN9rocsparseL5csrsmILj256ELj64ELb0EiifEEv20rocsparse_operation_T3_S2_NS_24const_host_device_scalarIT4_EEPKT2_PKS2_PKS4_PS4_lPiSA_PS2_21rocsparse_index_base_20rocsparse_fill_mode_20rocsparse_diag_type_b
	.p2align	8
	.type	_ZN9rocsparseL5csrsmILj256ELj64ELb0EiifEEv20rocsparse_operation_T3_S2_NS_24const_host_device_scalarIT4_EEPKT2_PKS2_PKS4_PS4_lPiSA_PS2_21rocsparse_index_base_20rocsparse_fill_mode_20rocsparse_diag_type_b,@function
_ZN9rocsparseL5csrsmILj256ELj64ELb0EiifEEv20rocsparse_operation_T3_S2_NS_24const_host_device_scalarIT4_EEPKT2_PKS2_PKS4_PS4_lPiSA_PS2_21rocsparse_index_base_20rocsparse_fill_mode_20rocsparse_diag_type_b: ; @_ZN9rocsparseL5csrsmILj256ELj64ELb0EiifEEv20rocsparse_operation_T3_S2_NS_24const_host_device_scalarIT4_EEPKT2_PKS2_PKS4_PS4_lPiSA_PS2_21rocsparse_index_base_20rocsparse_fill_mode_20rocsparse_diag_type_b
; %bb.0:
	s_clause 0x2
	s_load_b128 s[4:7], s[0:1], 0x58
	s_load_b128 s[12:15], s[0:1], 0x10
	s_load_b64 s[2:3], s[0:1], 0x48
	s_wait_kmcnt 0x0
	s_bitcmp1_b32 s7, 0
	s_cselect_b32 s7, -1, 0
	s_delay_alu instid0(SALU_CYCLE_1)
	s_and_b32 vcc_lo, exec_lo, s7
	s_cbranch_vccnz .LBB6_2
; %bb.1:
	s_load_b32 s12, s[12:13], 0x0
.LBB6_2:
	s_nop 0
	s_load_b64 s[20:21], s[0:1], 0x4
	s_bfe_u32 s9, ttmp6, 0x4000c
	s_and_b32 s8, ttmp6, 15
	s_add_co_i32 s9, s9, 1
	s_getreg_b32 s11, hwreg(HW_REG_IB_STS2, 6, 4)
	s_mul_i32 s9, ttmp9, s9
	v_mov_b32_e32 v6, 0
	s_add_co_i32 s8, s8, s9
	s_wait_kmcnt 0x0
	s_cvt_f32_u32 s7, s20
	s_sub_co_i32 s10, 0, s20
	s_delay_alu instid0(SALU_CYCLE_2) | instskip(SKIP_1) | instid1(TRANS32_DEP_1)
	v_rcp_iflag_f32_e32 v1, s7
	v_nop
	v_readfirstlane_b32 s7, v1
	s_mul_f32 s7, s7, 0x4f7ffffe
	s_delay_alu instid0(SALU_CYCLE_3) | instskip(NEXT) | instid1(SALU_CYCLE_3)
	s_cvt_u32_f32 s7, s7
	s_mul_i32 s10, s10, s7
	s_delay_alu instid0(SALU_CYCLE_1) | instskip(NEXT) | instid1(SALU_CYCLE_1)
	s_mul_hi_u32 s10, s7, s10
	s_add_co_i32 s7, s7, s10
	s_cmp_eq_u32 s11, 0
	s_cselect_b32 s8, ttmp9, s8
	s_delay_alu instid0(SALU_CYCLE_1) | instskip(NEXT) | instid1(SALU_CYCLE_1)
	s_mul_hi_u32 s7, s8, s7
	s_mul_i32 s9, s7, s20
	s_add_co_i32 s10, s7, 1
	s_sub_co_i32 s9, s8, s9
	s_delay_alu instid0(SALU_CYCLE_1)
	s_sub_co_i32 s11, s9, s20
	s_cmp_ge_u32 s9, s20
	s_cselect_b32 s7, s10, s7
	s_cselect_b32 s9, s11, s9
	s_add_co_i32 s10, s7, 1
	s_cmp_ge_u32 s9, s20
	s_cselect_b32 s13, s10, s7
	s_delay_alu instid0(SALU_CYCLE_1) | instskip(SKIP_2) | instid1(SALU_CYCLE_1)
	s_mul_i32 s7, s13, s20
	v_lshl_or_b32 v2, s13, 8, v0
	s_sub_co_i32 s8, s8, s7
	s_ashr_i32 s9, s8, 31
	s_delay_alu instid0(VALU_DEP_1) | instskip(SKIP_1) | instid1(SALU_CYCLE_1)
	v_ashrrev_i32_e32 v3, 31, v2
	s_lshl_b64 s[8:9], s[8:9], 2
	s_add_nc_u64 s[2:3], s[2:3], s[8:9]
	s_load_b128 s[8:11], s[0:1], 0x30
	s_load_b32 s16, s[2:3], 0x0
	s_wait_kmcnt 0x0
	s_ashr_i32 s17, s16, 31
	s_delay_alu instid0(SALU_CYCLE_1) | instskip(NEXT) | instid1(SALU_CYCLE_1)
	s_lshl_b64 s[2:3], s[16:17], 2
	s_add_nc_u64 s[2:3], s[14:15], s[2:3]
	s_load_b64 s[18:19], s[0:1], 0x40
	s_load_b64 s[22:23], s[2:3], 0x0
	s_wait_xcnt 0x0
	v_cmp_gt_i32_e64 s2, s21, v2
	s_mul_u64 s[20:21], s[10:11], s[16:17]
	s_and_saveexec_b32 s3, s2
	s_cbranch_execz .LBB6_4
; %bb.3:
	v_add_nc_u64_e32 v[4:5], s[20:21], v[2:3]
	s_delay_alu instid0(VALU_DEP_1)
	v_lshl_add_u64 v[4:5], v[4:5], 2, s[8:9]
	global_load_b32 v1, v[4:5], off
	s_wait_loadcnt 0x0
	v_mul_f32_e32 v6, s12, v1
.LBB6_4:
	s_or_b32 exec_lo, exec_lo, s3
	v_lshl_add_u64 v[2:3], v[2:3], 2, s[8:9]
	v_mov_b32_e32 v9, 1.0
	v_cmp_eq_u32_e64 s3, 0, v0
	s_wait_kmcnt 0x0
	s_cmp_ge_i32 s22, s23
	s_cbranch_scc1 .LBB6_41
; %bb.5:
	s_clause 0x1
	s_load_b64 s[8:9], s[0:1], 0x50
	s_load_b128 s[12:15], s[0:1], 0x20
	v_dual_lshlrev_b32 v1, 2, v0 :: v_dual_mov_b32 v7, 1.0
	s_sub_co_i32 s17, s22, s4
	s_sub_co_i32 s26, s23, s4
	s_cmp_lg_u32 s6, 0
	s_delay_alu instid0(VALU_DEP_1)
	v_or_b32_e32 v4, 0x400, v1
	s_cselect_b32 s27, -1, 0
	s_wait_xcnt 0x0
	v_cmp_ne_u32_e64 s0, 0, v0
	s_add_co_i32 s28, s16, s4
	v_mov_b32_e32 v5, 0
	s_cmp_eq_u32 s6, 0
	s_mov_b32 s29, s17
	s_cselect_b32 s1, -1, 0
	s_sub_co_i32 s22, s29, s17
	s_delay_alu instid0(SALU_CYCLE_1) | instskip(NEXT) | instid1(SALU_CYCLE_1)
	s_and_b32 s22, s22, 0xff
	s_cmp_lg_u32 s22, 0
	s_cbranch_scc1 .LBB6_9
.LBB6_6:
	s_sub_co_i32 s23, s26, s29
	v_dual_mov_b32 v8, -1.0 :: v_dual_mov_b32 v9, -1
	v_cmp_gt_u32_e32 vcc_lo, s23, v0
	s_and_saveexec_b32 s23, vcc_lo
	s_cbranch_execz .LBB6_8
; %bb.7:
	v_add_nc_u32_e32 v9, s29, v0
	s_wait_kmcnt 0x0
	s_clause 0x1
	global_load_b32 v10, v9, s[12:13] scale_offset
	global_load_b32 v8, v9, s[14:15] scale_offset
	s_wait_loadcnt 0x1
	s_wait_xcnt 0x0
	v_subrev_nc_u32_e32 v9, s4, v10
.LBB6_8:
	s_or_b32 exec_lo, exec_lo, s23
	ds_store_b32 v1, v9
	s_wait_loadcnt 0x0
	ds_store_b32 v4, v8
.LBB6_9:                                ; =>This Loop Header: Depth=1
                                        ;     Child Loop BB6_33 Depth 2
	s_lshl_b32 s22, s22, 2
	s_wait_dscnt 0x0
	v_mov_b32_e32 v8, s22
	s_barrier_signal -1
	s_barrier_wait -1
	ds_load_2addr_stride64_b32 v[8:9], v8 offset1:4
	s_wait_dscnt 0x0
	v_readfirstlane_b32 s22, v8
	v_cmp_neq_f32_e32 vcc_lo, 0, v9
	s_cmp_lg_u32 s22, s16
	s_cselect_b32 s23, -1, 0
	s_delay_alu instid0(SALU_CYCLE_1) | instskip(NEXT) | instid1(SALU_CYCLE_1)
	s_or_b32 s23, s27, s23
	s_or_b32 vcc_lo, vcc_lo, s23
	v_cndmask_b32_e32 v8, 1.0, v9, vcc_lo
	s_nor_b32 s24, s0, vcc_lo
	s_delay_alu instid0(SALU_CYCLE_1)
	s_and_saveexec_b32 s23, s24
	s_cbranch_execz .LBB6_13
; %bb.10:                               ;   in Loop: Header=BB6_9 Depth=1
	v_mbcnt_lo_u32_b32 v8, exec_lo, 0
	s_mov_b32 s24, exec_lo
	s_delay_alu instid0(VALU_DEP_1)
	v_cmpx_eq_u32_e32 0, v8
	s_cbranch_execz .LBB6_12
; %bb.11:                               ;   in Loop: Header=BB6_9 Depth=1
	v_mov_b32_e32 v8, s28
	s_wait_kmcnt 0x0
	global_atomic_min_i32 v5, v8, s[8:9] scope:SCOPE_DEV
.LBB6_12:                               ;   in Loop: Header=BB6_9 Depth=1
	s_wait_xcnt 0x0
	s_or_b32 exec_lo, exec_lo, s24
	v_mov_b32_e32 v8, 1.0
.LBB6_13:                               ;   in Loop: Header=BB6_9 Depth=1
	s_or_b32 exec_lo, exec_lo, s23
	s_mov_b32 s25, -1
	s_mov_b32 s23, 0
	s_cmp_lt_i32 s5, 1
	s_mov_b32 s24, 0
                                        ; implicit-def: $vgpr9
	s_cbranch_scc0 .LBB6_20
; %bb.14:                               ;   in Loop: Header=BB6_9 Depth=1
	s_and_b32 vcc_lo, exec_lo, s25
	s_mov_b32 s25, 4
	s_cbranch_vccnz .LBB6_25
.LBB6_15:                               ;   in Loop: Header=BB6_9 Depth=1
	v_mov_b32_e32 v10, v6
	s_and_b32 vcc_lo, exec_lo, s24
	s_cbranch_vccnz .LBB6_30
.LBB6_16:                               ;   in Loop: Header=BB6_9 Depth=1
	s_and_b32 vcc_lo, exec_lo, s23
	s_cbranch_vccnz .LBB6_37
.LBB6_17:                               ;   in Loop: Header=BB6_9 Depth=1
	s_mov_b32 s22, -1
	s_cmp_gt_i32 s25, 3
	s_mov_b32 s23, -1
	s_cbranch_scc0 .LBB6_38
.LBB6_18:                               ;   in Loop: Header=BB6_9 Depth=1
	s_and_not1_b32 vcc_lo, exec_lo, s23
	s_cbranch_vccz .LBB6_39
.LBB6_19:                               ;   in Loop: Header=BB6_9 Depth=1
	s_and_not1_b32 vcc_lo, exec_lo, s22
	s_cbranch_vccnz .LBB6_40
	s_branch .LBB6_42
.LBB6_20:                               ;   in Loop: Header=BB6_9 Depth=1
	s_cmp_eq_u32 s5, 1
	s_mov_b32 s24, -1
                                        ; implicit-def: $vgpr9
	s_cbranch_scc0 .LBB6_24
; %bb.21:                               ;   in Loop: Header=BB6_9 Depth=1
	v_mov_b32_e32 v9, v7
	s_cmp_ge_i32 s22, s16
	s_mov_b32 s24, 0
	s_cbranch_scc0 .LBB6_24
; %bb.22:                               ;   in Loop: Header=BB6_9 Depth=1
	s_cmp_eq_u32 s22, s16
	s_mov_b32 s24, -1
                                        ; implicit-def: $vgpr9
	s_cbranch_scc0 .LBB6_24
; %bb.23:                               ;   in Loop: Header=BB6_9 Depth=1
	v_div_scale_f32 v9, null, v8, v8, 1.0
	s_mov_b32 s24, 0
	v_rcp_f32_e32 v10, v9
	v_nop
	s_delay_alu instid0(TRANS32_DEP_1) | instskip(NEXT) | instid1(VALU_DEP_1)
	v_fma_f32 v11, -v9, v10, 1.0
	v_fmac_f32_e32 v10, v11, v10
	v_div_scale_f32 v11, vcc_lo, 1.0, v8, 1.0
	s_delay_alu instid0(VALU_DEP_1) | instskip(NEXT) | instid1(VALU_DEP_1)
	v_mul_f32_e32 v12, v11, v10
	v_fma_f32 v13, -v9, v12, v11
	s_delay_alu instid0(VALU_DEP_1) | instskip(NEXT) | instid1(VALU_DEP_1)
	v_fmac_f32_e32 v12, v13, v10
	v_fma_f32 v9, -v9, v12, v11
	s_delay_alu instid0(VALU_DEP_1) | instskip(NEXT) | instid1(VALU_DEP_1)
	v_div_fmas_f32 v9, v9, v10, v12
	v_div_fixup_f32 v9, v9, v8, 1.0
	s_delay_alu instid0(VALU_DEP_1)
	v_cndmask_b32_e64 v9, v7, v9, s1
.LBB6_24:                               ;   in Loop: Header=BB6_9 Depth=1
	s_mov_b32 s25, 4
	s_branch .LBB6_15
.LBB6_25:                               ;   in Loop: Header=BB6_9 Depth=1
	s_cmp_eq_u32 s5, 0
	s_cbranch_scc1 .LBB6_27
; %bb.26:                               ;   in Loop: Header=BB6_9 Depth=1
	s_mov_b32 s24, -1
	s_branch .LBB6_29
.LBB6_27:                               ;   in Loop: Header=BB6_9 Depth=1
	s_cmp_le_i32 s22, s16
	s_mov_b32 s24, 0
	s_cbranch_scc0 .LBB6_29
; %bb.28:                               ;   in Loop: Header=BB6_9 Depth=1
	s_cmp_lg_u32 s22, s16
	s_mov_b32 s23, -1
	s_cselect_b32 s24, -1, 0
.LBB6_29:                               ;   in Loop: Header=BB6_9 Depth=1
	v_mov_b32_e32 v9, v7
	s_mov_b32 s25, 2
	v_mov_b32_e32 v10, v6
	s_and_b32 vcc_lo, exec_lo, s24
	s_cbranch_vccz .LBB6_16
.LBB6_30:                               ;   in Loop: Header=BB6_9 Depth=1
	s_and_saveexec_b32 s23, s3
	s_cbranch_execz .LBB6_34
; %bb.31:                               ;   in Loop: Header=BB6_9 Depth=1
	s_add_co_i32 s24, s22, s7
	s_delay_alu instid0(SALU_CYCLE_1)
	v_mov_b32_e32 v9, s24
	global_load_b32 v9, v9, s[18:19] scale_offset scope:SCOPE_DEV
	s_wait_loadcnt 0x0
	v_cmp_ne_u32_e32 vcc_lo, 0, v9
	s_cbranch_vccnz .LBB6_34
; %bb.32:                               ;   in Loop: Header=BB6_9 Depth=1
	s_ashr_i32 s25, s24, 31
	s_delay_alu instid0(SALU_CYCLE_1) | instskip(NEXT) | instid1(SALU_CYCLE_1)
	s_lshl_b64 s[24:25], s[24:25], 2
	s_add_nc_u64 s[24:25], s[18:19], s[24:25]
.LBB6_33:                               ;   Parent Loop BB6_9 Depth=1
                                        ; =>  This Inner Loop Header: Depth=2
	global_load_b32 v9, v5, s[24:25] scope:SCOPE_DEV
	s_wait_loadcnt 0x0
	v_cmp_eq_u32_e32 vcc_lo, 0, v9
	s_cbranch_vccnz .LBB6_33
.LBB6_34:                               ;   in Loop: Header=BB6_9 Depth=1
	s_wait_xcnt 0x0
	s_or_b32 exec_lo, exec_lo, s23
	v_mov_b32_e32 v10, 0
	s_wait_storecnt 0x0
	s_barrier_signal -1
	s_barrier_wait -1
	global_inv scope:SCOPE_DEV
	s_and_saveexec_b32 s24, s2
	s_cbranch_execz .LBB6_36
; %bb.35:                               ;   in Loop: Header=BB6_9 Depth=1
	s_ashr_i32 s23, s22, 31
	s_delay_alu instid0(SALU_CYCLE_1) | instskip(NEXT) | instid1(SALU_CYCLE_1)
	s_mul_u64 s[22:23], s[10:11], s[22:23]
	v_lshl_add_u64 v[10:11], s[22:23], 2, v[2:3]
	global_load_b32 v9, v[10:11], off
	s_wait_loadcnt 0x0
	v_fma_f32 v10, -v8, v9, v6
.LBB6_36:                               ;   in Loop: Header=BB6_9 Depth=1
	s_or_b32 exec_lo, exec_lo, s24
	v_mov_b32_e32 v9, v7
	s_mov_b32 s25, 0
	s_branch .LBB6_17
.LBB6_37:                               ;   in Loop: Header=BB6_9 Depth=1
	v_div_scale_f32 v9, null, v8, v8, 1.0
	v_div_scale_f32 v12, vcc_lo, 1.0, v8, 1.0
	s_mov_b32 s25, 2
	v_rcp_f32_e32 v10, v9
	v_nop
	s_delay_alu instid0(TRANS32_DEP_1) | instskip(NEXT) | instid1(VALU_DEP_1)
	v_fma_f32 v11, -v9, v10, 1.0
	v_fmac_f32_e32 v10, v11, v10
	s_delay_alu instid0(VALU_DEP_1) | instskip(NEXT) | instid1(VALU_DEP_1)
	v_mul_f32_e32 v11, v12, v10
	v_fma_f32 v13, -v9, v11, v12
	s_delay_alu instid0(VALU_DEP_1) | instskip(NEXT) | instid1(VALU_DEP_1)
	v_fmac_f32_e32 v11, v13, v10
	v_fma_f32 v9, -v9, v11, v12
	s_delay_alu instid0(VALU_DEP_1) | instskip(SKIP_1) | instid1(VALU_DEP_2)
	v_div_fmas_f32 v9, v9, v10, v11
	v_mov_b32_e32 v10, v6
	v_div_fixup_f32 v8, v9, v8, 1.0
	s_delay_alu instid0(VALU_DEP_1)
	v_cndmask_b32_e64 v9, v7, v8, s1
	s_mov_b32 s22, -1
	s_cmp_gt_i32 s25, 3
	s_mov_b32 s23, -1
	s_cbranch_scc1 .LBB6_18
.LBB6_38:                               ;   in Loop: Header=BB6_9 Depth=1
	s_cmp_eq_u32 s25, 0
	s_cselect_b32 s23, -1, 0
	s_delay_alu instid0(SALU_CYCLE_1)
	s_and_not1_b32 vcc_lo, exec_lo, s23
	s_cbranch_vccnz .LBB6_19
.LBB6_39:                               ;   in Loop: Header=BB6_9 Depth=1
	s_add_co_i32 s29, s29, 1
	s_delay_alu instid0(SALU_CYCLE_1) | instskip(SKIP_1) | instid1(SALU_CYCLE_1)
	s_cmp_ge_i32 s29, s26
	s_cselect_b32 s22, -1, 0
	s_and_not1_b32 vcc_lo, exec_lo, s22
	s_cbranch_vccz .LBB6_42
.LBB6_40:                               ;   in Loop: Header=BB6_9 Depth=1
	v_dual_mov_b32 v6, v10 :: v_dual_mov_b32 v7, v9
	s_sub_co_i32 s22, s29, s17
	s_delay_alu instid0(SALU_CYCLE_1) | instskip(NEXT) | instid1(SALU_CYCLE_1)
	s_and_b32 s22, s22, 0xff
	s_cmp_lg_u32 s22, 0
	s_cbranch_scc1 .LBB6_9
	s_branch .LBB6_6
.LBB6_41:
	v_mov_b32_e32 v10, v6
.LBB6_42:
	s_and_saveexec_b32 s0, s2
	s_cbranch_execz .LBB6_44
; %bb.43:
	s_delay_alu instid0(VALU_DEP_1) | instskip(SKIP_3) | instid1(VALU_DEP_2)
	v_mul_f32_e32 v1, v9, v10
	s_cmp_eq_u32 s6, 0
	v_lshl_add_u64 v[2:3], s[20:21], 2, v[2:3]
	s_cselect_b32 vcc_lo, -1, 0
	v_cndmask_b32_e32 v1, v10, v1, vcc_lo
	global_store_b32 v[2:3], v1, off
.LBB6_44:
	s_wait_xcnt 0x0
	s_or_b32 exec_lo, exec_lo, s0
	global_wb scope:SCOPE_DEV
	s_wait_loadcnt 0x0
	s_wait_storecnt 0x0
	global_inv scope:SCOPE_DEV
	s_wait_loadcnt 0x0
	s_barrier_signal -1
	s_barrier_wait -1
	s_mov_b32 s0, exec_lo
	v_cmpx_eq_u32_e32 0, v0
	s_cbranch_execz .LBB6_46
; %bb.45:
	s_add_co_i32 s0, s16, s7
	s_delay_alu instid0(SALU_CYCLE_1)
	v_dual_mov_b32 v0, 1 :: v_dual_mov_b32 v1, s0
	global_store_b32 v1, v0, s[18:19] scale_offset scope:SCOPE_DEV
.LBB6_46:
	s_endpgm
	.section	.rodata,"a",@progbits
	.p2align	6, 0x0
	.amdhsa_kernel _ZN9rocsparseL5csrsmILj256ELj64ELb0EiifEEv20rocsparse_operation_T3_S2_NS_24const_host_device_scalarIT4_EEPKT2_PKS2_PKS4_PS4_lPiSA_PS2_21rocsparse_index_base_20rocsparse_fill_mode_20rocsparse_diag_type_b
		.amdhsa_group_segment_fixed_size 2048
		.amdhsa_private_segment_fixed_size 0
		.amdhsa_kernarg_size 104
		.amdhsa_user_sgpr_count 2
		.amdhsa_user_sgpr_dispatch_ptr 0
		.amdhsa_user_sgpr_queue_ptr 0
		.amdhsa_user_sgpr_kernarg_segment_ptr 1
		.amdhsa_user_sgpr_dispatch_id 0
		.amdhsa_user_sgpr_kernarg_preload_length 0
		.amdhsa_user_sgpr_kernarg_preload_offset 0
		.amdhsa_user_sgpr_private_segment_size 0
		.amdhsa_wavefront_size32 1
		.amdhsa_uses_dynamic_stack 0
		.amdhsa_enable_private_segment 0
		.amdhsa_system_sgpr_workgroup_id_x 1
		.amdhsa_system_sgpr_workgroup_id_y 0
		.amdhsa_system_sgpr_workgroup_id_z 0
		.amdhsa_system_sgpr_workgroup_info 0
		.amdhsa_system_vgpr_workitem_id 0
		.amdhsa_next_free_vgpr 14
		.amdhsa_next_free_sgpr 30
		.amdhsa_named_barrier_count 0
		.amdhsa_reserve_vcc 1
		.amdhsa_float_round_mode_32 0
		.amdhsa_float_round_mode_16_64 0
		.amdhsa_float_denorm_mode_32 3
		.amdhsa_float_denorm_mode_16_64 3
		.amdhsa_fp16_overflow 0
		.amdhsa_memory_ordered 1
		.amdhsa_forward_progress 1
		.amdhsa_inst_pref_size 13
		.amdhsa_round_robin_scheduling 0
		.amdhsa_exception_fp_ieee_invalid_op 0
		.amdhsa_exception_fp_denorm_src 0
		.amdhsa_exception_fp_ieee_div_zero 0
		.amdhsa_exception_fp_ieee_overflow 0
		.amdhsa_exception_fp_ieee_underflow 0
		.amdhsa_exception_fp_ieee_inexact 0
		.amdhsa_exception_int_div_zero 0
	.end_amdhsa_kernel
	.section	.text._ZN9rocsparseL5csrsmILj256ELj64ELb0EiifEEv20rocsparse_operation_T3_S2_NS_24const_host_device_scalarIT4_EEPKT2_PKS2_PKS4_PS4_lPiSA_PS2_21rocsparse_index_base_20rocsparse_fill_mode_20rocsparse_diag_type_b,"axG",@progbits,_ZN9rocsparseL5csrsmILj256ELj64ELb0EiifEEv20rocsparse_operation_T3_S2_NS_24const_host_device_scalarIT4_EEPKT2_PKS2_PKS4_PS4_lPiSA_PS2_21rocsparse_index_base_20rocsparse_fill_mode_20rocsparse_diag_type_b,comdat
.Lfunc_end6:
	.size	_ZN9rocsparseL5csrsmILj256ELj64ELb0EiifEEv20rocsparse_operation_T3_S2_NS_24const_host_device_scalarIT4_EEPKT2_PKS2_PKS4_PS4_lPiSA_PS2_21rocsparse_index_base_20rocsparse_fill_mode_20rocsparse_diag_type_b, .Lfunc_end6-_ZN9rocsparseL5csrsmILj256ELj64ELb0EiifEEv20rocsparse_operation_T3_S2_NS_24const_host_device_scalarIT4_EEPKT2_PKS2_PKS4_PS4_lPiSA_PS2_21rocsparse_index_base_20rocsparse_fill_mode_20rocsparse_diag_type_b
                                        ; -- End function
	.set _ZN9rocsparseL5csrsmILj256ELj64ELb0EiifEEv20rocsparse_operation_T3_S2_NS_24const_host_device_scalarIT4_EEPKT2_PKS2_PKS4_PS4_lPiSA_PS2_21rocsparse_index_base_20rocsparse_fill_mode_20rocsparse_diag_type_b.num_vgpr, 14
	.set _ZN9rocsparseL5csrsmILj256ELj64ELb0EiifEEv20rocsparse_operation_T3_S2_NS_24const_host_device_scalarIT4_EEPKT2_PKS2_PKS4_PS4_lPiSA_PS2_21rocsparse_index_base_20rocsparse_fill_mode_20rocsparse_diag_type_b.num_agpr, 0
	.set _ZN9rocsparseL5csrsmILj256ELj64ELb0EiifEEv20rocsparse_operation_T3_S2_NS_24const_host_device_scalarIT4_EEPKT2_PKS2_PKS4_PS4_lPiSA_PS2_21rocsparse_index_base_20rocsparse_fill_mode_20rocsparse_diag_type_b.numbered_sgpr, 30
	.set _ZN9rocsparseL5csrsmILj256ELj64ELb0EiifEEv20rocsparse_operation_T3_S2_NS_24const_host_device_scalarIT4_EEPKT2_PKS2_PKS4_PS4_lPiSA_PS2_21rocsparse_index_base_20rocsparse_fill_mode_20rocsparse_diag_type_b.num_named_barrier, 0
	.set _ZN9rocsparseL5csrsmILj256ELj64ELb0EiifEEv20rocsparse_operation_T3_S2_NS_24const_host_device_scalarIT4_EEPKT2_PKS2_PKS4_PS4_lPiSA_PS2_21rocsparse_index_base_20rocsparse_fill_mode_20rocsparse_diag_type_b.private_seg_size, 0
	.set _ZN9rocsparseL5csrsmILj256ELj64ELb0EiifEEv20rocsparse_operation_T3_S2_NS_24const_host_device_scalarIT4_EEPKT2_PKS2_PKS4_PS4_lPiSA_PS2_21rocsparse_index_base_20rocsparse_fill_mode_20rocsparse_diag_type_b.uses_vcc, 1
	.set _ZN9rocsparseL5csrsmILj256ELj64ELb0EiifEEv20rocsparse_operation_T3_S2_NS_24const_host_device_scalarIT4_EEPKT2_PKS2_PKS4_PS4_lPiSA_PS2_21rocsparse_index_base_20rocsparse_fill_mode_20rocsparse_diag_type_b.uses_flat_scratch, 0
	.set _ZN9rocsparseL5csrsmILj256ELj64ELb0EiifEEv20rocsparse_operation_T3_S2_NS_24const_host_device_scalarIT4_EEPKT2_PKS2_PKS4_PS4_lPiSA_PS2_21rocsparse_index_base_20rocsparse_fill_mode_20rocsparse_diag_type_b.has_dyn_sized_stack, 0
	.set _ZN9rocsparseL5csrsmILj256ELj64ELb0EiifEEv20rocsparse_operation_T3_S2_NS_24const_host_device_scalarIT4_EEPKT2_PKS2_PKS4_PS4_lPiSA_PS2_21rocsparse_index_base_20rocsparse_fill_mode_20rocsparse_diag_type_b.has_recursion, 0
	.set _ZN9rocsparseL5csrsmILj256ELj64ELb0EiifEEv20rocsparse_operation_T3_S2_NS_24const_host_device_scalarIT4_EEPKT2_PKS2_PKS4_PS4_lPiSA_PS2_21rocsparse_index_base_20rocsparse_fill_mode_20rocsparse_diag_type_b.has_indirect_call, 0
	.section	.AMDGPU.csdata,"",@progbits
; Kernel info:
; codeLenInByte = 1612
; TotalNumSgprs: 32
; NumVgprs: 14
; ScratchSize: 0
; MemoryBound: 0
; FloatMode: 240
; IeeeMode: 1
; LDSByteSize: 2048 bytes/workgroup (compile time only)
; SGPRBlocks: 0
; VGPRBlocks: 0
; NumSGPRsForWavesPerEU: 32
; NumVGPRsForWavesPerEU: 14
; NamedBarCnt: 0
; Occupancy: 16
; WaveLimiterHint : 1
; COMPUTE_PGM_RSRC2:SCRATCH_EN: 0
; COMPUTE_PGM_RSRC2:USER_SGPR: 2
; COMPUTE_PGM_RSRC2:TRAP_HANDLER: 0
; COMPUTE_PGM_RSRC2:TGID_X_EN: 1
; COMPUTE_PGM_RSRC2:TGID_Y_EN: 0
; COMPUTE_PGM_RSRC2:TGID_Z_EN: 0
; COMPUTE_PGM_RSRC2:TIDIG_COMP_CNT: 0
	.section	.text._ZN9rocsparseL5csrsmILj512ELj64ELb1EiifEEv20rocsparse_operation_T3_S2_NS_24const_host_device_scalarIT4_EEPKT2_PKS2_PKS4_PS4_lPiSA_PS2_21rocsparse_index_base_20rocsparse_fill_mode_20rocsparse_diag_type_b,"axG",@progbits,_ZN9rocsparseL5csrsmILj512ELj64ELb1EiifEEv20rocsparse_operation_T3_S2_NS_24const_host_device_scalarIT4_EEPKT2_PKS2_PKS4_PS4_lPiSA_PS2_21rocsparse_index_base_20rocsparse_fill_mode_20rocsparse_diag_type_b,comdat
	.globl	_ZN9rocsparseL5csrsmILj512ELj64ELb1EiifEEv20rocsparse_operation_T3_S2_NS_24const_host_device_scalarIT4_EEPKT2_PKS2_PKS4_PS4_lPiSA_PS2_21rocsparse_index_base_20rocsparse_fill_mode_20rocsparse_diag_type_b ; -- Begin function _ZN9rocsparseL5csrsmILj512ELj64ELb1EiifEEv20rocsparse_operation_T3_S2_NS_24const_host_device_scalarIT4_EEPKT2_PKS2_PKS4_PS4_lPiSA_PS2_21rocsparse_index_base_20rocsparse_fill_mode_20rocsparse_diag_type_b
	.p2align	8
	.type	_ZN9rocsparseL5csrsmILj512ELj64ELb1EiifEEv20rocsparse_operation_T3_S2_NS_24const_host_device_scalarIT4_EEPKT2_PKS2_PKS4_PS4_lPiSA_PS2_21rocsparse_index_base_20rocsparse_fill_mode_20rocsparse_diag_type_b,@function
_ZN9rocsparseL5csrsmILj512ELj64ELb1EiifEEv20rocsparse_operation_T3_S2_NS_24const_host_device_scalarIT4_EEPKT2_PKS2_PKS4_PS4_lPiSA_PS2_21rocsparse_index_base_20rocsparse_fill_mode_20rocsparse_diag_type_b: ; @_ZN9rocsparseL5csrsmILj512ELj64ELb1EiifEEv20rocsparse_operation_T3_S2_NS_24const_host_device_scalarIT4_EEPKT2_PKS2_PKS4_PS4_lPiSA_PS2_21rocsparse_index_base_20rocsparse_fill_mode_20rocsparse_diag_type_b
; %bb.0:
	s_clause 0x2
	s_load_b128 s[4:7], s[0:1], 0x58
	s_load_b128 s[12:15], s[0:1], 0x10
	s_load_b64 s[2:3], s[0:1], 0x48
	s_wait_kmcnt 0x0
	s_bitcmp1_b32 s7, 0
	s_cselect_b32 s7, -1, 0
	s_delay_alu instid0(SALU_CYCLE_1)
	s_and_b32 vcc_lo, exec_lo, s7
	s_cbranch_vccnz .LBB7_2
; %bb.1:
	s_load_b32 s12, s[12:13], 0x0
.LBB7_2:
	s_nop 0
	s_load_b64 s[20:21], s[0:1], 0x4
	s_bfe_u32 s9, ttmp6, 0x4000c
	s_and_b32 s8, ttmp6, 15
	s_add_co_i32 s9, s9, 1
	s_getreg_b32 s11, hwreg(HW_REG_IB_STS2, 6, 4)
	s_mul_i32 s9, ttmp9, s9
	v_mov_b32_e32 v6, 0
	s_add_co_i32 s8, s8, s9
	s_wait_kmcnt 0x0
	s_cvt_f32_u32 s7, s20
	s_sub_co_i32 s10, 0, s20
	s_delay_alu instid0(SALU_CYCLE_2) | instskip(SKIP_1) | instid1(TRANS32_DEP_1)
	v_rcp_iflag_f32_e32 v1, s7
	v_nop
	v_readfirstlane_b32 s7, v1
	s_mul_f32 s7, s7, 0x4f7ffffe
	s_delay_alu instid0(SALU_CYCLE_3) | instskip(NEXT) | instid1(SALU_CYCLE_3)
	s_cvt_u32_f32 s7, s7
	s_mul_i32 s10, s10, s7
	s_delay_alu instid0(SALU_CYCLE_1) | instskip(NEXT) | instid1(SALU_CYCLE_1)
	s_mul_hi_u32 s10, s7, s10
	s_add_co_i32 s7, s7, s10
	s_cmp_eq_u32 s11, 0
	s_cselect_b32 s8, ttmp9, s8
	s_delay_alu instid0(SALU_CYCLE_1) | instskip(NEXT) | instid1(SALU_CYCLE_1)
	s_mul_hi_u32 s7, s8, s7
	s_mul_i32 s9, s7, s20
	s_add_co_i32 s10, s7, 1
	s_sub_co_i32 s9, s8, s9
	s_delay_alu instid0(SALU_CYCLE_1)
	s_sub_co_i32 s11, s9, s20
	s_cmp_ge_u32 s9, s20
	s_cselect_b32 s7, s10, s7
	s_cselect_b32 s9, s11, s9
	s_add_co_i32 s10, s7, 1
	s_cmp_ge_u32 s9, s20
	s_cselect_b32 s13, s10, s7
	s_delay_alu instid0(SALU_CYCLE_1) | instskip(SKIP_2) | instid1(SALU_CYCLE_1)
	s_mul_i32 s7, s13, s20
	v_lshl_or_b32 v2, s13, 9, v0
	s_sub_co_i32 s8, s8, s7
	s_ashr_i32 s9, s8, 31
	s_delay_alu instid0(VALU_DEP_1) | instskip(SKIP_1) | instid1(SALU_CYCLE_1)
	v_ashrrev_i32_e32 v3, 31, v2
	s_lshl_b64 s[8:9], s[8:9], 2
	s_add_nc_u64 s[2:3], s[2:3], s[8:9]
	s_load_b128 s[8:11], s[0:1], 0x30
	s_load_b32 s16, s[2:3], 0x0
	s_wait_kmcnt 0x0
	s_ashr_i32 s17, s16, 31
	s_delay_alu instid0(SALU_CYCLE_1) | instskip(NEXT) | instid1(SALU_CYCLE_1)
	s_lshl_b64 s[2:3], s[16:17], 2
	s_add_nc_u64 s[2:3], s[14:15], s[2:3]
	s_load_b64 s[18:19], s[0:1], 0x40
	s_load_b64 s[22:23], s[2:3], 0x0
	s_wait_xcnt 0x0
	v_cmp_gt_i32_e64 s2, s21, v2
	s_mul_u64 s[20:21], s[10:11], s[16:17]
	s_and_saveexec_b32 s3, s2
	s_cbranch_execz .LBB7_4
; %bb.3:
	v_add_nc_u64_e32 v[4:5], s[20:21], v[2:3]
	s_delay_alu instid0(VALU_DEP_1)
	v_lshl_add_u64 v[4:5], v[4:5], 2, s[8:9]
	global_load_b32 v1, v[4:5], off
	s_wait_loadcnt 0x0
	v_mul_f32_e32 v6, s12, v1
.LBB7_4:
	s_or_b32 exec_lo, exec_lo, s3
	v_lshl_add_u64 v[2:3], v[2:3], 2, s[8:9]
	v_mov_b32_e32 v9, 1.0
	v_cmp_eq_u32_e64 s3, 0, v0
	s_wait_kmcnt 0x0
	s_cmp_ge_i32 s22, s23
	s_cbranch_scc1 .LBB7_43
; %bb.5:
	s_clause 0x1
	s_load_b64 s[8:9], s[0:1], 0x50
	s_load_b128 s[12:15], s[0:1], 0x20
	v_dual_lshlrev_b32 v1, 2, v0 :: v_dual_mov_b32 v7, 1.0
	s_sub_co_i32 s17, s22, s4
	s_sub_co_i32 s26, s23, s4
	s_cmp_lg_u32 s6, 0
	s_delay_alu instid0(VALU_DEP_1)
	v_or_b32_e32 v4, 0x800, v1
	s_cselect_b32 s27, -1, 0
	s_wait_xcnt 0x0
	v_cmp_ne_u32_e64 s0, 0, v0
	s_add_co_i32 s28, s16, s4
	v_mov_b32_e32 v5, 0
	s_cmp_eq_u32 s6, 0
	s_mov_b32 s29, s17
	s_cselect_b32 s1, -1, 0
	s_sub_co_i32 s22, s29, s17
	s_delay_alu instid0(SALU_CYCLE_1) | instskip(NEXT) | instid1(SALU_CYCLE_1)
	s_and_b32 s22, s22, 0x1ff
	s_cmp_lg_u32 s22, 0
	s_cbranch_scc1 .LBB7_9
.LBB7_6:
	s_sub_co_i32 s23, s26, s29
	v_dual_mov_b32 v8, -1.0 :: v_dual_mov_b32 v9, -1
	v_cmp_gt_u32_e32 vcc_lo, s23, v0
	s_and_saveexec_b32 s23, vcc_lo
	s_cbranch_execz .LBB7_8
; %bb.7:
	v_add_nc_u32_e32 v9, s29, v0
	s_wait_kmcnt 0x0
	s_clause 0x1
	global_load_b32 v10, v9, s[12:13] scale_offset
	global_load_b32 v8, v9, s[14:15] scale_offset
	s_wait_loadcnt 0x1
	s_wait_xcnt 0x0
	v_subrev_nc_u32_e32 v9, s4, v10
.LBB7_8:
	s_or_b32 exec_lo, exec_lo, s23
	ds_store_b32 v1, v9
	s_wait_loadcnt 0x0
	ds_store_b32 v4, v8
.LBB7_9:                                ; =>This Loop Header: Depth=1
                                        ;     Child Loop BB7_41 Depth 2
                                        ;       Child Loop BB7_42 Depth 3
	s_lshl_b32 s22, s22, 2
	s_wait_dscnt 0x0
	v_mov_b32_e32 v8, s22
	s_barrier_signal -1
	s_barrier_wait -1
	ds_load_2addr_stride64_b32 v[8:9], v8 offset1:8
	s_wait_dscnt 0x0
	v_readfirstlane_b32 s22, v8
	v_cmp_neq_f32_e32 vcc_lo, 0, v9
	s_cmp_lg_u32 s22, s16
	s_cselect_b32 s23, -1, 0
	s_delay_alu instid0(SALU_CYCLE_1) | instskip(NEXT) | instid1(SALU_CYCLE_1)
	s_or_b32 s23, s27, s23
	s_or_b32 vcc_lo, vcc_lo, s23
	v_cndmask_b32_e32 v8, 1.0, v9, vcc_lo
	s_nor_b32 s24, s0, vcc_lo
	s_delay_alu instid0(SALU_CYCLE_1)
	s_and_saveexec_b32 s23, s24
	s_cbranch_execz .LBB7_13
; %bb.10:                               ;   in Loop: Header=BB7_9 Depth=1
	v_mbcnt_lo_u32_b32 v8, exec_lo, 0
	s_mov_b32 s24, exec_lo
	s_delay_alu instid0(VALU_DEP_1)
	v_cmpx_eq_u32_e32 0, v8
	s_cbranch_execz .LBB7_12
; %bb.11:                               ;   in Loop: Header=BB7_9 Depth=1
	v_mov_b32_e32 v8, s28
	s_wait_kmcnt 0x0
	global_atomic_min_i32 v5, v8, s[8:9] scope:SCOPE_DEV
.LBB7_12:                               ;   in Loop: Header=BB7_9 Depth=1
	s_wait_xcnt 0x0
	s_or_b32 exec_lo, exec_lo, s24
	v_mov_b32_e32 v8, 1.0
.LBB7_13:                               ;   in Loop: Header=BB7_9 Depth=1
	s_or_b32 exec_lo, exec_lo, s23
	s_mov_b32 s25, -1
	s_mov_b32 s23, 0
	s_cmp_lt_i32 s5, 1
	s_mov_b32 s24, 0
                                        ; implicit-def: $vgpr9
	s_cbranch_scc0 .LBB7_20
; %bb.14:                               ;   in Loop: Header=BB7_9 Depth=1
	s_and_b32 vcc_lo, exec_lo, s25
	s_mov_b32 s25, 4
	s_cbranch_vccnz .LBB7_25
.LBB7_15:                               ;   in Loop: Header=BB7_9 Depth=1
	v_mov_b32_e32 v10, v6
	s_and_b32 vcc_lo, exec_lo, s24
	s_cbranch_vccnz .LBB7_30
.LBB7_16:                               ;   in Loop: Header=BB7_9 Depth=1
	s_and_b32 vcc_lo, exec_lo, s23
	s_cbranch_vccnz .LBB7_35
.LBB7_17:                               ;   in Loop: Header=BB7_9 Depth=1
	s_mov_b32 s22, -1
	s_cmp_gt_i32 s25, 3
	s_mov_b32 s23, -1
	s_cbranch_scc0 .LBB7_36
.LBB7_18:                               ;   in Loop: Header=BB7_9 Depth=1
	s_and_not1_b32 vcc_lo, exec_lo, s23
	s_cbranch_vccz .LBB7_37
.LBB7_19:                               ;   in Loop: Header=BB7_9 Depth=1
	s_and_not1_b32 vcc_lo, exec_lo, s22
	s_cbranch_vccnz .LBB7_38
	s_branch .LBB7_44
.LBB7_20:                               ;   in Loop: Header=BB7_9 Depth=1
	s_cmp_eq_u32 s5, 1
	s_mov_b32 s24, -1
                                        ; implicit-def: $vgpr9
	s_cbranch_scc0 .LBB7_24
; %bb.21:                               ;   in Loop: Header=BB7_9 Depth=1
	v_mov_b32_e32 v9, v7
	s_cmp_ge_i32 s22, s16
	s_mov_b32 s24, 0
	s_cbranch_scc0 .LBB7_24
; %bb.22:                               ;   in Loop: Header=BB7_9 Depth=1
	s_cmp_eq_u32 s22, s16
	s_mov_b32 s24, -1
                                        ; implicit-def: $vgpr9
	s_cbranch_scc0 .LBB7_24
; %bb.23:                               ;   in Loop: Header=BB7_9 Depth=1
	v_div_scale_f32 v9, null, v8, v8, 1.0
	s_mov_b32 s24, 0
	v_rcp_f32_e32 v10, v9
	v_nop
	s_delay_alu instid0(TRANS32_DEP_1) | instskip(NEXT) | instid1(VALU_DEP_1)
	v_fma_f32 v11, -v9, v10, 1.0
	v_fmac_f32_e32 v10, v11, v10
	v_div_scale_f32 v11, vcc_lo, 1.0, v8, 1.0
	s_delay_alu instid0(VALU_DEP_1) | instskip(NEXT) | instid1(VALU_DEP_1)
	v_mul_f32_e32 v12, v11, v10
	v_fma_f32 v13, -v9, v12, v11
	s_delay_alu instid0(VALU_DEP_1) | instskip(NEXT) | instid1(VALU_DEP_1)
	v_fmac_f32_e32 v12, v13, v10
	v_fma_f32 v9, -v9, v12, v11
	s_delay_alu instid0(VALU_DEP_1) | instskip(NEXT) | instid1(VALU_DEP_1)
	v_div_fmas_f32 v9, v9, v10, v12
	v_div_fixup_f32 v9, v9, v8, 1.0
	s_delay_alu instid0(VALU_DEP_1)
	v_cndmask_b32_e64 v9, v7, v9, s1
.LBB7_24:                               ;   in Loop: Header=BB7_9 Depth=1
	s_mov_b32 s25, 4
	s_branch .LBB7_15
.LBB7_25:                               ;   in Loop: Header=BB7_9 Depth=1
	s_cmp_eq_u32 s5, 0
	s_cbranch_scc1 .LBB7_27
; %bb.26:                               ;   in Loop: Header=BB7_9 Depth=1
	s_mov_b32 s24, -1
	s_branch .LBB7_29
.LBB7_27:                               ;   in Loop: Header=BB7_9 Depth=1
	s_cmp_le_i32 s22, s16
	s_mov_b32 s24, 0
	s_cbranch_scc0 .LBB7_29
; %bb.28:                               ;   in Loop: Header=BB7_9 Depth=1
	s_cmp_lg_u32 s22, s16
	s_mov_b32 s23, -1
	s_cselect_b32 s24, -1, 0
.LBB7_29:                               ;   in Loop: Header=BB7_9 Depth=1
	v_mov_b32_e32 v9, v7
	s_mov_b32 s25, 2
	v_mov_b32_e32 v10, v6
	s_and_b32 vcc_lo, exec_lo, s24
	s_cbranch_vccz .LBB7_16
.LBB7_30:                               ;   in Loop: Header=BB7_9 Depth=1
	s_and_saveexec_b32 s23, s3
	s_cbranch_execz .LBB7_32
; %bb.31:                               ;   in Loop: Header=BB7_9 Depth=1
	s_add_co_i32 s24, s22, s7
	s_delay_alu instid0(SALU_CYCLE_1)
	v_mov_b32_e32 v9, s24
	global_load_b32 v9, v9, s[18:19] scale_offset scope:SCOPE_DEV
	s_wait_loadcnt 0x0
	v_cmp_ne_u32_e32 vcc_lo, 0, v9
	s_cbranch_vccz .LBB7_39
.LBB7_32:                               ;   in Loop: Header=BB7_9 Depth=1
	s_wait_xcnt 0x0
	s_or_b32 exec_lo, exec_lo, s23
	v_mov_b32_e32 v10, 0
	s_wait_storecnt 0x0
	s_barrier_signal -1
	s_barrier_wait -1
	global_inv scope:SCOPE_DEV
	s_and_saveexec_b32 s24, s2
	s_cbranch_execz .LBB7_34
; %bb.33:                               ;   in Loop: Header=BB7_9 Depth=1
	s_ashr_i32 s23, s22, 31
	s_delay_alu instid0(SALU_CYCLE_1) | instskip(NEXT) | instid1(SALU_CYCLE_1)
	s_mul_u64 s[22:23], s[10:11], s[22:23]
	v_lshl_add_u64 v[10:11], s[22:23], 2, v[2:3]
	global_load_b32 v9, v[10:11], off
	s_wait_loadcnt 0x0
	v_fma_f32 v10, -v8, v9, v6
.LBB7_34:                               ;   in Loop: Header=BB7_9 Depth=1
	s_or_b32 exec_lo, exec_lo, s24
	v_mov_b32_e32 v9, v7
	s_mov_b32 s25, 0
	s_branch .LBB7_17
.LBB7_35:                               ;   in Loop: Header=BB7_9 Depth=1
	v_div_scale_f32 v9, null, v8, v8, 1.0
	v_div_scale_f32 v12, vcc_lo, 1.0, v8, 1.0
	s_mov_b32 s25, 2
	v_rcp_f32_e32 v10, v9
	v_nop
	s_delay_alu instid0(TRANS32_DEP_1) | instskip(NEXT) | instid1(VALU_DEP_1)
	v_fma_f32 v11, -v9, v10, 1.0
	v_fmac_f32_e32 v10, v11, v10
	s_delay_alu instid0(VALU_DEP_1) | instskip(NEXT) | instid1(VALU_DEP_1)
	v_mul_f32_e32 v11, v12, v10
	v_fma_f32 v13, -v9, v11, v12
	s_delay_alu instid0(VALU_DEP_1) | instskip(NEXT) | instid1(VALU_DEP_1)
	v_fmac_f32_e32 v11, v13, v10
	v_fma_f32 v9, -v9, v11, v12
	s_delay_alu instid0(VALU_DEP_1) | instskip(SKIP_1) | instid1(VALU_DEP_2)
	v_div_fmas_f32 v9, v9, v10, v11
	v_mov_b32_e32 v10, v6
	v_div_fixup_f32 v8, v9, v8, 1.0
	s_delay_alu instid0(VALU_DEP_1)
	v_cndmask_b32_e64 v9, v7, v8, s1
	s_mov_b32 s22, -1
	s_cmp_gt_i32 s25, 3
	s_mov_b32 s23, -1
	s_cbranch_scc1 .LBB7_18
.LBB7_36:                               ;   in Loop: Header=BB7_9 Depth=1
	s_cmp_eq_u32 s25, 0
	s_cselect_b32 s23, -1, 0
	s_delay_alu instid0(SALU_CYCLE_1)
	s_and_not1_b32 vcc_lo, exec_lo, s23
	s_cbranch_vccnz .LBB7_19
.LBB7_37:                               ;   in Loop: Header=BB7_9 Depth=1
	s_add_co_i32 s29, s29, 1
	s_delay_alu instid0(SALU_CYCLE_1) | instskip(SKIP_1) | instid1(SALU_CYCLE_1)
	s_cmp_ge_i32 s29, s26
	s_cselect_b32 s22, -1, 0
	s_and_not1_b32 vcc_lo, exec_lo, s22
	s_cbranch_vccz .LBB7_44
.LBB7_38:                               ;   in Loop: Header=BB7_9 Depth=1
	v_dual_mov_b32 v6, v10 :: v_dual_mov_b32 v7, v9
	s_sub_co_i32 s22, s29, s17
	s_delay_alu instid0(SALU_CYCLE_1) | instskip(NEXT) | instid1(SALU_CYCLE_1)
	s_and_b32 s22, s22, 0x1ff
	s_cmp_lg_u32 s22, 0
	s_cbranch_scc1 .LBB7_9
	s_branch .LBB7_6
.LBB7_39:                               ;   in Loop: Header=BB7_9 Depth=1
	s_ashr_i32 s25, s24, 31
	s_mov_b32 s30, 0
	s_lshl_b64 s[24:25], s[24:25], 2
	s_delay_alu instid0(SALU_CYCLE_1)
	s_add_nc_u64 s[24:25], s[18:19], s[24:25]
	s_branch .LBB7_41
.LBB7_40:                               ;   in Loop: Header=BB7_41 Depth=2
	global_load_b32 v9, v5, s[24:25] scope:SCOPE_DEV
	s_cmp_lt_u32 s30, 0xf43
	s_cselect_b32 s31, -1, 0
	s_delay_alu instid0(SALU_CYCLE_1)
	s_cmp_lg_u32 s31, 0
	s_add_co_ci_u32 s30, s30, 0
	s_wait_loadcnt 0x0
	v_cmp_ne_u32_e32 vcc_lo, 0, v9
	s_cbranch_vccnz .LBB7_32
.LBB7_41:                               ;   Parent Loop BB7_9 Depth=1
                                        ; =>  This Loop Header: Depth=2
                                        ;       Child Loop BB7_42 Depth 3
	s_cmp_eq_u32 s30, 0
	s_mov_b32 s31, s30
	s_cbranch_scc1 .LBB7_40
.LBB7_42:                               ;   Parent Loop BB7_9 Depth=1
                                        ;     Parent Loop BB7_41 Depth=2
                                        ; =>    This Inner Loop Header: Depth=3
	s_add_co_i32 s31, s31, -1
	s_sleep 1
	s_cmp_eq_u32 s31, 0
	s_cbranch_scc0 .LBB7_42
	s_branch .LBB7_40
.LBB7_43:
	v_mov_b32_e32 v10, v6
.LBB7_44:
	s_and_saveexec_b32 s0, s2
	s_cbranch_execz .LBB7_46
; %bb.45:
	s_delay_alu instid0(VALU_DEP_1) | instskip(SKIP_3) | instid1(VALU_DEP_2)
	v_mul_f32_e32 v1, v9, v10
	s_cmp_eq_u32 s6, 0
	v_lshl_add_u64 v[2:3], s[20:21], 2, v[2:3]
	s_cselect_b32 vcc_lo, -1, 0
	v_cndmask_b32_e32 v1, v10, v1, vcc_lo
	global_store_b32 v[2:3], v1, off
.LBB7_46:
	s_wait_xcnt 0x0
	s_or_b32 exec_lo, exec_lo, s0
	global_wb scope:SCOPE_DEV
	s_wait_loadcnt 0x0
	s_wait_storecnt 0x0
	global_inv scope:SCOPE_DEV
	s_wait_loadcnt 0x0
	s_barrier_signal -1
	s_barrier_wait -1
	s_mov_b32 s0, exec_lo
	v_cmpx_eq_u32_e32 0, v0
	s_cbranch_execz .LBB7_48
; %bb.47:
	s_add_co_i32 s0, s16, s7
	s_delay_alu instid0(SALU_CYCLE_1)
	v_dual_mov_b32 v0, 1 :: v_dual_mov_b32 v1, s0
	global_store_b32 v1, v0, s[18:19] scale_offset scope:SCOPE_DEV
.LBB7_48:
	s_endpgm
	.section	.rodata,"a",@progbits
	.p2align	6, 0x0
	.amdhsa_kernel _ZN9rocsparseL5csrsmILj512ELj64ELb1EiifEEv20rocsparse_operation_T3_S2_NS_24const_host_device_scalarIT4_EEPKT2_PKS2_PKS4_PS4_lPiSA_PS2_21rocsparse_index_base_20rocsparse_fill_mode_20rocsparse_diag_type_b
		.amdhsa_group_segment_fixed_size 4096
		.amdhsa_private_segment_fixed_size 0
		.amdhsa_kernarg_size 104
		.amdhsa_user_sgpr_count 2
		.amdhsa_user_sgpr_dispatch_ptr 0
		.amdhsa_user_sgpr_queue_ptr 0
		.amdhsa_user_sgpr_kernarg_segment_ptr 1
		.amdhsa_user_sgpr_dispatch_id 0
		.amdhsa_user_sgpr_kernarg_preload_length 0
		.amdhsa_user_sgpr_kernarg_preload_offset 0
		.amdhsa_user_sgpr_private_segment_size 0
		.amdhsa_wavefront_size32 1
		.amdhsa_uses_dynamic_stack 0
		.amdhsa_enable_private_segment 0
		.amdhsa_system_sgpr_workgroup_id_x 1
		.amdhsa_system_sgpr_workgroup_id_y 0
		.amdhsa_system_sgpr_workgroup_id_z 0
		.amdhsa_system_sgpr_workgroup_info 0
		.amdhsa_system_vgpr_workitem_id 0
		.amdhsa_next_free_vgpr 14
		.amdhsa_next_free_sgpr 32
		.amdhsa_named_barrier_count 0
		.amdhsa_reserve_vcc 1
		.amdhsa_float_round_mode_32 0
		.amdhsa_float_round_mode_16_64 0
		.amdhsa_float_denorm_mode_32 3
		.amdhsa_float_denorm_mode_16_64 3
		.amdhsa_fp16_overflow 0
		.amdhsa_memory_ordered 1
		.amdhsa_forward_progress 1
		.amdhsa_inst_pref_size 14
		.amdhsa_round_robin_scheduling 0
		.amdhsa_exception_fp_ieee_invalid_op 0
		.amdhsa_exception_fp_denorm_src 0
		.amdhsa_exception_fp_ieee_div_zero 0
		.amdhsa_exception_fp_ieee_overflow 0
		.amdhsa_exception_fp_ieee_underflow 0
		.amdhsa_exception_fp_ieee_inexact 0
		.amdhsa_exception_int_div_zero 0
	.end_amdhsa_kernel
	.section	.text._ZN9rocsparseL5csrsmILj512ELj64ELb1EiifEEv20rocsparse_operation_T3_S2_NS_24const_host_device_scalarIT4_EEPKT2_PKS2_PKS4_PS4_lPiSA_PS2_21rocsparse_index_base_20rocsparse_fill_mode_20rocsparse_diag_type_b,"axG",@progbits,_ZN9rocsparseL5csrsmILj512ELj64ELb1EiifEEv20rocsparse_operation_T3_S2_NS_24const_host_device_scalarIT4_EEPKT2_PKS2_PKS4_PS4_lPiSA_PS2_21rocsparse_index_base_20rocsparse_fill_mode_20rocsparse_diag_type_b,comdat
.Lfunc_end7:
	.size	_ZN9rocsparseL5csrsmILj512ELj64ELb1EiifEEv20rocsparse_operation_T3_S2_NS_24const_host_device_scalarIT4_EEPKT2_PKS2_PKS4_PS4_lPiSA_PS2_21rocsparse_index_base_20rocsparse_fill_mode_20rocsparse_diag_type_b, .Lfunc_end7-_ZN9rocsparseL5csrsmILj512ELj64ELb1EiifEEv20rocsparse_operation_T3_S2_NS_24const_host_device_scalarIT4_EEPKT2_PKS2_PKS4_PS4_lPiSA_PS2_21rocsparse_index_base_20rocsparse_fill_mode_20rocsparse_diag_type_b
                                        ; -- End function
	.set _ZN9rocsparseL5csrsmILj512ELj64ELb1EiifEEv20rocsparse_operation_T3_S2_NS_24const_host_device_scalarIT4_EEPKT2_PKS2_PKS4_PS4_lPiSA_PS2_21rocsparse_index_base_20rocsparse_fill_mode_20rocsparse_diag_type_b.num_vgpr, 14
	.set _ZN9rocsparseL5csrsmILj512ELj64ELb1EiifEEv20rocsparse_operation_T3_S2_NS_24const_host_device_scalarIT4_EEPKT2_PKS2_PKS4_PS4_lPiSA_PS2_21rocsparse_index_base_20rocsparse_fill_mode_20rocsparse_diag_type_b.num_agpr, 0
	.set _ZN9rocsparseL5csrsmILj512ELj64ELb1EiifEEv20rocsparse_operation_T3_S2_NS_24const_host_device_scalarIT4_EEPKT2_PKS2_PKS4_PS4_lPiSA_PS2_21rocsparse_index_base_20rocsparse_fill_mode_20rocsparse_diag_type_b.numbered_sgpr, 32
	.set _ZN9rocsparseL5csrsmILj512ELj64ELb1EiifEEv20rocsparse_operation_T3_S2_NS_24const_host_device_scalarIT4_EEPKT2_PKS2_PKS4_PS4_lPiSA_PS2_21rocsparse_index_base_20rocsparse_fill_mode_20rocsparse_diag_type_b.num_named_barrier, 0
	.set _ZN9rocsparseL5csrsmILj512ELj64ELb1EiifEEv20rocsparse_operation_T3_S2_NS_24const_host_device_scalarIT4_EEPKT2_PKS2_PKS4_PS4_lPiSA_PS2_21rocsparse_index_base_20rocsparse_fill_mode_20rocsparse_diag_type_b.private_seg_size, 0
	.set _ZN9rocsparseL5csrsmILj512ELj64ELb1EiifEEv20rocsparse_operation_T3_S2_NS_24const_host_device_scalarIT4_EEPKT2_PKS2_PKS4_PS4_lPiSA_PS2_21rocsparse_index_base_20rocsparse_fill_mode_20rocsparse_diag_type_b.uses_vcc, 1
	.set _ZN9rocsparseL5csrsmILj512ELj64ELb1EiifEEv20rocsparse_operation_T3_S2_NS_24const_host_device_scalarIT4_EEPKT2_PKS2_PKS4_PS4_lPiSA_PS2_21rocsparse_index_base_20rocsparse_fill_mode_20rocsparse_diag_type_b.uses_flat_scratch, 0
	.set _ZN9rocsparseL5csrsmILj512ELj64ELb1EiifEEv20rocsparse_operation_T3_S2_NS_24const_host_device_scalarIT4_EEPKT2_PKS2_PKS4_PS4_lPiSA_PS2_21rocsparse_index_base_20rocsparse_fill_mode_20rocsparse_diag_type_b.has_dyn_sized_stack, 0
	.set _ZN9rocsparseL5csrsmILj512ELj64ELb1EiifEEv20rocsparse_operation_T3_S2_NS_24const_host_device_scalarIT4_EEPKT2_PKS2_PKS4_PS4_lPiSA_PS2_21rocsparse_index_base_20rocsparse_fill_mode_20rocsparse_diag_type_b.has_recursion, 0
	.set _ZN9rocsparseL5csrsmILj512ELj64ELb1EiifEEv20rocsparse_operation_T3_S2_NS_24const_host_device_scalarIT4_EEPKT2_PKS2_PKS4_PS4_lPiSA_PS2_21rocsparse_index_base_20rocsparse_fill_mode_20rocsparse_diag_type_b.has_indirect_call, 0
	.section	.AMDGPU.csdata,"",@progbits
; Kernel info:
; codeLenInByte = 1676
; TotalNumSgprs: 34
; NumVgprs: 14
; ScratchSize: 0
; MemoryBound: 0
; FloatMode: 240
; IeeeMode: 1
; LDSByteSize: 4096 bytes/workgroup (compile time only)
; SGPRBlocks: 0
; VGPRBlocks: 0
; NumSGPRsForWavesPerEU: 34
; NumVGPRsForWavesPerEU: 14
; NamedBarCnt: 0
; Occupancy: 16
; WaveLimiterHint : 1
; COMPUTE_PGM_RSRC2:SCRATCH_EN: 0
; COMPUTE_PGM_RSRC2:USER_SGPR: 2
; COMPUTE_PGM_RSRC2:TRAP_HANDLER: 0
; COMPUTE_PGM_RSRC2:TGID_X_EN: 1
; COMPUTE_PGM_RSRC2:TGID_Y_EN: 0
; COMPUTE_PGM_RSRC2:TGID_Z_EN: 0
; COMPUTE_PGM_RSRC2:TIDIG_COMP_CNT: 0
	.section	.text._ZN9rocsparseL5csrsmILj512ELj64ELb0EiifEEv20rocsparse_operation_T3_S2_NS_24const_host_device_scalarIT4_EEPKT2_PKS2_PKS4_PS4_lPiSA_PS2_21rocsparse_index_base_20rocsparse_fill_mode_20rocsparse_diag_type_b,"axG",@progbits,_ZN9rocsparseL5csrsmILj512ELj64ELb0EiifEEv20rocsparse_operation_T3_S2_NS_24const_host_device_scalarIT4_EEPKT2_PKS2_PKS4_PS4_lPiSA_PS2_21rocsparse_index_base_20rocsparse_fill_mode_20rocsparse_diag_type_b,comdat
	.globl	_ZN9rocsparseL5csrsmILj512ELj64ELb0EiifEEv20rocsparse_operation_T3_S2_NS_24const_host_device_scalarIT4_EEPKT2_PKS2_PKS4_PS4_lPiSA_PS2_21rocsparse_index_base_20rocsparse_fill_mode_20rocsparse_diag_type_b ; -- Begin function _ZN9rocsparseL5csrsmILj512ELj64ELb0EiifEEv20rocsparse_operation_T3_S2_NS_24const_host_device_scalarIT4_EEPKT2_PKS2_PKS4_PS4_lPiSA_PS2_21rocsparse_index_base_20rocsparse_fill_mode_20rocsparse_diag_type_b
	.p2align	8
	.type	_ZN9rocsparseL5csrsmILj512ELj64ELb0EiifEEv20rocsparse_operation_T3_S2_NS_24const_host_device_scalarIT4_EEPKT2_PKS2_PKS4_PS4_lPiSA_PS2_21rocsparse_index_base_20rocsparse_fill_mode_20rocsparse_diag_type_b,@function
_ZN9rocsparseL5csrsmILj512ELj64ELb0EiifEEv20rocsparse_operation_T3_S2_NS_24const_host_device_scalarIT4_EEPKT2_PKS2_PKS4_PS4_lPiSA_PS2_21rocsparse_index_base_20rocsparse_fill_mode_20rocsparse_diag_type_b: ; @_ZN9rocsparseL5csrsmILj512ELj64ELb0EiifEEv20rocsparse_operation_T3_S2_NS_24const_host_device_scalarIT4_EEPKT2_PKS2_PKS4_PS4_lPiSA_PS2_21rocsparse_index_base_20rocsparse_fill_mode_20rocsparse_diag_type_b
; %bb.0:
	s_clause 0x2
	s_load_b128 s[4:7], s[0:1], 0x58
	s_load_b128 s[12:15], s[0:1], 0x10
	s_load_b64 s[2:3], s[0:1], 0x48
	s_wait_kmcnt 0x0
	s_bitcmp1_b32 s7, 0
	s_cselect_b32 s7, -1, 0
	s_delay_alu instid0(SALU_CYCLE_1)
	s_and_b32 vcc_lo, exec_lo, s7
	s_cbranch_vccnz .LBB8_2
; %bb.1:
	s_load_b32 s12, s[12:13], 0x0
.LBB8_2:
	s_nop 0
	s_load_b64 s[20:21], s[0:1], 0x4
	s_bfe_u32 s9, ttmp6, 0x4000c
	s_and_b32 s8, ttmp6, 15
	s_add_co_i32 s9, s9, 1
	s_getreg_b32 s11, hwreg(HW_REG_IB_STS2, 6, 4)
	s_mul_i32 s9, ttmp9, s9
	v_mov_b32_e32 v6, 0
	s_add_co_i32 s8, s8, s9
	s_wait_kmcnt 0x0
	s_cvt_f32_u32 s7, s20
	s_sub_co_i32 s10, 0, s20
	s_delay_alu instid0(SALU_CYCLE_2) | instskip(SKIP_1) | instid1(TRANS32_DEP_1)
	v_rcp_iflag_f32_e32 v1, s7
	v_nop
	v_readfirstlane_b32 s7, v1
	s_mul_f32 s7, s7, 0x4f7ffffe
	s_delay_alu instid0(SALU_CYCLE_3) | instskip(NEXT) | instid1(SALU_CYCLE_3)
	s_cvt_u32_f32 s7, s7
	s_mul_i32 s10, s10, s7
	s_delay_alu instid0(SALU_CYCLE_1) | instskip(NEXT) | instid1(SALU_CYCLE_1)
	s_mul_hi_u32 s10, s7, s10
	s_add_co_i32 s7, s7, s10
	s_cmp_eq_u32 s11, 0
	s_cselect_b32 s8, ttmp9, s8
	s_delay_alu instid0(SALU_CYCLE_1) | instskip(NEXT) | instid1(SALU_CYCLE_1)
	s_mul_hi_u32 s7, s8, s7
	s_mul_i32 s9, s7, s20
	s_add_co_i32 s10, s7, 1
	s_sub_co_i32 s9, s8, s9
	s_delay_alu instid0(SALU_CYCLE_1)
	s_sub_co_i32 s11, s9, s20
	s_cmp_ge_u32 s9, s20
	s_cselect_b32 s7, s10, s7
	s_cselect_b32 s9, s11, s9
	s_add_co_i32 s10, s7, 1
	s_cmp_ge_u32 s9, s20
	s_cselect_b32 s13, s10, s7
	s_delay_alu instid0(SALU_CYCLE_1) | instskip(SKIP_2) | instid1(SALU_CYCLE_1)
	s_mul_i32 s7, s13, s20
	v_lshl_or_b32 v2, s13, 9, v0
	s_sub_co_i32 s8, s8, s7
	s_ashr_i32 s9, s8, 31
	s_delay_alu instid0(VALU_DEP_1) | instskip(SKIP_1) | instid1(SALU_CYCLE_1)
	v_ashrrev_i32_e32 v3, 31, v2
	s_lshl_b64 s[8:9], s[8:9], 2
	s_add_nc_u64 s[2:3], s[2:3], s[8:9]
	s_load_b128 s[8:11], s[0:1], 0x30
	s_load_b32 s16, s[2:3], 0x0
	s_wait_kmcnt 0x0
	s_ashr_i32 s17, s16, 31
	s_delay_alu instid0(SALU_CYCLE_1) | instskip(NEXT) | instid1(SALU_CYCLE_1)
	s_lshl_b64 s[2:3], s[16:17], 2
	s_add_nc_u64 s[2:3], s[14:15], s[2:3]
	s_load_b64 s[18:19], s[0:1], 0x40
	s_load_b64 s[22:23], s[2:3], 0x0
	s_wait_xcnt 0x0
	v_cmp_gt_i32_e64 s2, s21, v2
	s_mul_u64 s[20:21], s[10:11], s[16:17]
	s_and_saveexec_b32 s3, s2
	s_cbranch_execz .LBB8_4
; %bb.3:
	v_add_nc_u64_e32 v[4:5], s[20:21], v[2:3]
	s_delay_alu instid0(VALU_DEP_1)
	v_lshl_add_u64 v[4:5], v[4:5], 2, s[8:9]
	global_load_b32 v1, v[4:5], off
	s_wait_loadcnt 0x0
	v_mul_f32_e32 v6, s12, v1
.LBB8_4:
	s_or_b32 exec_lo, exec_lo, s3
	v_lshl_add_u64 v[2:3], v[2:3], 2, s[8:9]
	v_mov_b32_e32 v9, 1.0
	v_cmp_eq_u32_e64 s3, 0, v0
	s_wait_kmcnt 0x0
	s_cmp_ge_i32 s22, s23
	s_cbranch_scc1 .LBB8_41
; %bb.5:
	s_clause 0x1
	s_load_b64 s[8:9], s[0:1], 0x50
	s_load_b128 s[12:15], s[0:1], 0x20
	v_dual_lshlrev_b32 v1, 2, v0 :: v_dual_mov_b32 v7, 1.0
	s_sub_co_i32 s17, s22, s4
	s_sub_co_i32 s26, s23, s4
	s_cmp_lg_u32 s6, 0
	s_delay_alu instid0(VALU_DEP_1)
	v_or_b32_e32 v4, 0x800, v1
	s_cselect_b32 s27, -1, 0
	s_wait_xcnt 0x0
	v_cmp_ne_u32_e64 s0, 0, v0
	s_add_co_i32 s28, s16, s4
	v_mov_b32_e32 v5, 0
	s_cmp_eq_u32 s6, 0
	s_mov_b32 s29, s17
	s_cselect_b32 s1, -1, 0
	s_sub_co_i32 s22, s29, s17
	s_delay_alu instid0(SALU_CYCLE_1) | instskip(NEXT) | instid1(SALU_CYCLE_1)
	s_and_b32 s22, s22, 0x1ff
	s_cmp_lg_u32 s22, 0
	s_cbranch_scc1 .LBB8_9
.LBB8_6:
	s_sub_co_i32 s23, s26, s29
	v_dual_mov_b32 v8, -1.0 :: v_dual_mov_b32 v9, -1
	v_cmp_gt_u32_e32 vcc_lo, s23, v0
	s_and_saveexec_b32 s23, vcc_lo
	s_cbranch_execz .LBB8_8
; %bb.7:
	v_add_nc_u32_e32 v9, s29, v0
	s_wait_kmcnt 0x0
	s_clause 0x1
	global_load_b32 v10, v9, s[12:13] scale_offset
	global_load_b32 v8, v9, s[14:15] scale_offset
	s_wait_loadcnt 0x1
	s_wait_xcnt 0x0
	v_subrev_nc_u32_e32 v9, s4, v10
.LBB8_8:
	s_or_b32 exec_lo, exec_lo, s23
	ds_store_b32 v1, v9
	s_wait_loadcnt 0x0
	ds_store_b32 v4, v8
.LBB8_9:                                ; =>This Loop Header: Depth=1
                                        ;     Child Loop BB8_33 Depth 2
	s_lshl_b32 s22, s22, 2
	s_wait_dscnt 0x0
	v_mov_b32_e32 v8, s22
	s_barrier_signal -1
	s_barrier_wait -1
	ds_load_2addr_stride64_b32 v[8:9], v8 offset1:8
	s_wait_dscnt 0x0
	v_readfirstlane_b32 s22, v8
	v_cmp_neq_f32_e32 vcc_lo, 0, v9
	s_cmp_lg_u32 s22, s16
	s_cselect_b32 s23, -1, 0
	s_delay_alu instid0(SALU_CYCLE_1) | instskip(NEXT) | instid1(SALU_CYCLE_1)
	s_or_b32 s23, s27, s23
	s_or_b32 vcc_lo, vcc_lo, s23
	v_cndmask_b32_e32 v8, 1.0, v9, vcc_lo
	s_nor_b32 s24, s0, vcc_lo
	s_delay_alu instid0(SALU_CYCLE_1)
	s_and_saveexec_b32 s23, s24
	s_cbranch_execz .LBB8_13
; %bb.10:                               ;   in Loop: Header=BB8_9 Depth=1
	v_mbcnt_lo_u32_b32 v8, exec_lo, 0
	s_mov_b32 s24, exec_lo
	s_delay_alu instid0(VALU_DEP_1)
	v_cmpx_eq_u32_e32 0, v8
	s_cbranch_execz .LBB8_12
; %bb.11:                               ;   in Loop: Header=BB8_9 Depth=1
	v_mov_b32_e32 v8, s28
	s_wait_kmcnt 0x0
	global_atomic_min_i32 v5, v8, s[8:9] scope:SCOPE_DEV
.LBB8_12:                               ;   in Loop: Header=BB8_9 Depth=1
	s_wait_xcnt 0x0
	s_or_b32 exec_lo, exec_lo, s24
	v_mov_b32_e32 v8, 1.0
.LBB8_13:                               ;   in Loop: Header=BB8_9 Depth=1
	s_or_b32 exec_lo, exec_lo, s23
	s_mov_b32 s25, -1
	s_mov_b32 s23, 0
	s_cmp_lt_i32 s5, 1
	s_mov_b32 s24, 0
                                        ; implicit-def: $vgpr9
	s_cbranch_scc0 .LBB8_20
; %bb.14:                               ;   in Loop: Header=BB8_9 Depth=1
	s_and_b32 vcc_lo, exec_lo, s25
	s_mov_b32 s25, 4
	s_cbranch_vccnz .LBB8_25
.LBB8_15:                               ;   in Loop: Header=BB8_9 Depth=1
	v_mov_b32_e32 v10, v6
	s_and_b32 vcc_lo, exec_lo, s24
	s_cbranch_vccnz .LBB8_30
.LBB8_16:                               ;   in Loop: Header=BB8_9 Depth=1
	s_and_b32 vcc_lo, exec_lo, s23
	s_cbranch_vccnz .LBB8_37
.LBB8_17:                               ;   in Loop: Header=BB8_9 Depth=1
	s_mov_b32 s22, -1
	s_cmp_gt_i32 s25, 3
	s_mov_b32 s23, -1
	s_cbranch_scc0 .LBB8_38
.LBB8_18:                               ;   in Loop: Header=BB8_9 Depth=1
	s_and_not1_b32 vcc_lo, exec_lo, s23
	s_cbranch_vccz .LBB8_39
.LBB8_19:                               ;   in Loop: Header=BB8_9 Depth=1
	s_and_not1_b32 vcc_lo, exec_lo, s22
	s_cbranch_vccnz .LBB8_40
	s_branch .LBB8_42
.LBB8_20:                               ;   in Loop: Header=BB8_9 Depth=1
	s_cmp_eq_u32 s5, 1
	s_mov_b32 s24, -1
                                        ; implicit-def: $vgpr9
	s_cbranch_scc0 .LBB8_24
; %bb.21:                               ;   in Loop: Header=BB8_9 Depth=1
	v_mov_b32_e32 v9, v7
	s_cmp_ge_i32 s22, s16
	s_mov_b32 s24, 0
	s_cbranch_scc0 .LBB8_24
; %bb.22:                               ;   in Loop: Header=BB8_9 Depth=1
	s_cmp_eq_u32 s22, s16
	s_mov_b32 s24, -1
                                        ; implicit-def: $vgpr9
	s_cbranch_scc0 .LBB8_24
; %bb.23:                               ;   in Loop: Header=BB8_9 Depth=1
	v_div_scale_f32 v9, null, v8, v8, 1.0
	s_mov_b32 s24, 0
	v_rcp_f32_e32 v10, v9
	v_nop
	s_delay_alu instid0(TRANS32_DEP_1) | instskip(NEXT) | instid1(VALU_DEP_1)
	v_fma_f32 v11, -v9, v10, 1.0
	v_fmac_f32_e32 v10, v11, v10
	v_div_scale_f32 v11, vcc_lo, 1.0, v8, 1.0
	s_delay_alu instid0(VALU_DEP_1) | instskip(NEXT) | instid1(VALU_DEP_1)
	v_mul_f32_e32 v12, v11, v10
	v_fma_f32 v13, -v9, v12, v11
	s_delay_alu instid0(VALU_DEP_1) | instskip(NEXT) | instid1(VALU_DEP_1)
	v_fmac_f32_e32 v12, v13, v10
	v_fma_f32 v9, -v9, v12, v11
	s_delay_alu instid0(VALU_DEP_1) | instskip(NEXT) | instid1(VALU_DEP_1)
	v_div_fmas_f32 v9, v9, v10, v12
	v_div_fixup_f32 v9, v9, v8, 1.0
	s_delay_alu instid0(VALU_DEP_1)
	v_cndmask_b32_e64 v9, v7, v9, s1
.LBB8_24:                               ;   in Loop: Header=BB8_9 Depth=1
	s_mov_b32 s25, 4
	s_branch .LBB8_15
.LBB8_25:                               ;   in Loop: Header=BB8_9 Depth=1
	s_cmp_eq_u32 s5, 0
	s_cbranch_scc1 .LBB8_27
; %bb.26:                               ;   in Loop: Header=BB8_9 Depth=1
	s_mov_b32 s24, -1
	s_branch .LBB8_29
.LBB8_27:                               ;   in Loop: Header=BB8_9 Depth=1
	s_cmp_le_i32 s22, s16
	s_mov_b32 s24, 0
	s_cbranch_scc0 .LBB8_29
; %bb.28:                               ;   in Loop: Header=BB8_9 Depth=1
	s_cmp_lg_u32 s22, s16
	s_mov_b32 s23, -1
	s_cselect_b32 s24, -1, 0
.LBB8_29:                               ;   in Loop: Header=BB8_9 Depth=1
	v_mov_b32_e32 v9, v7
	s_mov_b32 s25, 2
	v_mov_b32_e32 v10, v6
	s_and_b32 vcc_lo, exec_lo, s24
	s_cbranch_vccz .LBB8_16
.LBB8_30:                               ;   in Loop: Header=BB8_9 Depth=1
	s_and_saveexec_b32 s23, s3
	s_cbranch_execz .LBB8_34
; %bb.31:                               ;   in Loop: Header=BB8_9 Depth=1
	s_add_co_i32 s24, s22, s7
	s_delay_alu instid0(SALU_CYCLE_1)
	v_mov_b32_e32 v9, s24
	global_load_b32 v9, v9, s[18:19] scale_offset scope:SCOPE_DEV
	s_wait_loadcnt 0x0
	v_cmp_ne_u32_e32 vcc_lo, 0, v9
	s_cbranch_vccnz .LBB8_34
; %bb.32:                               ;   in Loop: Header=BB8_9 Depth=1
	s_ashr_i32 s25, s24, 31
	s_delay_alu instid0(SALU_CYCLE_1) | instskip(NEXT) | instid1(SALU_CYCLE_1)
	s_lshl_b64 s[24:25], s[24:25], 2
	s_add_nc_u64 s[24:25], s[18:19], s[24:25]
.LBB8_33:                               ;   Parent Loop BB8_9 Depth=1
                                        ; =>  This Inner Loop Header: Depth=2
	global_load_b32 v9, v5, s[24:25] scope:SCOPE_DEV
	s_wait_loadcnt 0x0
	v_cmp_eq_u32_e32 vcc_lo, 0, v9
	s_cbranch_vccnz .LBB8_33
.LBB8_34:                               ;   in Loop: Header=BB8_9 Depth=1
	s_wait_xcnt 0x0
	s_or_b32 exec_lo, exec_lo, s23
	v_mov_b32_e32 v10, 0
	s_wait_storecnt 0x0
	s_barrier_signal -1
	s_barrier_wait -1
	global_inv scope:SCOPE_DEV
	s_and_saveexec_b32 s24, s2
	s_cbranch_execz .LBB8_36
; %bb.35:                               ;   in Loop: Header=BB8_9 Depth=1
	s_ashr_i32 s23, s22, 31
	s_delay_alu instid0(SALU_CYCLE_1) | instskip(NEXT) | instid1(SALU_CYCLE_1)
	s_mul_u64 s[22:23], s[10:11], s[22:23]
	v_lshl_add_u64 v[10:11], s[22:23], 2, v[2:3]
	global_load_b32 v9, v[10:11], off
	s_wait_loadcnt 0x0
	v_fma_f32 v10, -v8, v9, v6
.LBB8_36:                               ;   in Loop: Header=BB8_9 Depth=1
	s_or_b32 exec_lo, exec_lo, s24
	v_mov_b32_e32 v9, v7
	s_mov_b32 s25, 0
	s_branch .LBB8_17
.LBB8_37:                               ;   in Loop: Header=BB8_9 Depth=1
	v_div_scale_f32 v9, null, v8, v8, 1.0
	v_div_scale_f32 v12, vcc_lo, 1.0, v8, 1.0
	s_mov_b32 s25, 2
	v_rcp_f32_e32 v10, v9
	v_nop
	s_delay_alu instid0(TRANS32_DEP_1) | instskip(NEXT) | instid1(VALU_DEP_1)
	v_fma_f32 v11, -v9, v10, 1.0
	v_fmac_f32_e32 v10, v11, v10
	s_delay_alu instid0(VALU_DEP_1) | instskip(NEXT) | instid1(VALU_DEP_1)
	v_mul_f32_e32 v11, v12, v10
	v_fma_f32 v13, -v9, v11, v12
	s_delay_alu instid0(VALU_DEP_1) | instskip(NEXT) | instid1(VALU_DEP_1)
	v_fmac_f32_e32 v11, v13, v10
	v_fma_f32 v9, -v9, v11, v12
	s_delay_alu instid0(VALU_DEP_1) | instskip(SKIP_1) | instid1(VALU_DEP_2)
	v_div_fmas_f32 v9, v9, v10, v11
	v_mov_b32_e32 v10, v6
	v_div_fixup_f32 v8, v9, v8, 1.0
	s_delay_alu instid0(VALU_DEP_1)
	v_cndmask_b32_e64 v9, v7, v8, s1
	s_mov_b32 s22, -1
	s_cmp_gt_i32 s25, 3
	s_mov_b32 s23, -1
	s_cbranch_scc1 .LBB8_18
.LBB8_38:                               ;   in Loop: Header=BB8_9 Depth=1
	s_cmp_eq_u32 s25, 0
	s_cselect_b32 s23, -1, 0
	s_delay_alu instid0(SALU_CYCLE_1)
	s_and_not1_b32 vcc_lo, exec_lo, s23
	s_cbranch_vccnz .LBB8_19
.LBB8_39:                               ;   in Loop: Header=BB8_9 Depth=1
	s_add_co_i32 s29, s29, 1
	s_delay_alu instid0(SALU_CYCLE_1) | instskip(SKIP_1) | instid1(SALU_CYCLE_1)
	s_cmp_ge_i32 s29, s26
	s_cselect_b32 s22, -1, 0
	s_and_not1_b32 vcc_lo, exec_lo, s22
	s_cbranch_vccz .LBB8_42
.LBB8_40:                               ;   in Loop: Header=BB8_9 Depth=1
	v_dual_mov_b32 v6, v10 :: v_dual_mov_b32 v7, v9
	s_sub_co_i32 s22, s29, s17
	s_delay_alu instid0(SALU_CYCLE_1) | instskip(NEXT) | instid1(SALU_CYCLE_1)
	s_and_b32 s22, s22, 0x1ff
	s_cmp_lg_u32 s22, 0
	s_cbranch_scc1 .LBB8_9
	s_branch .LBB8_6
.LBB8_41:
	v_mov_b32_e32 v10, v6
.LBB8_42:
	s_and_saveexec_b32 s0, s2
	s_cbranch_execz .LBB8_44
; %bb.43:
	s_delay_alu instid0(VALU_DEP_1) | instskip(SKIP_3) | instid1(VALU_DEP_2)
	v_mul_f32_e32 v1, v9, v10
	s_cmp_eq_u32 s6, 0
	v_lshl_add_u64 v[2:3], s[20:21], 2, v[2:3]
	s_cselect_b32 vcc_lo, -1, 0
	v_cndmask_b32_e32 v1, v10, v1, vcc_lo
	global_store_b32 v[2:3], v1, off
.LBB8_44:
	s_wait_xcnt 0x0
	s_or_b32 exec_lo, exec_lo, s0
	global_wb scope:SCOPE_DEV
	s_wait_loadcnt 0x0
	s_wait_storecnt 0x0
	global_inv scope:SCOPE_DEV
	s_wait_loadcnt 0x0
	s_barrier_signal -1
	s_barrier_wait -1
	s_mov_b32 s0, exec_lo
	v_cmpx_eq_u32_e32 0, v0
	s_cbranch_execz .LBB8_46
; %bb.45:
	s_add_co_i32 s0, s16, s7
	s_delay_alu instid0(SALU_CYCLE_1)
	v_dual_mov_b32 v0, 1 :: v_dual_mov_b32 v1, s0
	global_store_b32 v1, v0, s[18:19] scale_offset scope:SCOPE_DEV
.LBB8_46:
	s_endpgm
	.section	.rodata,"a",@progbits
	.p2align	6, 0x0
	.amdhsa_kernel _ZN9rocsparseL5csrsmILj512ELj64ELb0EiifEEv20rocsparse_operation_T3_S2_NS_24const_host_device_scalarIT4_EEPKT2_PKS2_PKS4_PS4_lPiSA_PS2_21rocsparse_index_base_20rocsparse_fill_mode_20rocsparse_diag_type_b
		.amdhsa_group_segment_fixed_size 4096
		.amdhsa_private_segment_fixed_size 0
		.amdhsa_kernarg_size 104
		.amdhsa_user_sgpr_count 2
		.amdhsa_user_sgpr_dispatch_ptr 0
		.amdhsa_user_sgpr_queue_ptr 0
		.amdhsa_user_sgpr_kernarg_segment_ptr 1
		.amdhsa_user_sgpr_dispatch_id 0
		.amdhsa_user_sgpr_kernarg_preload_length 0
		.amdhsa_user_sgpr_kernarg_preload_offset 0
		.amdhsa_user_sgpr_private_segment_size 0
		.amdhsa_wavefront_size32 1
		.amdhsa_uses_dynamic_stack 0
		.amdhsa_enable_private_segment 0
		.amdhsa_system_sgpr_workgroup_id_x 1
		.amdhsa_system_sgpr_workgroup_id_y 0
		.amdhsa_system_sgpr_workgroup_id_z 0
		.amdhsa_system_sgpr_workgroup_info 0
		.amdhsa_system_vgpr_workitem_id 0
		.amdhsa_next_free_vgpr 14
		.amdhsa_next_free_sgpr 30
		.amdhsa_named_barrier_count 0
		.amdhsa_reserve_vcc 1
		.amdhsa_float_round_mode_32 0
		.amdhsa_float_round_mode_16_64 0
		.amdhsa_float_denorm_mode_32 3
		.amdhsa_float_denorm_mode_16_64 3
		.amdhsa_fp16_overflow 0
		.amdhsa_memory_ordered 1
		.amdhsa_forward_progress 1
		.amdhsa_inst_pref_size 13
		.amdhsa_round_robin_scheduling 0
		.amdhsa_exception_fp_ieee_invalid_op 0
		.amdhsa_exception_fp_denorm_src 0
		.amdhsa_exception_fp_ieee_div_zero 0
		.amdhsa_exception_fp_ieee_overflow 0
		.amdhsa_exception_fp_ieee_underflow 0
		.amdhsa_exception_fp_ieee_inexact 0
		.amdhsa_exception_int_div_zero 0
	.end_amdhsa_kernel
	.section	.text._ZN9rocsparseL5csrsmILj512ELj64ELb0EiifEEv20rocsparse_operation_T3_S2_NS_24const_host_device_scalarIT4_EEPKT2_PKS2_PKS4_PS4_lPiSA_PS2_21rocsparse_index_base_20rocsparse_fill_mode_20rocsparse_diag_type_b,"axG",@progbits,_ZN9rocsparseL5csrsmILj512ELj64ELb0EiifEEv20rocsparse_operation_T3_S2_NS_24const_host_device_scalarIT4_EEPKT2_PKS2_PKS4_PS4_lPiSA_PS2_21rocsparse_index_base_20rocsparse_fill_mode_20rocsparse_diag_type_b,comdat
.Lfunc_end8:
	.size	_ZN9rocsparseL5csrsmILj512ELj64ELb0EiifEEv20rocsparse_operation_T3_S2_NS_24const_host_device_scalarIT4_EEPKT2_PKS2_PKS4_PS4_lPiSA_PS2_21rocsparse_index_base_20rocsparse_fill_mode_20rocsparse_diag_type_b, .Lfunc_end8-_ZN9rocsparseL5csrsmILj512ELj64ELb0EiifEEv20rocsparse_operation_T3_S2_NS_24const_host_device_scalarIT4_EEPKT2_PKS2_PKS4_PS4_lPiSA_PS2_21rocsparse_index_base_20rocsparse_fill_mode_20rocsparse_diag_type_b
                                        ; -- End function
	.set _ZN9rocsparseL5csrsmILj512ELj64ELb0EiifEEv20rocsparse_operation_T3_S2_NS_24const_host_device_scalarIT4_EEPKT2_PKS2_PKS4_PS4_lPiSA_PS2_21rocsparse_index_base_20rocsparse_fill_mode_20rocsparse_diag_type_b.num_vgpr, 14
	.set _ZN9rocsparseL5csrsmILj512ELj64ELb0EiifEEv20rocsparse_operation_T3_S2_NS_24const_host_device_scalarIT4_EEPKT2_PKS2_PKS4_PS4_lPiSA_PS2_21rocsparse_index_base_20rocsparse_fill_mode_20rocsparse_diag_type_b.num_agpr, 0
	.set _ZN9rocsparseL5csrsmILj512ELj64ELb0EiifEEv20rocsparse_operation_T3_S2_NS_24const_host_device_scalarIT4_EEPKT2_PKS2_PKS4_PS4_lPiSA_PS2_21rocsparse_index_base_20rocsparse_fill_mode_20rocsparse_diag_type_b.numbered_sgpr, 30
	.set _ZN9rocsparseL5csrsmILj512ELj64ELb0EiifEEv20rocsparse_operation_T3_S2_NS_24const_host_device_scalarIT4_EEPKT2_PKS2_PKS4_PS4_lPiSA_PS2_21rocsparse_index_base_20rocsparse_fill_mode_20rocsparse_diag_type_b.num_named_barrier, 0
	.set _ZN9rocsparseL5csrsmILj512ELj64ELb0EiifEEv20rocsparse_operation_T3_S2_NS_24const_host_device_scalarIT4_EEPKT2_PKS2_PKS4_PS4_lPiSA_PS2_21rocsparse_index_base_20rocsparse_fill_mode_20rocsparse_diag_type_b.private_seg_size, 0
	.set _ZN9rocsparseL5csrsmILj512ELj64ELb0EiifEEv20rocsparse_operation_T3_S2_NS_24const_host_device_scalarIT4_EEPKT2_PKS2_PKS4_PS4_lPiSA_PS2_21rocsparse_index_base_20rocsparse_fill_mode_20rocsparse_diag_type_b.uses_vcc, 1
	.set _ZN9rocsparseL5csrsmILj512ELj64ELb0EiifEEv20rocsparse_operation_T3_S2_NS_24const_host_device_scalarIT4_EEPKT2_PKS2_PKS4_PS4_lPiSA_PS2_21rocsparse_index_base_20rocsparse_fill_mode_20rocsparse_diag_type_b.uses_flat_scratch, 0
	.set _ZN9rocsparseL5csrsmILj512ELj64ELb0EiifEEv20rocsparse_operation_T3_S2_NS_24const_host_device_scalarIT4_EEPKT2_PKS2_PKS4_PS4_lPiSA_PS2_21rocsparse_index_base_20rocsparse_fill_mode_20rocsparse_diag_type_b.has_dyn_sized_stack, 0
	.set _ZN9rocsparseL5csrsmILj512ELj64ELb0EiifEEv20rocsparse_operation_T3_S2_NS_24const_host_device_scalarIT4_EEPKT2_PKS2_PKS4_PS4_lPiSA_PS2_21rocsparse_index_base_20rocsparse_fill_mode_20rocsparse_diag_type_b.has_recursion, 0
	.set _ZN9rocsparseL5csrsmILj512ELj64ELb0EiifEEv20rocsparse_operation_T3_S2_NS_24const_host_device_scalarIT4_EEPKT2_PKS2_PKS4_PS4_lPiSA_PS2_21rocsparse_index_base_20rocsparse_fill_mode_20rocsparse_diag_type_b.has_indirect_call, 0
	.section	.AMDGPU.csdata,"",@progbits
; Kernel info:
; codeLenInByte = 1612
; TotalNumSgprs: 32
; NumVgprs: 14
; ScratchSize: 0
; MemoryBound: 0
; FloatMode: 240
; IeeeMode: 1
; LDSByteSize: 4096 bytes/workgroup (compile time only)
; SGPRBlocks: 0
; VGPRBlocks: 0
; NumSGPRsForWavesPerEU: 32
; NumVGPRsForWavesPerEU: 14
; NamedBarCnt: 0
; Occupancy: 16
; WaveLimiterHint : 1
; COMPUTE_PGM_RSRC2:SCRATCH_EN: 0
; COMPUTE_PGM_RSRC2:USER_SGPR: 2
; COMPUTE_PGM_RSRC2:TRAP_HANDLER: 0
; COMPUTE_PGM_RSRC2:TGID_X_EN: 1
; COMPUTE_PGM_RSRC2:TGID_Y_EN: 0
; COMPUTE_PGM_RSRC2:TGID_Z_EN: 0
; COMPUTE_PGM_RSRC2:TIDIG_COMP_CNT: 0
	.section	.text._ZN9rocsparseL5csrsmILj1024ELj64ELb1EiifEEv20rocsparse_operation_T3_S2_NS_24const_host_device_scalarIT4_EEPKT2_PKS2_PKS4_PS4_lPiSA_PS2_21rocsparse_index_base_20rocsparse_fill_mode_20rocsparse_diag_type_b,"axG",@progbits,_ZN9rocsparseL5csrsmILj1024ELj64ELb1EiifEEv20rocsparse_operation_T3_S2_NS_24const_host_device_scalarIT4_EEPKT2_PKS2_PKS4_PS4_lPiSA_PS2_21rocsparse_index_base_20rocsparse_fill_mode_20rocsparse_diag_type_b,comdat
	.globl	_ZN9rocsparseL5csrsmILj1024ELj64ELb1EiifEEv20rocsparse_operation_T3_S2_NS_24const_host_device_scalarIT4_EEPKT2_PKS2_PKS4_PS4_lPiSA_PS2_21rocsparse_index_base_20rocsparse_fill_mode_20rocsparse_diag_type_b ; -- Begin function _ZN9rocsparseL5csrsmILj1024ELj64ELb1EiifEEv20rocsparse_operation_T3_S2_NS_24const_host_device_scalarIT4_EEPKT2_PKS2_PKS4_PS4_lPiSA_PS2_21rocsparse_index_base_20rocsparse_fill_mode_20rocsparse_diag_type_b
	.p2align	8
	.type	_ZN9rocsparseL5csrsmILj1024ELj64ELb1EiifEEv20rocsparse_operation_T3_S2_NS_24const_host_device_scalarIT4_EEPKT2_PKS2_PKS4_PS4_lPiSA_PS2_21rocsparse_index_base_20rocsparse_fill_mode_20rocsparse_diag_type_b,@function
_ZN9rocsparseL5csrsmILj1024ELj64ELb1EiifEEv20rocsparse_operation_T3_S2_NS_24const_host_device_scalarIT4_EEPKT2_PKS2_PKS4_PS4_lPiSA_PS2_21rocsparse_index_base_20rocsparse_fill_mode_20rocsparse_diag_type_b: ; @_ZN9rocsparseL5csrsmILj1024ELj64ELb1EiifEEv20rocsparse_operation_T3_S2_NS_24const_host_device_scalarIT4_EEPKT2_PKS2_PKS4_PS4_lPiSA_PS2_21rocsparse_index_base_20rocsparse_fill_mode_20rocsparse_diag_type_b
; %bb.0:
	s_clause 0x2
	s_load_b128 s[4:7], s[0:1], 0x58
	s_load_b128 s[12:15], s[0:1], 0x10
	s_load_b64 s[2:3], s[0:1], 0x48
	s_wait_kmcnt 0x0
	s_bitcmp1_b32 s7, 0
	s_cselect_b32 s7, -1, 0
	s_delay_alu instid0(SALU_CYCLE_1)
	s_and_b32 vcc_lo, exec_lo, s7
	s_cbranch_vccnz .LBB9_2
; %bb.1:
	s_load_b32 s12, s[12:13], 0x0
.LBB9_2:
	s_nop 0
	s_load_b64 s[20:21], s[0:1], 0x4
	s_bfe_u32 s9, ttmp6, 0x4000c
	s_and_b32 s8, ttmp6, 15
	s_add_co_i32 s9, s9, 1
	s_getreg_b32 s11, hwreg(HW_REG_IB_STS2, 6, 4)
	s_mul_i32 s9, ttmp9, s9
	v_mov_b32_e32 v6, 0
	s_add_co_i32 s8, s8, s9
	s_wait_kmcnt 0x0
	s_cvt_f32_u32 s7, s20
	s_sub_co_i32 s10, 0, s20
	s_delay_alu instid0(SALU_CYCLE_2) | instskip(SKIP_1) | instid1(TRANS32_DEP_1)
	v_rcp_iflag_f32_e32 v1, s7
	v_nop
	v_readfirstlane_b32 s7, v1
	s_mul_f32 s7, s7, 0x4f7ffffe
	s_delay_alu instid0(SALU_CYCLE_3) | instskip(NEXT) | instid1(SALU_CYCLE_3)
	s_cvt_u32_f32 s7, s7
	s_mul_i32 s10, s10, s7
	s_delay_alu instid0(SALU_CYCLE_1) | instskip(NEXT) | instid1(SALU_CYCLE_1)
	s_mul_hi_u32 s10, s7, s10
	s_add_co_i32 s7, s7, s10
	s_cmp_eq_u32 s11, 0
	s_cselect_b32 s8, ttmp9, s8
	s_delay_alu instid0(SALU_CYCLE_1) | instskip(NEXT) | instid1(SALU_CYCLE_1)
	s_mul_hi_u32 s7, s8, s7
	s_mul_i32 s9, s7, s20
	s_add_co_i32 s10, s7, 1
	s_sub_co_i32 s9, s8, s9
	s_delay_alu instid0(SALU_CYCLE_1)
	s_sub_co_i32 s11, s9, s20
	s_cmp_ge_u32 s9, s20
	s_cselect_b32 s7, s10, s7
	s_cselect_b32 s9, s11, s9
	s_add_co_i32 s10, s7, 1
	s_cmp_ge_u32 s9, s20
	s_cselect_b32 s13, s10, s7
	s_delay_alu instid0(SALU_CYCLE_1) | instskip(SKIP_2) | instid1(SALU_CYCLE_1)
	s_mul_i32 s7, s13, s20
	v_lshl_or_b32 v2, s13, 10, v0
	s_sub_co_i32 s8, s8, s7
	s_ashr_i32 s9, s8, 31
	s_delay_alu instid0(VALU_DEP_1) | instskip(SKIP_1) | instid1(SALU_CYCLE_1)
	v_ashrrev_i32_e32 v3, 31, v2
	s_lshl_b64 s[8:9], s[8:9], 2
	s_add_nc_u64 s[2:3], s[2:3], s[8:9]
	s_load_b128 s[8:11], s[0:1], 0x30
	s_load_b32 s16, s[2:3], 0x0
	s_wait_kmcnt 0x0
	s_ashr_i32 s17, s16, 31
	s_delay_alu instid0(SALU_CYCLE_1) | instskip(NEXT) | instid1(SALU_CYCLE_1)
	s_lshl_b64 s[2:3], s[16:17], 2
	s_add_nc_u64 s[2:3], s[14:15], s[2:3]
	s_load_b64 s[18:19], s[0:1], 0x40
	s_load_b64 s[22:23], s[2:3], 0x0
	s_wait_xcnt 0x0
	v_cmp_gt_i32_e64 s2, s21, v2
	s_mul_u64 s[20:21], s[10:11], s[16:17]
	s_and_saveexec_b32 s3, s2
	s_cbranch_execz .LBB9_4
; %bb.3:
	v_add_nc_u64_e32 v[4:5], s[20:21], v[2:3]
	s_delay_alu instid0(VALU_DEP_1)
	v_lshl_add_u64 v[4:5], v[4:5], 2, s[8:9]
	global_load_b32 v1, v[4:5], off
	s_wait_loadcnt 0x0
	v_mul_f32_e32 v6, s12, v1
.LBB9_4:
	s_or_b32 exec_lo, exec_lo, s3
	v_lshl_add_u64 v[2:3], v[2:3], 2, s[8:9]
	v_mov_b32_e32 v9, 1.0
	v_cmp_eq_u32_e64 s3, 0, v0
	s_wait_kmcnt 0x0
	s_cmp_ge_i32 s22, s23
	s_cbranch_scc1 .LBB9_43
; %bb.5:
	s_clause 0x1
	s_load_b64 s[8:9], s[0:1], 0x50
	s_load_b128 s[12:15], s[0:1], 0x20
	v_dual_lshlrev_b32 v1, 2, v0 :: v_dual_mov_b32 v7, 1.0
	s_sub_co_i32 s17, s22, s4
	s_sub_co_i32 s26, s23, s4
	s_cmp_lg_u32 s6, 0
	s_delay_alu instid0(VALU_DEP_1)
	v_or_b32_e32 v4, 0x1000, v1
	s_cselect_b32 s27, -1, 0
	s_wait_xcnt 0x0
	v_cmp_ne_u32_e64 s0, 0, v0
	s_add_co_i32 s28, s16, s4
	v_mov_b32_e32 v5, 0
	s_cmp_eq_u32 s6, 0
	s_mov_b32 s29, s17
	s_cselect_b32 s1, -1, 0
	s_sub_co_i32 s22, s29, s17
	s_delay_alu instid0(SALU_CYCLE_1) | instskip(NEXT) | instid1(SALU_CYCLE_1)
	s_and_b32 s22, s22, 0x3ff
	s_cmp_lg_u32 s22, 0
	s_cbranch_scc1 .LBB9_9
.LBB9_6:
	s_sub_co_i32 s23, s26, s29
	v_dual_mov_b32 v8, -1.0 :: v_dual_mov_b32 v9, -1
	v_cmp_gt_u32_e32 vcc_lo, s23, v0
	s_and_saveexec_b32 s23, vcc_lo
	s_cbranch_execz .LBB9_8
; %bb.7:
	v_add_nc_u32_e32 v9, s29, v0
	s_wait_kmcnt 0x0
	s_clause 0x1
	global_load_b32 v10, v9, s[12:13] scale_offset
	global_load_b32 v8, v9, s[14:15] scale_offset
	s_wait_loadcnt 0x1
	s_wait_xcnt 0x0
	v_subrev_nc_u32_e32 v9, s4, v10
.LBB9_8:
	s_or_b32 exec_lo, exec_lo, s23
	ds_store_b32 v1, v9
	s_wait_loadcnt 0x0
	ds_store_b32 v4, v8
.LBB9_9:                                ; =>This Loop Header: Depth=1
                                        ;     Child Loop BB9_41 Depth 2
                                        ;       Child Loop BB9_42 Depth 3
	s_lshl_b32 s22, s22, 2
	s_wait_dscnt 0x0
	v_mov_b32_e32 v8, s22
	s_barrier_signal -1
	s_barrier_wait -1
	ds_load_2addr_stride64_b32 v[8:9], v8 offset1:16
	s_wait_dscnt 0x0
	v_readfirstlane_b32 s22, v8
	v_cmp_neq_f32_e32 vcc_lo, 0, v9
	s_cmp_lg_u32 s22, s16
	s_cselect_b32 s23, -1, 0
	s_delay_alu instid0(SALU_CYCLE_1) | instskip(NEXT) | instid1(SALU_CYCLE_1)
	s_or_b32 s23, s27, s23
	s_or_b32 vcc_lo, vcc_lo, s23
	v_cndmask_b32_e32 v8, 1.0, v9, vcc_lo
	s_nor_b32 s24, s0, vcc_lo
	s_delay_alu instid0(SALU_CYCLE_1)
	s_and_saveexec_b32 s23, s24
	s_cbranch_execz .LBB9_13
; %bb.10:                               ;   in Loop: Header=BB9_9 Depth=1
	v_mbcnt_lo_u32_b32 v8, exec_lo, 0
	s_mov_b32 s24, exec_lo
	s_delay_alu instid0(VALU_DEP_1)
	v_cmpx_eq_u32_e32 0, v8
	s_cbranch_execz .LBB9_12
; %bb.11:                               ;   in Loop: Header=BB9_9 Depth=1
	v_mov_b32_e32 v8, s28
	s_wait_kmcnt 0x0
	global_atomic_min_i32 v5, v8, s[8:9] scope:SCOPE_DEV
.LBB9_12:                               ;   in Loop: Header=BB9_9 Depth=1
	s_wait_xcnt 0x0
	s_or_b32 exec_lo, exec_lo, s24
	v_mov_b32_e32 v8, 1.0
.LBB9_13:                               ;   in Loop: Header=BB9_9 Depth=1
	s_or_b32 exec_lo, exec_lo, s23
	s_mov_b32 s25, -1
	s_mov_b32 s23, 0
	s_cmp_lt_i32 s5, 1
	s_mov_b32 s24, 0
                                        ; implicit-def: $vgpr9
	s_cbranch_scc0 .LBB9_20
; %bb.14:                               ;   in Loop: Header=BB9_9 Depth=1
	s_and_b32 vcc_lo, exec_lo, s25
	s_mov_b32 s25, 4
	s_cbranch_vccnz .LBB9_25
.LBB9_15:                               ;   in Loop: Header=BB9_9 Depth=1
	v_mov_b32_e32 v10, v6
	s_and_b32 vcc_lo, exec_lo, s24
	s_cbranch_vccnz .LBB9_30
.LBB9_16:                               ;   in Loop: Header=BB9_9 Depth=1
	s_and_b32 vcc_lo, exec_lo, s23
	s_cbranch_vccnz .LBB9_35
.LBB9_17:                               ;   in Loop: Header=BB9_9 Depth=1
	s_mov_b32 s22, -1
	s_cmp_gt_i32 s25, 3
	s_mov_b32 s23, -1
	s_cbranch_scc0 .LBB9_36
.LBB9_18:                               ;   in Loop: Header=BB9_9 Depth=1
	s_and_not1_b32 vcc_lo, exec_lo, s23
	s_cbranch_vccz .LBB9_37
.LBB9_19:                               ;   in Loop: Header=BB9_9 Depth=1
	s_and_not1_b32 vcc_lo, exec_lo, s22
	s_cbranch_vccnz .LBB9_38
	s_branch .LBB9_44
.LBB9_20:                               ;   in Loop: Header=BB9_9 Depth=1
	s_cmp_eq_u32 s5, 1
	s_mov_b32 s24, -1
                                        ; implicit-def: $vgpr9
	s_cbranch_scc0 .LBB9_24
; %bb.21:                               ;   in Loop: Header=BB9_9 Depth=1
	v_mov_b32_e32 v9, v7
	s_cmp_ge_i32 s22, s16
	s_mov_b32 s24, 0
	s_cbranch_scc0 .LBB9_24
; %bb.22:                               ;   in Loop: Header=BB9_9 Depth=1
	s_cmp_eq_u32 s22, s16
	s_mov_b32 s24, -1
                                        ; implicit-def: $vgpr9
	s_cbranch_scc0 .LBB9_24
; %bb.23:                               ;   in Loop: Header=BB9_9 Depth=1
	v_div_scale_f32 v9, null, v8, v8, 1.0
	s_mov_b32 s24, 0
	v_rcp_f32_e32 v10, v9
	v_nop
	s_delay_alu instid0(TRANS32_DEP_1) | instskip(NEXT) | instid1(VALU_DEP_1)
	v_fma_f32 v11, -v9, v10, 1.0
	v_fmac_f32_e32 v10, v11, v10
	v_div_scale_f32 v11, vcc_lo, 1.0, v8, 1.0
	s_delay_alu instid0(VALU_DEP_1) | instskip(NEXT) | instid1(VALU_DEP_1)
	v_mul_f32_e32 v12, v11, v10
	v_fma_f32 v13, -v9, v12, v11
	s_delay_alu instid0(VALU_DEP_1) | instskip(NEXT) | instid1(VALU_DEP_1)
	v_fmac_f32_e32 v12, v13, v10
	v_fma_f32 v9, -v9, v12, v11
	s_delay_alu instid0(VALU_DEP_1) | instskip(NEXT) | instid1(VALU_DEP_1)
	v_div_fmas_f32 v9, v9, v10, v12
	v_div_fixup_f32 v9, v9, v8, 1.0
	s_delay_alu instid0(VALU_DEP_1)
	v_cndmask_b32_e64 v9, v7, v9, s1
.LBB9_24:                               ;   in Loop: Header=BB9_9 Depth=1
	s_mov_b32 s25, 4
	s_branch .LBB9_15
.LBB9_25:                               ;   in Loop: Header=BB9_9 Depth=1
	s_cmp_eq_u32 s5, 0
	s_cbranch_scc1 .LBB9_27
; %bb.26:                               ;   in Loop: Header=BB9_9 Depth=1
	s_mov_b32 s24, -1
	s_branch .LBB9_29
.LBB9_27:                               ;   in Loop: Header=BB9_9 Depth=1
	s_cmp_le_i32 s22, s16
	s_mov_b32 s24, 0
	s_cbranch_scc0 .LBB9_29
; %bb.28:                               ;   in Loop: Header=BB9_9 Depth=1
	s_cmp_lg_u32 s22, s16
	s_mov_b32 s23, -1
	s_cselect_b32 s24, -1, 0
.LBB9_29:                               ;   in Loop: Header=BB9_9 Depth=1
	v_mov_b32_e32 v9, v7
	s_mov_b32 s25, 2
	v_mov_b32_e32 v10, v6
	s_and_b32 vcc_lo, exec_lo, s24
	s_cbranch_vccz .LBB9_16
.LBB9_30:                               ;   in Loop: Header=BB9_9 Depth=1
	s_and_saveexec_b32 s23, s3
	s_cbranch_execz .LBB9_32
; %bb.31:                               ;   in Loop: Header=BB9_9 Depth=1
	s_add_co_i32 s24, s22, s7
	s_delay_alu instid0(SALU_CYCLE_1)
	v_mov_b32_e32 v9, s24
	global_load_b32 v9, v9, s[18:19] scale_offset scope:SCOPE_DEV
	s_wait_loadcnt 0x0
	v_cmp_ne_u32_e32 vcc_lo, 0, v9
	s_cbranch_vccz .LBB9_39
.LBB9_32:                               ;   in Loop: Header=BB9_9 Depth=1
	s_wait_xcnt 0x0
	s_or_b32 exec_lo, exec_lo, s23
	v_mov_b32_e32 v10, 0
	s_wait_storecnt 0x0
	s_barrier_signal -1
	s_barrier_wait -1
	global_inv scope:SCOPE_DEV
	s_and_saveexec_b32 s24, s2
	s_cbranch_execz .LBB9_34
; %bb.33:                               ;   in Loop: Header=BB9_9 Depth=1
	s_ashr_i32 s23, s22, 31
	s_delay_alu instid0(SALU_CYCLE_1) | instskip(NEXT) | instid1(SALU_CYCLE_1)
	s_mul_u64 s[22:23], s[10:11], s[22:23]
	v_lshl_add_u64 v[10:11], s[22:23], 2, v[2:3]
	global_load_b32 v9, v[10:11], off
	s_wait_loadcnt 0x0
	v_fma_f32 v10, -v8, v9, v6
.LBB9_34:                               ;   in Loop: Header=BB9_9 Depth=1
	s_or_b32 exec_lo, exec_lo, s24
	v_mov_b32_e32 v9, v7
	s_mov_b32 s25, 0
	s_branch .LBB9_17
.LBB9_35:                               ;   in Loop: Header=BB9_9 Depth=1
	v_div_scale_f32 v9, null, v8, v8, 1.0
	v_div_scale_f32 v12, vcc_lo, 1.0, v8, 1.0
	s_mov_b32 s25, 2
	v_rcp_f32_e32 v10, v9
	v_nop
	s_delay_alu instid0(TRANS32_DEP_1) | instskip(NEXT) | instid1(VALU_DEP_1)
	v_fma_f32 v11, -v9, v10, 1.0
	v_fmac_f32_e32 v10, v11, v10
	s_delay_alu instid0(VALU_DEP_1) | instskip(NEXT) | instid1(VALU_DEP_1)
	v_mul_f32_e32 v11, v12, v10
	v_fma_f32 v13, -v9, v11, v12
	s_delay_alu instid0(VALU_DEP_1) | instskip(NEXT) | instid1(VALU_DEP_1)
	v_fmac_f32_e32 v11, v13, v10
	v_fma_f32 v9, -v9, v11, v12
	s_delay_alu instid0(VALU_DEP_1) | instskip(SKIP_1) | instid1(VALU_DEP_2)
	v_div_fmas_f32 v9, v9, v10, v11
	v_mov_b32_e32 v10, v6
	v_div_fixup_f32 v8, v9, v8, 1.0
	s_delay_alu instid0(VALU_DEP_1)
	v_cndmask_b32_e64 v9, v7, v8, s1
	s_mov_b32 s22, -1
	s_cmp_gt_i32 s25, 3
	s_mov_b32 s23, -1
	s_cbranch_scc1 .LBB9_18
.LBB9_36:                               ;   in Loop: Header=BB9_9 Depth=1
	s_cmp_eq_u32 s25, 0
	s_cselect_b32 s23, -1, 0
	s_delay_alu instid0(SALU_CYCLE_1)
	s_and_not1_b32 vcc_lo, exec_lo, s23
	s_cbranch_vccnz .LBB9_19
.LBB9_37:                               ;   in Loop: Header=BB9_9 Depth=1
	s_add_co_i32 s29, s29, 1
	s_delay_alu instid0(SALU_CYCLE_1) | instskip(SKIP_1) | instid1(SALU_CYCLE_1)
	s_cmp_ge_i32 s29, s26
	s_cselect_b32 s22, -1, 0
	s_and_not1_b32 vcc_lo, exec_lo, s22
	s_cbranch_vccz .LBB9_44
.LBB9_38:                               ;   in Loop: Header=BB9_9 Depth=1
	v_dual_mov_b32 v6, v10 :: v_dual_mov_b32 v7, v9
	s_sub_co_i32 s22, s29, s17
	s_delay_alu instid0(SALU_CYCLE_1) | instskip(NEXT) | instid1(SALU_CYCLE_1)
	s_and_b32 s22, s22, 0x3ff
	s_cmp_lg_u32 s22, 0
	s_cbranch_scc1 .LBB9_9
	s_branch .LBB9_6
.LBB9_39:                               ;   in Loop: Header=BB9_9 Depth=1
	s_ashr_i32 s25, s24, 31
	s_mov_b32 s30, 0
	s_lshl_b64 s[24:25], s[24:25], 2
	s_delay_alu instid0(SALU_CYCLE_1)
	s_add_nc_u64 s[24:25], s[18:19], s[24:25]
	s_branch .LBB9_41
.LBB9_40:                               ;   in Loop: Header=BB9_41 Depth=2
	global_load_b32 v9, v5, s[24:25] scope:SCOPE_DEV
	s_cmp_lt_u32 s30, 0xf43
	s_cselect_b32 s31, -1, 0
	s_delay_alu instid0(SALU_CYCLE_1)
	s_cmp_lg_u32 s31, 0
	s_add_co_ci_u32 s30, s30, 0
	s_wait_loadcnt 0x0
	v_cmp_ne_u32_e32 vcc_lo, 0, v9
	s_cbranch_vccnz .LBB9_32
.LBB9_41:                               ;   Parent Loop BB9_9 Depth=1
                                        ; =>  This Loop Header: Depth=2
                                        ;       Child Loop BB9_42 Depth 3
	s_cmp_eq_u32 s30, 0
	s_mov_b32 s31, s30
	s_cbranch_scc1 .LBB9_40
.LBB9_42:                               ;   Parent Loop BB9_9 Depth=1
                                        ;     Parent Loop BB9_41 Depth=2
                                        ; =>    This Inner Loop Header: Depth=3
	s_add_co_i32 s31, s31, -1
	s_sleep 1
	s_cmp_eq_u32 s31, 0
	s_cbranch_scc0 .LBB9_42
	s_branch .LBB9_40
.LBB9_43:
	v_mov_b32_e32 v10, v6
.LBB9_44:
	s_and_saveexec_b32 s0, s2
	s_cbranch_execz .LBB9_46
; %bb.45:
	s_delay_alu instid0(VALU_DEP_1) | instskip(SKIP_3) | instid1(VALU_DEP_2)
	v_mul_f32_e32 v1, v9, v10
	s_cmp_eq_u32 s6, 0
	v_lshl_add_u64 v[2:3], s[20:21], 2, v[2:3]
	s_cselect_b32 vcc_lo, -1, 0
	v_cndmask_b32_e32 v1, v10, v1, vcc_lo
	global_store_b32 v[2:3], v1, off
.LBB9_46:
	s_wait_xcnt 0x0
	s_or_b32 exec_lo, exec_lo, s0
	global_wb scope:SCOPE_DEV
	s_wait_loadcnt 0x0
	s_wait_storecnt 0x0
	global_inv scope:SCOPE_DEV
	s_wait_loadcnt 0x0
	s_barrier_signal -1
	s_barrier_wait -1
	s_mov_b32 s0, exec_lo
	v_cmpx_eq_u32_e32 0, v0
	s_cbranch_execz .LBB9_48
; %bb.47:
	s_add_co_i32 s0, s16, s7
	s_delay_alu instid0(SALU_CYCLE_1)
	v_dual_mov_b32 v0, 1 :: v_dual_mov_b32 v1, s0
	global_store_b32 v1, v0, s[18:19] scale_offset scope:SCOPE_DEV
.LBB9_48:
	s_endpgm
	.section	.rodata,"a",@progbits
	.p2align	6, 0x0
	.amdhsa_kernel _ZN9rocsparseL5csrsmILj1024ELj64ELb1EiifEEv20rocsparse_operation_T3_S2_NS_24const_host_device_scalarIT4_EEPKT2_PKS2_PKS4_PS4_lPiSA_PS2_21rocsparse_index_base_20rocsparse_fill_mode_20rocsparse_diag_type_b
		.amdhsa_group_segment_fixed_size 8192
		.amdhsa_private_segment_fixed_size 0
		.amdhsa_kernarg_size 104
		.amdhsa_user_sgpr_count 2
		.amdhsa_user_sgpr_dispatch_ptr 0
		.amdhsa_user_sgpr_queue_ptr 0
		.amdhsa_user_sgpr_kernarg_segment_ptr 1
		.amdhsa_user_sgpr_dispatch_id 0
		.amdhsa_user_sgpr_kernarg_preload_length 0
		.amdhsa_user_sgpr_kernarg_preload_offset 0
		.amdhsa_user_sgpr_private_segment_size 0
		.amdhsa_wavefront_size32 1
		.amdhsa_uses_dynamic_stack 0
		.amdhsa_enable_private_segment 0
		.amdhsa_system_sgpr_workgroup_id_x 1
		.amdhsa_system_sgpr_workgroup_id_y 0
		.amdhsa_system_sgpr_workgroup_id_z 0
		.amdhsa_system_sgpr_workgroup_info 0
		.amdhsa_system_vgpr_workitem_id 0
		.amdhsa_next_free_vgpr 14
		.amdhsa_next_free_sgpr 32
		.amdhsa_named_barrier_count 0
		.amdhsa_reserve_vcc 1
		.amdhsa_float_round_mode_32 0
		.amdhsa_float_round_mode_16_64 0
		.amdhsa_float_denorm_mode_32 3
		.amdhsa_float_denorm_mode_16_64 3
		.amdhsa_fp16_overflow 0
		.amdhsa_memory_ordered 1
		.amdhsa_forward_progress 1
		.amdhsa_inst_pref_size 14
		.amdhsa_round_robin_scheduling 0
		.amdhsa_exception_fp_ieee_invalid_op 0
		.amdhsa_exception_fp_denorm_src 0
		.amdhsa_exception_fp_ieee_div_zero 0
		.amdhsa_exception_fp_ieee_overflow 0
		.amdhsa_exception_fp_ieee_underflow 0
		.amdhsa_exception_fp_ieee_inexact 0
		.amdhsa_exception_int_div_zero 0
	.end_amdhsa_kernel
	.section	.text._ZN9rocsparseL5csrsmILj1024ELj64ELb1EiifEEv20rocsparse_operation_T3_S2_NS_24const_host_device_scalarIT4_EEPKT2_PKS2_PKS4_PS4_lPiSA_PS2_21rocsparse_index_base_20rocsparse_fill_mode_20rocsparse_diag_type_b,"axG",@progbits,_ZN9rocsparseL5csrsmILj1024ELj64ELb1EiifEEv20rocsparse_operation_T3_S2_NS_24const_host_device_scalarIT4_EEPKT2_PKS2_PKS4_PS4_lPiSA_PS2_21rocsparse_index_base_20rocsparse_fill_mode_20rocsparse_diag_type_b,comdat
.Lfunc_end9:
	.size	_ZN9rocsparseL5csrsmILj1024ELj64ELb1EiifEEv20rocsparse_operation_T3_S2_NS_24const_host_device_scalarIT4_EEPKT2_PKS2_PKS4_PS4_lPiSA_PS2_21rocsparse_index_base_20rocsparse_fill_mode_20rocsparse_diag_type_b, .Lfunc_end9-_ZN9rocsparseL5csrsmILj1024ELj64ELb1EiifEEv20rocsparse_operation_T3_S2_NS_24const_host_device_scalarIT4_EEPKT2_PKS2_PKS4_PS4_lPiSA_PS2_21rocsparse_index_base_20rocsparse_fill_mode_20rocsparse_diag_type_b
                                        ; -- End function
	.set _ZN9rocsparseL5csrsmILj1024ELj64ELb1EiifEEv20rocsparse_operation_T3_S2_NS_24const_host_device_scalarIT4_EEPKT2_PKS2_PKS4_PS4_lPiSA_PS2_21rocsparse_index_base_20rocsparse_fill_mode_20rocsparse_diag_type_b.num_vgpr, 14
	.set _ZN9rocsparseL5csrsmILj1024ELj64ELb1EiifEEv20rocsparse_operation_T3_S2_NS_24const_host_device_scalarIT4_EEPKT2_PKS2_PKS4_PS4_lPiSA_PS2_21rocsparse_index_base_20rocsparse_fill_mode_20rocsparse_diag_type_b.num_agpr, 0
	.set _ZN9rocsparseL5csrsmILj1024ELj64ELb1EiifEEv20rocsparse_operation_T3_S2_NS_24const_host_device_scalarIT4_EEPKT2_PKS2_PKS4_PS4_lPiSA_PS2_21rocsparse_index_base_20rocsparse_fill_mode_20rocsparse_diag_type_b.numbered_sgpr, 32
	.set _ZN9rocsparseL5csrsmILj1024ELj64ELb1EiifEEv20rocsparse_operation_T3_S2_NS_24const_host_device_scalarIT4_EEPKT2_PKS2_PKS4_PS4_lPiSA_PS2_21rocsparse_index_base_20rocsparse_fill_mode_20rocsparse_diag_type_b.num_named_barrier, 0
	.set _ZN9rocsparseL5csrsmILj1024ELj64ELb1EiifEEv20rocsparse_operation_T3_S2_NS_24const_host_device_scalarIT4_EEPKT2_PKS2_PKS4_PS4_lPiSA_PS2_21rocsparse_index_base_20rocsparse_fill_mode_20rocsparse_diag_type_b.private_seg_size, 0
	.set _ZN9rocsparseL5csrsmILj1024ELj64ELb1EiifEEv20rocsparse_operation_T3_S2_NS_24const_host_device_scalarIT4_EEPKT2_PKS2_PKS4_PS4_lPiSA_PS2_21rocsparse_index_base_20rocsparse_fill_mode_20rocsparse_diag_type_b.uses_vcc, 1
	.set _ZN9rocsparseL5csrsmILj1024ELj64ELb1EiifEEv20rocsparse_operation_T3_S2_NS_24const_host_device_scalarIT4_EEPKT2_PKS2_PKS4_PS4_lPiSA_PS2_21rocsparse_index_base_20rocsparse_fill_mode_20rocsparse_diag_type_b.uses_flat_scratch, 0
	.set _ZN9rocsparseL5csrsmILj1024ELj64ELb1EiifEEv20rocsparse_operation_T3_S2_NS_24const_host_device_scalarIT4_EEPKT2_PKS2_PKS4_PS4_lPiSA_PS2_21rocsparse_index_base_20rocsparse_fill_mode_20rocsparse_diag_type_b.has_dyn_sized_stack, 0
	.set _ZN9rocsparseL5csrsmILj1024ELj64ELb1EiifEEv20rocsparse_operation_T3_S2_NS_24const_host_device_scalarIT4_EEPKT2_PKS2_PKS4_PS4_lPiSA_PS2_21rocsparse_index_base_20rocsparse_fill_mode_20rocsparse_diag_type_b.has_recursion, 0
	.set _ZN9rocsparseL5csrsmILj1024ELj64ELb1EiifEEv20rocsparse_operation_T3_S2_NS_24const_host_device_scalarIT4_EEPKT2_PKS2_PKS4_PS4_lPiSA_PS2_21rocsparse_index_base_20rocsparse_fill_mode_20rocsparse_diag_type_b.has_indirect_call, 0
	.section	.AMDGPU.csdata,"",@progbits
; Kernel info:
; codeLenInByte = 1676
; TotalNumSgprs: 34
; NumVgprs: 14
; ScratchSize: 0
; MemoryBound: 0
; FloatMode: 240
; IeeeMode: 1
; LDSByteSize: 8192 bytes/workgroup (compile time only)
; SGPRBlocks: 0
; VGPRBlocks: 0
; NumSGPRsForWavesPerEU: 34
; NumVGPRsForWavesPerEU: 14
; NamedBarCnt: 0
; Occupancy: 16
; WaveLimiterHint : 1
; COMPUTE_PGM_RSRC2:SCRATCH_EN: 0
; COMPUTE_PGM_RSRC2:USER_SGPR: 2
; COMPUTE_PGM_RSRC2:TRAP_HANDLER: 0
; COMPUTE_PGM_RSRC2:TGID_X_EN: 1
; COMPUTE_PGM_RSRC2:TGID_Y_EN: 0
; COMPUTE_PGM_RSRC2:TGID_Z_EN: 0
; COMPUTE_PGM_RSRC2:TIDIG_COMP_CNT: 0
	.section	.text._ZN9rocsparseL5csrsmILj1024ELj64ELb0EiifEEv20rocsparse_operation_T3_S2_NS_24const_host_device_scalarIT4_EEPKT2_PKS2_PKS4_PS4_lPiSA_PS2_21rocsparse_index_base_20rocsparse_fill_mode_20rocsparse_diag_type_b,"axG",@progbits,_ZN9rocsparseL5csrsmILj1024ELj64ELb0EiifEEv20rocsparse_operation_T3_S2_NS_24const_host_device_scalarIT4_EEPKT2_PKS2_PKS4_PS4_lPiSA_PS2_21rocsparse_index_base_20rocsparse_fill_mode_20rocsparse_diag_type_b,comdat
	.globl	_ZN9rocsparseL5csrsmILj1024ELj64ELb0EiifEEv20rocsparse_operation_T3_S2_NS_24const_host_device_scalarIT4_EEPKT2_PKS2_PKS4_PS4_lPiSA_PS2_21rocsparse_index_base_20rocsparse_fill_mode_20rocsparse_diag_type_b ; -- Begin function _ZN9rocsparseL5csrsmILj1024ELj64ELb0EiifEEv20rocsparse_operation_T3_S2_NS_24const_host_device_scalarIT4_EEPKT2_PKS2_PKS4_PS4_lPiSA_PS2_21rocsparse_index_base_20rocsparse_fill_mode_20rocsparse_diag_type_b
	.p2align	8
	.type	_ZN9rocsparseL5csrsmILj1024ELj64ELb0EiifEEv20rocsparse_operation_T3_S2_NS_24const_host_device_scalarIT4_EEPKT2_PKS2_PKS4_PS4_lPiSA_PS2_21rocsparse_index_base_20rocsparse_fill_mode_20rocsparse_diag_type_b,@function
_ZN9rocsparseL5csrsmILj1024ELj64ELb0EiifEEv20rocsparse_operation_T3_S2_NS_24const_host_device_scalarIT4_EEPKT2_PKS2_PKS4_PS4_lPiSA_PS2_21rocsparse_index_base_20rocsparse_fill_mode_20rocsparse_diag_type_b: ; @_ZN9rocsparseL5csrsmILj1024ELj64ELb0EiifEEv20rocsparse_operation_T3_S2_NS_24const_host_device_scalarIT4_EEPKT2_PKS2_PKS4_PS4_lPiSA_PS2_21rocsparse_index_base_20rocsparse_fill_mode_20rocsparse_diag_type_b
; %bb.0:
	s_clause 0x2
	s_load_b128 s[4:7], s[0:1], 0x58
	s_load_b128 s[12:15], s[0:1], 0x10
	s_load_b64 s[2:3], s[0:1], 0x48
	s_wait_kmcnt 0x0
	s_bitcmp1_b32 s7, 0
	s_cselect_b32 s7, -1, 0
	s_delay_alu instid0(SALU_CYCLE_1)
	s_and_b32 vcc_lo, exec_lo, s7
	s_cbranch_vccnz .LBB10_2
; %bb.1:
	s_load_b32 s12, s[12:13], 0x0
.LBB10_2:
	s_nop 0
	s_load_b64 s[20:21], s[0:1], 0x4
	s_bfe_u32 s9, ttmp6, 0x4000c
	s_and_b32 s8, ttmp6, 15
	s_add_co_i32 s9, s9, 1
	s_getreg_b32 s11, hwreg(HW_REG_IB_STS2, 6, 4)
	s_mul_i32 s9, ttmp9, s9
	v_mov_b32_e32 v6, 0
	s_add_co_i32 s8, s8, s9
	s_wait_kmcnt 0x0
	s_cvt_f32_u32 s7, s20
	s_sub_co_i32 s10, 0, s20
	s_delay_alu instid0(SALU_CYCLE_2) | instskip(SKIP_1) | instid1(TRANS32_DEP_1)
	v_rcp_iflag_f32_e32 v1, s7
	v_nop
	v_readfirstlane_b32 s7, v1
	s_mul_f32 s7, s7, 0x4f7ffffe
	s_delay_alu instid0(SALU_CYCLE_3) | instskip(NEXT) | instid1(SALU_CYCLE_3)
	s_cvt_u32_f32 s7, s7
	s_mul_i32 s10, s10, s7
	s_delay_alu instid0(SALU_CYCLE_1) | instskip(NEXT) | instid1(SALU_CYCLE_1)
	s_mul_hi_u32 s10, s7, s10
	s_add_co_i32 s7, s7, s10
	s_cmp_eq_u32 s11, 0
	s_cselect_b32 s8, ttmp9, s8
	s_delay_alu instid0(SALU_CYCLE_1) | instskip(NEXT) | instid1(SALU_CYCLE_1)
	s_mul_hi_u32 s7, s8, s7
	s_mul_i32 s9, s7, s20
	s_add_co_i32 s10, s7, 1
	s_sub_co_i32 s9, s8, s9
	s_delay_alu instid0(SALU_CYCLE_1)
	s_sub_co_i32 s11, s9, s20
	s_cmp_ge_u32 s9, s20
	s_cselect_b32 s7, s10, s7
	s_cselect_b32 s9, s11, s9
	s_add_co_i32 s10, s7, 1
	s_cmp_ge_u32 s9, s20
	s_cselect_b32 s13, s10, s7
	s_delay_alu instid0(SALU_CYCLE_1) | instskip(SKIP_2) | instid1(SALU_CYCLE_1)
	s_mul_i32 s7, s13, s20
	v_lshl_or_b32 v2, s13, 10, v0
	s_sub_co_i32 s8, s8, s7
	s_ashr_i32 s9, s8, 31
	s_delay_alu instid0(VALU_DEP_1) | instskip(SKIP_1) | instid1(SALU_CYCLE_1)
	v_ashrrev_i32_e32 v3, 31, v2
	s_lshl_b64 s[8:9], s[8:9], 2
	s_add_nc_u64 s[2:3], s[2:3], s[8:9]
	s_load_b128 s[8:11], s[0:1], 0x30
	s_load_b32 s16, s[2:3], 0x0
	s_wait_kmcnt 0x0
	s_ashr_i32 s17, s16, 31
	s_delay_alu instid0(SALU_CYCLE_1) | instskip(NEXT) | instid1(SALU_CYCLE_1)
	s_lshl_b64 s[2:3], s[16:17], 2
	s_add_nc_u64 s[2:3], s[14:15], s[2:3]
	s_load_b64 s[18:19], s[0:1], 0x40
	s_load_b64 s[22:23], s[2:3], 0x0
	s_wait_xcnt 0x0
	v_cmp_gt_i32_e64 s2, s21, v2
	s_mul_u64 s[20:21], s[10:11], s[16:17]
	s_and_saveexec_b32 s3, s2
	s_cbranch_execz .LBB10_4
; %bb.3:
	v_add_nc_u64_e32 v[4:5], s[20:21], v[2:3]
	s_delay_alu instid0(VALU_DEP_1)
	v_lshl_add_u64 v[4:5], v[4:5], 2, s[8:9]
	global_load_b32 v1, v[4:5], off
	s_wait_loadcnt 0x0
	v_mul_f32_e32 v6, s12, v1
.LBB10_4:
	s_or_b32 exec_lo, exec_lo, s3
	v_lshl_add_u64 v[2:3], v[2:3], 2, s[8:9]
	v_mov_b32_e32 v9, 1.0
	v_cmp_eq_u32_e64 s3, 0, v0
	s_wait_kmcnt 0x0
	s_cmp_ge_i32 s22, s23
	s_cbranch_scc1 .LBB10_41
; %bb.5:
	s_clause 0x1
	s_load_b64 s[8:9], s[0:1], 0x50
	s_load_b128 s[12:15], s[0:1], 0x20
	v_dual_lshlrev_b32 v1, 2, v0 :: v_dual_mov_b32 v7, 1.0
	s_sub_co_i32 s17, s22, s4
	s_sub_co_i32 s26, s23, s4
	s_cmp_lg_u32 s6, 0
	s_delay_alu instid0(VALU_DEP_1)
	v_or_b32_e32 v4, 0x1000, v1
	s_cselect_b32 s27, -1, 0
	s_wait_xcnt 0x0
	v_cmp_ne_u32_e64 s0, 0, v0
	s_add_co_i32 s28, s16, s4
	v_mov_b32_e32 v5, 0
	s_cmp_eq_u32 s6, 0
	s_mov_b32 s29, s17
	s_cselect_b32 s1, -1, 0
	s_sub_co_i32 s22, s29, s17
	s_delay_alu instid0(SALU_CYCLE_1) | instskip(NEXT) | instid1(SALU_CYCLE_1)
	s_and_b32 s22, s22, 0x3ff
	s_cmp_lg_u32 s22, 0
	s_cbranch_scc1 .LBB10_9
.LBB10_6:
	s_sub_co_i32 s23, s26, s29
	v_dual_mov_b32 v8, -1.0 :: v_dual_mov_b32 v9, -1
	v_cmp_gt_u32_e32 vcc_lo, s23, v0
	s_and_saveexec_b32 s23, vcc_lo
	s_cbranch_execz .LBB10_8
; %bb.7:
	v_add_nc_u32_e32 v9, s29, v0
	s_wait_kmcnt 0x0
	s_clause 0x1
	global_load_b32 v10, v9, s[12:13] scale_offset
	global_load_b32 v8, v9, s[14:15] scale_offset
	s_wait_loadcnt 0x1
	s_wait_xcnt 0x0
	v_subrev_nc_u32_e32 v9, s4, v10
.LBB10_8:
	s_or_b32 exec_lo, exec_lo, s23
	ds_store_b32 v1, v9
	s_wait_loadcnt 0x0
	ds_store_b32 v4, v8
.LBB10_9:                               ; =>This Loop Header: Depth=1
                                        ;     Child Loop BB10_33 Depth 2
	s_lshl_b32 s22, s22, 2
	s_wait_dscnt 0x0
	v_mov_b32_e32 v8, s22
	s_barrier_signal -1
	s_barrier_wait -1
	ds_load_2addr_stride64_b32 v[8:9], v8 offset1:16
	s_wait_dscnt 0x0
	v_readfirstlane_b32 s22, v8
	v_cmp_neq_f32_e32 vcc_lo, 0, v9
	s_cmp_lg_u32 s22, s16
	s_cselect_b32 s23, -1, 0
	s_delay_alu instid0(SALU_CYCLE_1) | instskip(NEXT) | instid1(SALU_CYCLE_1)
	s_or_b32 s23, s27, s23
	s_or_b32 vcc_lo, vcc_lo, s23
	v_cndmask_b32_e32 v8, 1.0, v9, vcc_lo
	s_nor_b32 s24, s0, vcc_lo
	s_delay_alu instid0(SALU_CYCLE_1)
	s_and_saveexec_b32 s23, s24
	s_cbranch_execz .LBB10_13
; %bb.10:                               ;   in Loop: Header=BB10_9 Depth=1
	v_mbcnt_lo_u32_b32 v8, exec_lo, 0
	s_mov_b32 s24, exec_lo
	s_delay_alu instid0(VALU_DEP_1)
	v_cmpx_eq_u32_e32 0, v8
	s_cbranch_execz .LBB10_12
; %bb.11:                               ;   in Loop: Header=BB10_9 Depth=1
	v_mov_b32_e32 v8, s28
	s_wait_kmcnt 0x0
	global_atomic_min_i32 v5, v8, s[8:9] scope:SCOPE_DEV
.LBB10_12:                              ;   in Loop: Header=BB10_9 Depth=1
	s_wait_xcnt 0x0
	s_or_b32 exec_lo, exec_lo, s24
	v_mov_b32_e32 v8, 1.0
.LBB10_13:                              ;   in Loop: Header=BB10_9 Depth=1
	s_or_b32 exec_lo, exec_lo, s23
	s_mov_b32 s25, -1
	s_mov_b32 s23, 0
	s_cmp_lt_i32 s5, 1
	s_mov_b32 s24, 0
                                        ; implicit-def: $vgpr9
	s_cbranch_scc0 .LBB10_20
; %bb.14:                               ;   in Loop: Header=BB10_9 Depth=1
	s_and_b32 vcc_lo, exec_lo, s25
	s_mov_b32 s25, 4
	s_cbranch_vccnz .LBB10_25
.LBB10_15:                              ;   in Loop: Header=BB10_9 Depth=1
	v_mov_b32_e32 v10, v6
	s_and_b32 vcc_lo, exec_lo, s24
	s_cbranch_vccnz .LBB10_30
.LBB10_16:                              ;   in Loop: Header=BB10_9 Depth=1
	s_and_b32 vcc_lo, exec_lo, s23
	s_cbranch_vccnz .LBB10_37
.LBB10_17:                              ;   in Loop: Header=BB10_9 Depth=1
	s_mov_b32 s22, -1
	s_cmp_gt_i32 s25, 3
	s_mov_b32 s23, -1
	s_cbranch_scc0 .LBB10_38
.LBB10_18:                              ;   in Loop: Header=BB10_9 Depth=1
	s_and_not1_b32 vcc_lo, exec_lo, s23
	s_cbranch_vccz .LBB10_39
.LBB10_19:                              ;   in Loop: Header=BB10_9 Depth=1
	s_and_not1_b32 vcc_lo, exec_lo, s22
	s_cbranch_vccnz .LBB10_40
	s_branch .LBB10_42
.LBB10_20:                              ;   in Loop: Header=BB10_9 Depth=1
	s_cmp_eq_u32 s5, 1
	s_mov_b32 s24, -1
                                        ; implicit-def: $vgpr9
	s_cbranch_scc0 .LBB10_24
; %bb.21:                               ;   in Loop: Header=BB10_9 Depth=1
	v_mov_b32_e32 v9, v7
	s_cmp_ge_i32 s22, s16
	s_mov_b32 s24, 0
	s_cbranch_scc0 .LBB10_24
; %bb.22:                               ;   in Loop: Header=BB10_9 Depth=1
	s_cmp_eq_u32 s22, s16
	s_mov_b32 s24, -1
                                        ; implicit-def: $vgpr9
	s_cbranch_scc0 .LBB10_24
; %bb.23:                               ;   in Loop: Header=BB10_9 Depth=1
	v_div_scale_f32 v9, null, v8, v8, 1.0
	s_mov_b32 s24, 0
	v_rcp_f32_e32 v10, v9
	v_nop
	s_delay_alu instid0(TRANS32_DEP_1) | instskip(NEXT) | instid1(VALU_DEP_1)
	v_fma_f32 v11, -v9, v10, 1.0
	v_fmac_f32_e32 v10, v11, v10
	v_div_scale_f32 v11, vcc_lo, 1.0, v8, 1.0
	s_delay_alu instid0(VALU_DEP_1) | instskip(NEXT) | instid1(VALU_DEP_1)
	v_mul_f32_e32 v12, v11, v10
	v_fma_f32 v13, -v9, v12, v11
	s_delay_alu instid0(VALU_DEP_1) | instskip(NEXT) | instid1(VALU_DEP_1)
	v_fmac_f32_e32 v12, v13, v10
	v_fma_f32 v9, -v9, v12, v11
	s_delay_alu instid0(VALU_DEP_1) | instskip(NEXT) | instid1(VALU_DEP_1)
	v_div_fmas_f32 v9, v9, v10, v12
	v_div_fixup_f32 v9, v9, v8, 1.0
	s_delay_alu instid0(VALU_DEP_1)
	v_cndmask_b32_e64 v9, v7, v9, s1
.LBB10_24:                              ;   in Loop: Header=BB10_9 Depth=1
	s_mov_b32 s25, 4
	s_branch .LBB10_15
.LBB10_25:                              ;   in Loop: Header=BB10_9 Depth=1
	s_cmp_eq_u32 s5, 0
	s_cbranch_scc1 .LBB10_27
; %bb.26:                               ;   in Loop: Header=BB10_9 Depth=1
	s_mov_b32 s24, -1
	s_branch .LBB10_29
.LBB10_27:                              ;   in Loop: Header=BB10_9 Depth=1
	s_cmp_le_i32 s22, s16
	s_mov_b32 s24, 0
	s_cbranch_scc0 .LBB10_29
; %bb.28:                               ;   in Loop: Header=BB10_9 Depth=1
	s_cmp_lg_u32 s22, s16
	s_mov_b32 s23, -1
	s_cselect_b32 s24, -1, 0
.LBB10_29:                              ;   in Loop: Header=BB10_9 Depth=1
	v_mov_b32_e32 v9, v7
	s_mov_b32 s25, 2
	v_mov_b32_e32 v10, v6
	s_and_b32 vcc_lo, exec_lo, s24
	s_cbranch_vccz .LBB10_16
.LBB10_30:                              ;   in Loop: Header=BB10_9 Depth=1
	s_and_saveexec_b32 s23, s3
	s_cbranch_execz .LBB10_34
; %bb.31:                               ;   in Loop: Header=BB10_9 Depth=1
	s_add_co_i32 s24, s22, s7
	s_delay_alu instid0(SALU_CYCLE_1)
	v_mov_b32_e32 v9, s24
	global_load_b32 v9, v9, s[18:19] scale_offset scope:SCOPE_DEV
	s_wait_loadcnt 0x0
	v_cmp_ne_u32_e32 vcc_lo, 0, v9
	s_cbranch_vccnz .LBB10_34
; %bb.32:                               ;   in Loop: Header=BB10_9 Depth=1
	s_ashr_i32 s25, s24, 31
	s_delay_alu instid0(SALU_CYCLE_1) | instskip(NEXT) | instid1(SALU_CYCLE_1)
	s_lshl_b64 s[24:25], s[24:25], 2
	s_add_nc_u64 s[24:25], s[18:19], s[24:25]
.LBB10_33:                              ;   Parent Loop BB10_9 Depth=1
                                        ; =>  This Inner Loop Header: Depth=2
	global_load_b32 v9, v5, s[24:25] scope:SCOPE_DEV
	s_wait_loadcnt 0x0
	v_cmp_eq_u32_e32 vcc_lo, 0, v9
	s_cbranch_vccnz .LBB10_33
.LBB10_34:                              ;   in Loop: Header=BB10_9 Depth=1
	s_wait_xcnt 0x0
	s_or_b32 exec_lo, exec_lo, s23
	v_mov_b32_e32 v10, 0
	s_wait_storecnt 0x0
	s_barrier_signal -1
	s_barrier_wait -1
	global_inv scope:SCOPE_DEV
	s_and_saveexec_b32 s24, s2
	s_cbranch_execz .LBB10_36
; %bb.35:                               ;   in Loop: Header=BB10_9 Depth=1
	s_ashr_i32 s23, s22, 31
	s_delay_alu instid0(SALU_CYCLE_1) | instskip(NEXT) | instid1(SALU_CYCLE_1)
	s_mul_u64 s[22:23], s[10:11], s[22:23]
	v_lshl_add_u64 v[10:11], s[22:23], 2, v[2:3]
	global_load_b32 v9, v[10:11], off
	s_wait_loadcnt 0x0
	v_fma_f32 v10, -v8, v9, v6
.LBB10_36:                              ;   in Loop: Header=BB10_9 Depth=1
	s_or_b32 exec_lo, exec_lo, s24
	v_mov_b32_e32 v9, v7
	s_mov_b32 s25, 0
	s_branch .LBB10_17
.LBB10_37:                              ;   in Loop: Header=BB10_9 Depth=1
	v_div_scale_f32 v9, null, v8, v8, 1.0
	v_div_scale_f32 v12, vcc_lo, 1.0, v8, 1.0
	s_mov_b32 s25, 2
	v_rcp_f32_e32 v10, v9
	v_nop
	s_delay_alu instid0(TRANS32_DEP_1) | instskip(NEXT) | instid1(VALU_DEP_1)
	v_fma_f32 v11, -v9, v10, 1.0
	v_fmac_f32_e32 v10, v11, v10
	s_delay_alu instid0(VALU_DEP_1) | instskip(NEXT) | instid1(VALU_DEP_1)
	v_mul_f32_e32 v11, v12, v10
	v_fma_f32 v13, -v9, v11, v12
	s_delay_alu instid0(VALU_DEP_1) | instskip(NEXT) | instid1(VALU_DEP_1)
	v_fmac_f32_e32 v11, v13, v10
	v_fma_f32 v9, -v9, v11, v12
	s_delay_alu instid0(VALU_DEP_1) | instskip(SKIP_1) | instid1(VALU_DEP_2)
	v_div_fmas_f32 v9, v9, v10, v11
	v_mov_b32_e32 v10, v6
	v_div_fixup_f32 v8, v9, v8, 1.0
	s_delay_alu instid0(VALU_DEP_1)
	v_cndmask_b32_e64 v9, v7, v8, s1
	s_mov_b32 s22, -1
	s_cmp_gt_i32 s25, 3
	s_mov_b32 s23, -1
	s_cbranch_scc1 .LBB10_18
.LBB10_38:                              ;   in Loop: Header=BB10_9 Depth=1
	s_cmp_eq_u32 s25, 0
	s_cselect_b32 s23, -1, 0
	s_delay_alu instid0(SALU_CYCLE_1)
	s_and_not1_b32 vcc_lo, exec_lo, s23
	s_cbranch_vccnz .LBB10_19
.LBB10_39:                              ;   in Loop: Header=BB10_9 Depth=1
	s_add_co_i32 s29, s29, 1
	s_delay_alu instid0(SALU_CYCLE_1) | instskip(SKIP_1) | instid1(SALU_CYCLE_1)
	s_cmp_ge_i32 s29, s26
	s_cselect_b32 s22, -1, 0
	s_and_not1_b32 vcc_lo, exec_lo, s22
	s_cbranch_vccz .LBB10_42
.LBB10_40:                              ;   in Loop: Header=BB10_9 Depth=1
	v_dual_mov_b32 v6, v10 :: v_dual_mov_b32 v7, v9
	s_sub_co_i32 s22, s29, s17
	s_delay_alu instid0(SALU_CYCLE_1) | instskip(NEXT) | instid1(SALU_CYCLE_1)
	s_and_b32 s22, s22, 0x3ff
	s_cmp_lg_u32 s22, 0
	s_cbranch_scc1 .LBB10_9
	s_branch .LBB10_6
.LBB10_41:
	v_mov_b32_e32 v10, v6
.LBB10_42:
	s_and_saveexec_b32 s0, s2
	s_cbranch_execz .LBB10_44
; %bb.43:
	s_delay_alu instid0(VALU_DEP_1) | instskip(SKIP_3) | instid1(VALU_DEP_2)
	v_mul_f32_e32 v1, v9, v10
	s_cmp_eq_u32 s6, 0
	v_lshl_add_u64 v[2:3], s[20:21], 2, v[2:3]
	s_cselect_b32 vcc_lo, -1, 0
	v_cndmask_b32_e32 v1, v10, v1, vcc_lo
	global_store_b32 v[2:3], v1, off
.LBB10_44:
	s_wait_xcnt 0x0
	s_or_b32 exec_lo, exec_lo, s0
	global_wb scope:SCOPE_DEV
	s_wait_loadcnt 0x0
	s_wait_storecnt 0x0
	global_inv scope:SCOPE_DEV
	s_wait_loadcnt 0x0
	s_barrier_signal -1
	s_barrier_wait -1
	s_mov_b32 s0, exec_lo
	v_cmpx_eq_u32_e32 0, v0
	s_cbranch_execz .LBB10_46
; %bb.45:
	s_add_co_i32 s0, s16, s7
	s_delay_alu instid0(SALU_CYCLE_1)
	v_dual_mov_b32 v0, 1 :: v_dual_mov_b32 v1, s0
	global_store_b32 v1, v0, s[18:19] scale_offset scope:SCOPE_DEV
.LBB10_46:
	s_endpgm
	.section	.rodata,"a",@progbits
	.p2align	6, 0x0
	.amdhsa_kernel _ZN9rocsparseL5csrsmILj1024ELj64ELb0EiifEEv20rocsparse_operation_T3_S2_NS_24const_host_device_scalarIT4_EEPKT2_PKS2_PKS4_PS4_lPiSA_PS2_21rocsparse_index_base_20rocsparse_fill_mode_20rocsparse_diag_type_b
		.amdhsa_group_segment_fixed_size 8192
		.amdhsa_private_segment_fixed_size 0
		.amdhsa_kernarg_size 104
		.amdhsa_user_sgpr_count 2
		.amdhsa_user_sgpr_dispatch_ptr 0
		.amdhsa_user_sgpr_queue_ptr 0
		.amdhsa_user_sgpr_kernarg_segment_ptr 1
		.amdhsa_user_sgpr_dispatch_id 0
		.amdhsa_user_sgpr_kernarg_preload_length 0
		.amdhsa_user_sgpr_kernarg_preload_offset 0
		.amdhsa_user_sgpr_private_segment_size 0
		.amdhsa_wavefront_size32 1
		.amdhsa_uses_dynamic_stack 0
		.amdhsa_enable_private_segment 0
		.amdhsa_system_sgpr_workgroup_id_x 1
		.amdhsa_system_sgpr_workgroup_id_y 0
		.amdhsa_system_sgpr_workgroup_id_z 0
		.amdhsa_system_sgpr_workgroup_info 0
		.amdhsa_system_vgpr_workitem_id 0
		.amdhsa_next_free_vgpr 14
		.amdhsa_next_free_sgpr 30
		.amdhsa_named_barrier_count 0
		.amdhsa_reserve_vcc 1
		.amdhsa_float_round_mode_32 0
		.amdhsa_float_round_mode_16_64 0
		.amdhsa_float_denorm_mode_32 3
		.amdhsa_float_denorm_mode_16_64 3
		.amdhsa_fp16_overflow 0
		.amdhsa_memory_ordered 1
		.amdhsa_forward_progress 1
		.amdhsa_inst_pref_size 13
		.amdhsa_round_robin_scheduling 0
		.amdhsa_exception_fp_ieee_invalid_op 0
		.amdhsa_exception_fp_denorm_src 0
		.amdhsa_exception_fp_ieee_div_zero 0
		.amdhsa_exception_fp_ieee_overflow 0
		.amdhsa_exception_fp_ieee_underflow 0
		.amdhsa_exception_fp_ieee_inexact 0
		.amdhsa_exception_int_div_zero 0
	.end_amdhsa_kernel
	.section	.text._ZN9rocsparseL5csrsmILj1024ELj64ELb0EiifEEv20rocsparse_operation_T3_S2_NS_24const_host_device_scalarIT4_EEPKT2_PKS2_PKS4_PS4_lPiSA_PS2_21rocsparse_index_base_20rocsparse_fill_mode_20rocsparse_diag_type_b,"axG",@progbits,_ZN9rocsparseL5csrsmILj1024ELj64ELb0EiifEEv20rocsparse_operation_T3_S2_NS_24const_host_device_scalarIT4_EEPKT2_PKS2_PKS4_PS4_lPiSA_PS2_21rocsparse_index_base_20rocsparse_fill_mode_20rocsparse_diag_type_b,comdat
.Lfunc_end10:
	.size	_ZN9rocsparseL5csrsmILj1024ELj64ELb0EiifEEv20rocsparse_operation_T3_S2_NS_24const_host_device_scalarIT4_EEPKT2_PKS2_PKS4_PS4_lPiSA_PS2_21rocsparse_index_base_20rocsparse_fill_mode_20rocsparse_diag_type_b, .Lfunc_end10-_ZN9rocsparseL5csrsmILj1024ELj64ELb0EiifEEv20rocsparse_operation_T3_S2_NS_24const_host_device_scalarIT4_EEPKT2_PKS2_PKS4_PS4_lPiSA_PS2_21rocsparse_index_base_20rocsparse_fill_mode_20rocsparse_diag_type_b
                                        ; -- End function
	.set _ZN9rocsparseL5csrsmILj1024ELj64ELb0EiifEEv20rocsparse_operation_T3_S2_NS_24const_host_device_scalarIT4_EEPKT2_PKS2_PKS4_PS4_lPiSA_PS2_21rocsparse_index_base_20rocsparse_fill_mode_20rocsparse_diag_type_b.num_vgpr, 14
	.set _ZN9rocsparseL5csrsmILj1024ELj64ELb0EiifEEv20rocsparse_operation_T3_S2_NS_24const_host_device_scalarIT4_EEPKT2_PKS2_PKS4_PS4_lPiSA_PS2_21rocsparse_index_base_20rocsparse_fill_mode_20rocsparse_diag_type_b.num_agpr, 0
	.set _ZN9rocsparseL5csrsmILj1024ELj64ELb0EiifEEv20rocsparse_operation_T3_S2_NS_24const_host_device_scalarIT4_EEPKT2_PKS2_PKS4_PS4_lPiSA_PS2_21rocsparse_index_base_20rocsparse_fill_mode_20rocsparse_diag_type_b.numbered_sgpr, 30
	.set _ZN9rocsparseL5csrsmILj1024ELj64ELb0EiifEEv20rocsparse_operation_T3_S2_NS_24const_host_device_scalarIT4_EEPKT2_PKS2_PKS4_PS4_lPiSA_PS2_21rocsparse_index_base_20rocsparse_fill_mode_20rocsparse_diag_type_b.num_named_barrier, 0
	.set _ZN9rocsparseL5csrsmILj1024ELj64ELb0EiifEEv20rocsparse_operation_T3_S2_NS_24const_host_device_scalarIT4_EEPKT2_PKS2_PKS4_PS4_lPiSA_PS2_21rocsparse_index_base_20rocsparse_fill_mode_20rocsparse_diag_type_b.private_seg_size, 0
	.set _ZN9rocsparseL5csrsmILj1024ELj64ELb0EiifEEv20rocsparse_operation_T3_S2_NS_24const_host_device_scalarIT4_EEPKT2_PKS2_PKS4_PS4_lPiSA_PS2_21rocsparse_index_base_20rocsparse_fill_mode_20rocsparse_diag_type_b.uses_vcc, 1
	.set _ZN9rocsparseL5csrsmILj1024ELj64ELb0EiifEEv20rocsparse_operation_T3_S2_NS_24const_host_device_scalarIT4_EEPKT2_PKS2_PKS4_PS4_lPiSA_PS2_21rocsparse_index_base_20rocsparse_fill_mode_20rocsparse_diag_type_b.uses_flat_scratch, 0
	.set _ZN9rocsparseL5csrsmILj1024ELj64ELb0EiifEEv20rocsparse_operation_T3_S2_NS_24const_host_device_scalarIT4_EEPKT2_PKS2_PKS4_PS4_lPiSA_PS2_21rocsparse_index_base_20rocsparse_fill_mode_20rocsparse_diag_type_b.has_dyn_sized_stack, 0
	.set _ZN9rocsparseL5csrsmILj1024ELj64ELb0EiifEEv20rocsparse_operation_T3_S2_NS_24const_host_device_scalarIT4_EEPKT2_PKS2_PKS4_PS4_lPiSA_PS2_21rocsparse_index_base_20rocsparse_fill_mode_20rocsparse_diag_type_b.has_recursion, 0
	.set _ZN9rocsparseL5csrsmILj1024ELj64ELb0EiifEEv20rocsparse_operation_T3_S2_NS_24const_host_device_scalarIT4_EEPKT2_PKS2_PKS4_PS4_lPiSA_PS2_21rocsparse_index_base_20rocsparse_fill_mode_20rocsparse_diag_type_b.has_indirect_call, 0
	.section	.AMDGPU.csdata,"",@progbits
; Kernel info:
; codeLenInByte = 1612
; TotalNumSgprs: 32
; NumVgprs: 14
; ScratchSize: 0
; MemoryBound: 0
; FloatMode: 240
; IeeeMode: 1
; LDSByteSize: 8192 bytes/workgroup (compile time only)
; SGPRBlocks: 0
; VGPRBlocks: 0
; NumSGPRsForWavesPerEU: 32
; NumVGPRsForWavesPerEU: 14
; NamedBarCnt: 0
; Occupancy: 16
; WaveLimiterHint : 1
; COMPUTE_PGM_RSRC2:SCRATCH_EN: 0
; COMPUTE_PGM_RSRC2:USER_SGPR: 2
; COMPUTE_PGM_RSRC2:TRAP_HANDLER: 0
; COMPUTE_PGM_RSRC2:TGID_X_EN: 1
; COMPUTE_PGM_RSRC2:TGID_Y_EN: 0
; COMPUTE_PGM_RSRC2:TGID_Z_EN: 0
; COMPUTE_PGM_RSRC2:TIDIG_COMP_CNT: 0
	.section	.text._ZN9rocsparseL23csrsm_solve_copy_y_to_BILj1024EdEEvlPT0_lPKS1_,"axG",@progbits,_ZN9rocsparseL23csrsm_solve_copy_y_to_BILj1024EdEEvlPT0_lPKS1_,comdat
	.globl	_ZN9rocsparseL23csrsm_solve_copy_y_to_BILj1024EdEEvlPT0_lPKS1_ ; -- Begin function _ZN9rocsparseL23csrsm_solve_copy_y_to_BILj1024EdEEvlPT0_lPKS1_
	.p2align	8
	.type	_ZN9rocsparseL23csrsm_solve_copy_y_to_BILj1024EdEEvlPT0_lPKS1_,@function
_ZN9rocsparseL23csrsm_solve_copy_y_to_BILj1024EdEEvlPT0_lPKS1_: ; @_ZN9rocsparseL23csrsm_solve_copy_y_to_BILj1024EdEEvlPT0_lPKS1_
; %bb.0:
	s_load_b256 s[4:11], s[0:1], 0x0
	s_wait_xcnt 0x0
	s_bfe_u32 s0, ttmp6, 0x4000c
	s_and_b32 s1, ttmp6, 15
	s_add_co_i32 s0, s0, 1
	s_getreg_b32 s2, hwreg(HW_REG_IB_STS2, 6, 4)
	s_mul_i32 s0, ttmp9, s0
	v_mov_b32_e32 v1, 0
	s_add_co_i32 s1, s1, s0
	s_cmp_eq_u32 s2, 0
	s_cselect_b32 s0, ttmp9, s1
	s_delay_alu instid0(SALU_CYCLE_1) | instskip(SKIP_2) | instid1(VALU_DEP_1)
	v_lshl_or_b32 v0, s0, 10, v0
	s_mov_b32 s0, exec_lo
	s_wait_kmcnt 0x0
	v_cmpx_gt_u64_e64 s[4:5], v[0:1]
	s_cbranch_execz .LBB11_2
; %bb.1:
	v_lshl_add_u64 v[2:3], v[0:1], 3, s[10:11]
	v_mul_u64_e32 v[0:1], s[8:9], v[0:1]
	global_load_b64 v[2:3], v[2:3], off
	v_lshl_add_u64 v[0:1], v[0:1], 3, s[6:7]
	s_wait_loadcnt 0x0
	global_store_b64 v[0:1], v[2:3], off
.LBB11_2:
	s_endpgm
	.section	.rodata,"a",@progbits
	.p2align	6, 0x0
	.amdhsa_kernel _ZN9rocsparseL23csrsm_solve_copy_y_to_BILj1024EdEEvlPT0_lPKS1_
		.amdhsa_group_segment_fixed_size 0
		.amdhsa_private_segment_fixed_size 0
		.amdhsa_kernarg_size 32
		.amdhsa_user_sgpr_count 2
		.amdhsa_user_sgpr_dispatch_ptr 0
		.amdhsa_user_sgpr_queue_ptr 0
		.amdhsa_user_sgpr_kernarg_segment_ptr 1
		.amdhsa_user_sgpr_dispatch_id 0
		.amdhsa_user_sgpr_kernarg_preload_length 0
		.amdhsa_user_sgpr_kernarg_preload_offset 0
		.amdhsa_user_sgpr_private_segment_size 0
		.amdhsa_wavefront_size32 1
		.amdhsa_uses_dynamic_stack 0
		.amdhsa_enable_private_segment 0
		.amdhsa_system_sgpr_workgroup_id_x 1
		.amdhsa_system_sgpr_workgroup_id_y 0
		.amdhsa_system_sgpr_workgroup_id_z 0
		.amdhsa_system_sgpr_workgroup_info 0
		.amdhsa_system_vgpr_workitem_id 0
		.amdhsa_next_free_vgpr 4
		.amdhsa_next_free_sgpr 12
		.amdhsa_named_barrier_count 0
		.amdhsa_reserve_vcc 0
		.amdhsa_float_round_mode_32 0
		.amdhsa_float_round_mode_16_64 0
		.amdhsa_float_denorm_mode_32 3
		.amdhsa_float_denorm_mode_16_64 3
		.amdhsa_fp16_overflow 0
		.amdhsa_memory_ordered 1
		.amdhsa_forward_progress 1
		.amdhsa_inst_pref_size 2
		.amdhsa_round_robin_scheduling 0
		.amdhsa_exception_fp_ieee_invalid_op 0
		.amdhsa_exception_fp_denorm_src 0
		.amdhsa_exception_fp_ieee_div_zero 0
		.amdhsa_exception_fp_ieee_overflow 0
		.amdhsa_exception_fp_ieee_underflow 0
		.amdhsa_exception_fp_ieee_inexact 0
		.amdhsa_exception_int_div_zero 0
	.end_amdhsa_kernel
	.section	.text._ZN9rocsparseL23csrsm_solve_copy_y_to_BILj1024EdEEvlPT0_lPKS1_,"axG",@progbits,_ZN9rocsparseL23csrsm_solve_copy_y_to_BILj1024EdEEvlPT0_lPKS1_,comdat
.Lfunc_end11:
	.size	_ZN9rocsparseL23csrsm_solve_copy_y_to_BILj1024EdEEvlPT0_lPKS1_, .Lfunc_end11-_ZN9rocsparseL23csrsm_solve_copy_y_to_BILj1024EdEEvlPT0_lPKS1_
                                        ; -- End function
	.set _ZN9rocsparseL23csrsm_solve_copy_y_to_BILj1024EdEEvlPT0_lPKS1_.num_vgpr, 4
	.set _ZN9rocsparseL23csrsm_solve_copy_y_to_BILj1024EdEEvlPT0_lPKS1_.num_agpr, 0
	.set _ZN9rocsparseL23csrsm_solve_copy_y_to_BILj1024EdEEvlPT0_lPKS1_.numbered_sgpr, 12
	.set _ZN9rocsparseL23csrsm_solve_copy_y_to_BILj1024EdEEvlPT0_lPKS1_.num_named_barrier, 0
	.set _ZN9rocsparseL23csrsm_solve_copy_y_to_BILj1024EdEEvlPT0_lPKS1_.private_seg_size, 0
	.set _ZN9rocsparseL23csrsm_solve_copy_y_to_BILj1024EdEEvlPT0_lPKS1_.uses_vcc, 0
	.set _ZN9rocsparseL23csrsm_solve_copy_y_to_BILj1024EdEEvlPT0_lPKS1_.uses_flat_scratch, 0
	.set _ZN9rocsparseL23csrsm_solve_copy_y_to_BILj1024EdEEvlPT0_lPKS1_.has_dyn_sized_stack, 0
	.set _ZN9rocsparseL23csrsm_solve_copy_y_to_BILj1024EdEEvlPT0_lPKS1_.has_recursion, 0
	.set _ZN9rocsparseL23csrsm_solve_copy_y_to_BILj1024EdEEvlPT0_lPKS1_.has_indirect_call, 0
	.section	.AMDGPU.csdata,"",@progbits
; Kernel info:
; codeLenInByte = 136
; TotalNumSgprs: 12
; NumVgprs: 4
; ScratchSize: 0
; MemoryBound: 0
; FloatMode: 240
; IeeeMode: 1
; LDSByteSize: 0 bytes/workgroup (compile time only)
; SGPRBlocks: 0
; VGPRBlocks: 0
; NumSGPRsForWavesPerEU: 12
; NumVGPRsForWavesPerEU: 4
; NamedBarCnt: 0
; Occupancy: 16
; WaveLimiterHint : 0
; COMPUTE_PGM_RSRC2:SCRATCH_EN: 0
; COMPUTE_PGM_RSRC2:USER_SGPR: 2
; COMPUTE_PGM_RSRC2:TRAP_HANDLER: 0
; COMPUTE_PGM_RSRC2:TGID_X_EN: 1
; COMPUTE_PGM_RSRC2:TGID_Y_EN: 0
; COMPUTE_PGM_RSRC2:TGID_Z_EN: 0
; COMPUTE_PGM_RSRC2:TIDIG_COMP_CNT: 0
	.section	.text._ZN9rocsparseL5csrsmILj64ELj64ELb1EiidEEv20rocsparse_operation_T3_S2_NS_24const_host_device_scalarIT4_EEPKT2_PKS2_PKS4_PS4_lPiSA_PS2_21rocsparse_index_base_20rocsparse_fill_mode_20rocsparse_diag_type_b,"axG",@progbits,_ZN9rocsparseL5csrsmILj64ELj64ELb1EiidEEv20rocsparse_operation_T3_S2_NS_24const_host_device_scalarIT4_EEPKT2_PKS2_PKS4_PS4_lPiSA_PS2_21rocsparse_index_base_20rocsparse_fill_mode_20rocsparse_diag_type_b,comdat
	.globl	_ZN9rocsparseL5csrsmILj64ELj64ELb1EiidEEv20rocsparse_operation_T3_S2_NS_24const_host_device_scalarIT4_EEPKT2_PKS2_PKS4_PS4_lPiSA_PS2_21rocsparse_index_base_20rocsparse_fill_mode_20rocsparse_diag_type_b ; -- Begin function _ZN9rocsparseL5csrsmILj64ELj64ELb1EiidEEv20rocsparse_operation_T3_S2_NS_24const_host_device_scalarIT4_EEPKT2_PKS2_PKS4_PS4_lPiSA_PS2_21rocsparse_index_base_20rocsparse_fill_mode_20rocsparse_diag_type_b
	.p2align	8
	.type	_ZN9rocsparseL5csrsmILj64ELj64ELb1EiidEEv20rocsparse_operation_T3_S2_NS_24const_host_device_scalarIT4_EEPKT2_PKS2_PKS4_PS4_lPiSA_PS2_21rocsparse_index_base_20rocsparse_fill_mode_20rocsparse_diag_type_b,@function
_ZN9rocsparseL5csrsmILj64ELj64ELb1EiidEEv20rocsparse_operation_T3_S2_NS_24const_host_device_scalarIT4_EEPKT2_PKS2_PKS4_PS4_lPiSA_PS2_21rocsparse_index_base_20rocsparse_fill_mode_20rocsparse_diag_type_b: ; @_ZN9rocsparseL5csrsmILj64ELj64ELb1EiidEEv20rocsparse_operation_T3_S2_NS_24const_host_device_scalarIT4_EEPKT2_PKS2_PKS4_PS4_lPiSA_PS2_21rocsparse_index_base_20rocsparse_fill_mode_20rocsparse_diag_type_b
; %bb.0:
	s_clause 0x2
	s_load_b128 s[4:7], s[0:1], 0x58
	s_load_b128 s[12:15], s[0:1], 0x10
	s_load_b64 s[2:3], s[0:1], 0x48
	s_wait_kmcnt 0x0
	s_bitcmp1_b32 s7, 0
	v_mov_b64_e32 v[2:3], s[12:13]
	s_cselect_b32 s7, -1, 0
	s_delay_alu instid0(SALU_CYCLE_1)
	s_and_b32 vcc_lo, exec_lo, s7
	s_cbranch_vccnz .LBB12_2
; %bb.1:
	v_mov_b32_e32 v1, 0
	flat_load_b64 v[2:3], v1, s[12:13]
.LBB12_2:
	s_wait_xcnt 0x0
	s_load_b64 s[12:13], s[0:1], 0x4
	s_bfe_u32 s9, ttmp6, 0x4000c
	s_and_b32 s8, ttmp6, 15
	s_add_co_i32 s9, s9, 1
	s_getreg_b32 s11, hwreg(HW_REG_IB_STS2, 6, 4)
	s_mul_i32 s9, ttmp9, s9
	v_mov_b64_e32 v[4:5], 0
	s_add_co_i32 s8, s8, s9
	s_wait_kmcnt 0x0
	s_cvt_f32_u32 s7, s12
	s_sub_co_i32 s10, 0, s12
	s_delay_alu instid0(SALU_CYCLE_2) | instskip(SKIP_1) | instid1(TRANS32_DEP_1)
	v_rcp_iflag_f32_e32 v1, s7
	v_nop
	v_readfirstlane_b32 s7, v1
	s_mul_f32 s7, s7, 0x4f7ffffe
	s_delay_alu instid0(SALU_CYCLE_3) | instskip(NEXT) | instid1(SALU_CYCLE_3)
	s_cvt_u32_f32 s7, s7
	s_mul_i32 s10, s10, s7
	s_delay_alu instid0(SALU_CYCLE_1) | instskip(NEXT) | instid1(SALU_CYCLE_1)
	s_mul_hi_u32 s10, s7, s10
	s_add_co_i32 s7, s7, s10
	s_cmp_eq_u32 s11, 0
	s_cselect_b32 s8, ttmp9, s8
	s_delay_alu instid0(SALU_CYCLE_1) | instskip(NEXT) | instid1(SALU_CYCLE_1)
	s_mul_hi_u32 s7, s8, s7
	s_mul_i32 s9, s7, s12
	s_add_co_i32 s10, s7, 1
	s_sub_co_i32 s9, s8, s9
	s_delay_alu instid0(SALU_CYCLE_1)
	s_sub_co_i32 s11, s9, s12
	s_cmp_ge_u32 s9, s12
	s_cselect_b32 s7, s10, s7
	s_cselect_b32 s9, s11, s9
	s_add_co_i32 s10, s7, 1
	s_cmp_ge_u32 s9, s12
	s_cselect_b32 s20, s10, s7
	s_delay_alu instid0(SALU_CYCLE_1) | instskip(SKIP_2) | instid1(SALU_CYCLE_1)
	s_mul_i32 s7, s20, s12
	v_lshl_or_b32 v6, s20, 6, v0
	s_sub_co_i32 s8, s8, s7
	s_ashr_i32 s9, s8, 31
	s_delay_alu instid0(VALU_DEP_1) | instskip(SKIP_1) | instid1(SALU_CYCLE_1)
	v_ashrrev_i32_e32 v7, 31, v6
	s_lshl_b64 s[8:9], s[8:9], 2
	s_add_nc_u64 s[2:3], s[2:3], s[8:9]
	s_load_b128 s[8:11], s[0:1], 0x30
	s_load_b32 s16, s[2:3], 0x0
	s_wait_kmcnt 0x0
	s_ashr_i32 s17, s16, 31
	s_delay_alu instid0(SALU_CYCLE_1)
	s_lshl_b64 s[2:3], s[16:17], 2
	s_mul_u64 s[20:21], s[10:11], s[16:17]
	s_add_nc_u64 s[2:3], s[14:15], s[2:3]
	s_load_b64 s[18:19], s[0:1], 0x40
	s_load_b64 s[22:23], s[2:3], 0x0
	s_wait_xcnt 0x0
	v_cmp_gt_i32_e64 s2, s13, v6
	s_and_saveexec_b32 s3, s2
	s_cbranch_execz .LBB12_4
; %bb.3:
	v_add_nc_u64_e32 v[4:5], s[20:21], v[6:7]
	s_delay_alu instid0(VALU_DEP_1)
	v_lshl_add_u64 v[4:5], v[4:5], 3, s[8:9]
	global_load_b64 v[4:5], v[4:5], off
	s_wait_loadcnt_dscnt 0x0
	v_mul_f64_e32 v[4:5], v[2:3], v[4:5]
.LBB12_4:
	s_or_b32 exec_lo, exec_lo, s3
	v_mov_b64_e32 v[10:11], 1.0
	s_wait_loadcnt_dscnt 0x0
	v_lshl_add_u64 v[2:3], v[6:7], 3, s[8:9]
	v_cmp_eq_u32_e64 s3, 0, v0
	s_wait_kmcnt 0x0
	s_cmp_ge_i32 s22, s23
	s_cbranch_scc1 .LBB12_43
; %bb.5:
	s_clause 0x1
	s_load_b64 s[8:9], s[0:1], 0x50
	s_load_b128 s[12:15], s[0:1], 0x20
	s_sub_co_i32 s17, s22, s4
	s_sub_co_i32 s26, s23, s4
	s_cmp_lg_u32 s6, 0
	v_mov_b64_e32 v[6:7], 1.0
	v_lshl_or_b32 v1, v0, 2, 0x200
	v_dual_mov_b32 v15, 0 :: v_dual_lshlrev_b32 v14, 3, v0
	s_cselect_b32 s27, -1, 0
	s_wait_xcnt 0x0
	v_cmp_ne_u32_e64 s0, 0, v0
	s_add_co_i32 s28, s16, s4
	s_cmp_eq_u32 s6, 0
	s_mov_b32 s29, s17
	s_cselect_b32 s1, -1, 0
	s_sub_co_i32 s22, s29, s17
	s_delay_alu instid0(SALU_CYCLE_1) | instskip(NEXT) | instid1(SALU_CYCLE_1)
	s_and_b32 s22, s22, 63
	s_cmp_lg_u32 s22, 0
	s_cbranch_scc1 .LBB12_9
.LBB12_6:
	s_sub_co_i32 s23, s26, s29
	v_mov_b64_e32 v[8:9], -1.0
	v_cmp_gt_u32_e32 vcc_lo, s23, v0
	v_mov_b32_e32 v10, -1
	s_and_saveexec_b32 s23, vcc_lo
	s_cbranch_execz .LBB12_8
; %bb.7:
	v_add_nc_u32_e32 v10, s29, v0
	s_wait_kmcnt 0x0
	s_clause 0x1
	global_load_b32 v11, v10, s[12:13] scale_offset
	global_load_b64 v[8:9], v10, s[14:15] scale_offset
	s_wait_loadcnt 0x1
	s_wait_xcnt 0x0
	v_subrev_nc_u32_e32 v10, s4, v11
.LBB12_8:
	s_or_b32 exec_lo, exec_lo, s23
	ds_store_b32 v1, v10
	s_wait_loadcnt 0x0
	ds_store_b64 v14, v[8:9]
.LBB12_9:                               ; =>This Loop Header: Depth=1
                                        ;     Child Loop BB12_41 Depth 2
                                        ;       Child Loop BB12_42 Depth 3
	s_lshl_b32 s23, s22, 3
	s_lshl_b32 s22, s22, 2
	s_delay_alu instid0(SALU_CYCLE_1)
	v_dual_mov_b32 v8, s23 :: v_dual_mov_b32 v10, s22
	s_wait_dscnt 0x0
	s_barrier_signal -1
	s_barrier_wait -1
	ds_load_b64 v[8:9], v8
	ds_load_b32 v10, v10 offset:512
	s_wait_dscnt 0x1
	v_cmp_neq_f64_e32 vcc_lo, 0, v[8:9]
	s_wait_dscnt 0x0
	v_readfirstlane_b32 s22, v10
	s_cmp_lg_u32 s22, s16
	s_cselect_b32 s23, -1, 0
	s_delay_alu instid0(SALU_CYCLE_1) | instskip(NEXT) | instid1(SALU_CYCLE_1)
	s_or_b32 s23, s27, s23
	s_or_b32 vcc_lo, vcc_lo, s23
	v_cndmask_b32_e32 v9, 0x3ff00000, v9, vcc_lo
	v_cndmask_b32_e32 v8, 0, v8, vcc_lo
	s_nor_b32 s24, s0, vcc_lo
	s_delay_alu instid0(SALU_CYCLE_1)
	s_and_saveexec_b32 s23, s24
	s_cbranch_execz .LBB12_13
; %bb.10:                               ;   in Loop: Header=BB12_9 Depth=1
	v_mbcnt_lo_u32_b32 v8, exec_lo, 0
	s_mov_b32 s24, exec_lo
	s_delay_alu instid0(VALU_DEP_1)
	v_cmpx_eq_u32_e32 0, v8
	s_cbranch_execz .LBB12_12
; %bb.11:                               ;   in Loop: Header=BB12_9 Depth=1
	v_mov_b32_e32 v8, s28
	s_wait_kmcnt 0x0
	global_atomic_min_i32 v15, v8, s[8:9] scope:SCOPE_DEV
.LBB12_12:                              ;   in Loop: Header=BB12_9 Depth=1
	s_wait_xcnt 0x0
	s_or_b32 exec_lo, exec_lo, s24
	v_mov_b64_e32 v[8:9], 1.0
.LBB12_13:                              ;   in Loop: Header=BB12_9 Depth=1
	s_or_b32 exec_lo, exec_lo, s23
	s_mov_b32 s25, -1
	s_mov_b32 s23, 0
	s_cmp_lt_i32 s5, 1
	s_mov_b32 s24, 0
                                        ; implicit-def: $vgpr10_vgpr11
	s_cbranch_scc0 .LBB12_20
; %bb.14:                               ;   in Loop: Header=BB12_9 Depth=1
	s_and_b32 vcc_lo, exec_lo, s25
	s_mov_b32 s25, 4
	s_cbranch_vccnz .LBB12_25
.LBB12_15:                              ;   in Loop: Header=BB12_9 Depth=1
	v_mov_b64_e32 v[12:13], v[4:5]
	s_and_b32 vcc_lo, exec_lo, s24
	s_cbranch_vccnz .LBB12_30
.LBB12_16:                              ;   in Loop: Header=BB12_9 Depth=1
	s_and_b32 vcc_lo, exec_lo, s23
	s_cbranch_vccnz .LBB12_35
.LBB12_17:                              ;   in Loop: Header=BB12_9 Depth=1
	s_mov_b32 s22, -1
	s_cmp_gt_i32 s25, 3
	s_mov_b32 s23, -1
	s_cbranch_scc0 .LBB12_36
.LBB12_18:                              ;   in Loop: Header=BB12_9 Depth=1
	s_and_not1_b32 vcc_lo, exec_lo, s23
	s_cbranch_vccz .LBB12_37
.LBB12_19:                              ;   in Loop: Header=BB12_9 Depth=1
	s_and_not1_b32 vcc_lo, exec_lo, s22
	s_cbranch_vccnz .LBB12_38
	s_branch .LBB12_44
.LBB12_20:                              ;   in Loop: Header=BB12_9 Depth=1
	s_cmp_eq_u32 s5, 1
	s_mov_b32 s24, -1
                                        ; implicit-def: $vgpr10_vgpr11
	s_cbranch_scc0 .LBB12_24
; %bb.21:                               ;   in Loop: Header=BB12_9 Depth=1
	v_mov_b64_e32 v[10:11], v[6:7]
	s_cmp_ge_i32 s22, s16
	s_mov_b32 s24, 0
	s_cbranch_scc0 .LBB12_24
; %bb.22:                               ;   in Loop: Header=BB12_9 Depth=1
	s_cmp_eq_u32 s22, s16
	s_mov_b32 s24, -1
                                        ; implicit-def: $vgpr10_vgpr11
	s_cbranch_scc0 .LBB12_24
; %bb.23:                               ;   in Loop: Header=BB12_9 Depth=1
	v_div_scale_f64 v[10:11], null, v[8:9], v[8:9], 1.0
	v_div_scale_f64 v[18:19], vcc_lo, 1.0, v[8:9], 1.0
	s_mov_b32 s24, 0
	v_rcp_f64_e32 v[12:13], v[10:11]
	v_nop
	s_delay_alu instid0(TRANS32_DEP_1) | instskip(NEXT) | instid1(VALU_DEP_1)
	v_fma_f64 v[16:17], -v[10:11], v[12:13], 1.0
	v_fmac_f64_e32 v[12:13], v[12:13], v[16:17]
	s_delay_alu instid0(VALU_DEP_1) | instskip(NEXT) | instid1(VALU_DEP_1)
	v_fma_f64 v[16:17], -v[10:11], v[12:13], 1.0
	v_fmac_f64_e32 v[12:13], v[12:13], v[16:17]
	s_delay_alu instid0(VALU_DEP_1) | instskip(NEXT) | instid1(VALU_DEP_1)
	v_mul_f64_e32 v[16:17], v[18:19], v[12:13]
	v_fma_f64 v[10:11], -v[10:11], v[16:17], v[18:19]
	s_delay_alu instid0(VALU_DEP_1) | instskip(NEXT) | instid1(VALU_DEP_1)
	v_div_fmas_f64 v[10:11], v[10:11], v[12:13], v[16:17]
	v_div_fixup_f64 v[10:11], v[10:11], v[8:9], 1.0
	s_delay_alu instid0(VALU_DEP_1)
	v_dual_cndmask_b32 v11, v7, v11, s1 :: v_dual_cndmask_b32 v10, v6, v10, s1
.LBB12_24:                              ;   in Loop: Header=BB12_9 Depth=1
	s_mov_b32 s25, 4
	s_branch .LBB12_15
.LBB12_25:                              ;   in Loop: Header=BB12_9 Depth=1
	s_cmp_eq_u32 s5, 0
	s_cbranch_scc1 .LBB12_27
; %bb.26:                               ;   in Loop: Header=BB12_9 Depth=1
	s_mov_b32 s24, -1
	s_branch .LBB12_29
.LBB12_27:                              ;   in Loop: Header=BB12_9 Depth=1
	s_cmp_le_i32 s22, s16
	s_mov_b32 s24, 0
	s_cbranch_scc0 .LBB12_29
; %bb.28:                               ;   in Loop: Header=BB12_9 Depth=1
	s_cmp_lg_u32 s22, s16
	s_mov_b32 s23, -1
	s_cselect_b32 s24, -1, 0
.LBB12_29:                              ;   in Loop: Header=BB12_9 Depth=1
	v_mov_b64_e32 v[10:11], v[6:7]
	s_mov_b32 s25, 2
	v_mov_b64_e32 v[12:13], v[4:5]
	s_and_b32 vcc_lo, exec_lo, s24
	s_cbranch_vccz .LBB12_16
.LBB12_30:                              ;   in Loop: Header=BB12_9 Depth=1
	s_and_saveexec_b32 s23, s3
	s_cbranch_execz .LBB12_32
; %bb.31:                               ;   in Loop: Header=BB12_9 Depth=1
	s_add_co_i32 s24, s22, s7
	s_delay_alu instid0(SALU_CYCLE_1)
	v_mov_b32_e32 v10, s24
	global_load_b32 v10, v10, s[18:19] scale_offset scope:SCOPE_DEV
	s_wait_loadcnt 0x0
	v_cmp_ne_u32_e32 vcc_lo, 0, v10
	s_cbranch_vccz .LBB12_39
.LBB12_32:                              ;   in Loop: Header=BB12_9 Depth=1
	s_wait_xcnt 0x0
	s_or_b32 exec_lo, exec_lo, s23
	v_mov_b64_e32 v[12:13], 0
	s_wait_storecnt 0x0
	s_barrier_signal -1
	s_barrier_wait -1
	global_inv scope:SCOPE_DEV
	s_and_saveexec_b32 s24, s2
	s_cbranch_execz .LBB12_34
; %bb.33:                               ;   in Loop: Header=BB12_9 Depth=1
	s_ashr_i32 s23, s22, 31
	s_delay_alu instid0(SALU_CYCLE_1) | instskip(NEXT) | instid1(SALU_CYCLE_1)
	s_mul_u64 s[22:23], s[10:11], s[22:23]
	v_lshl_add_u64 v[10:11], s[22:23], 3, v[2:3]
	global_load_b64 v[10:11], v[10:11], off
	s_wait_loadcnt 0x0
	v_fma_f64 v[12:13], -v[8:9], v[10:11], v[4:5]
.LBB12_34:                              ;   in Loop: Header=BB12_9 Depth=1
	s_or_b32 exec_lo, exec_lo, s24
	v_mov_b64_e32 v[10:11], v[6:7]
	s_mov_b32 s25, 0
	s_branch .LBB12_17
.LBB12_35:                              ;   in Loop: Header=BB12_9 Depth=1
	v_div_scale_f64 v[10:11], null, v[8:9], v[8:9], 1.0
	v_div_scale_f64 v[18:19], vcc_lo, 1.0, v[8:9], 1.0
	s_mov_b32 s25, 2
	v_rcp_f64_e32 v[12:13], v[10:11]
	v_nop
	s_delay_alu instid0(TRANS32_DEP_1) | instskip(NEXT) | instid1(VALU_DEP_1)
	v_fma_f64 v[16:17], -v[10:11], v[12:13], 1.0
	v_fmac_f64_e32 v[12:13], v[12:13], v[16:17]
	s_delay_alu instid0(VALU_DEP_1) | instskip(NEXT) | instid1(VALU_DEP_1)
	v_fma_f64 v[16:17], -v[10:11], v[12:13], 1.0
	v_fmac_f64_e32 v[12:13], v[12:13], v[16:17]
	s_delay_alu instid0(VALU_DEP_1) | instskip(NEXT) | instid1(VALU_DEP_1)
	v_mul_f64_e32 v[16:17], v[18:19], v[12:13]
	v_fma_f64 v[10:11], -v[10:11], v[16:17], v[18:19]
	s_delay_alu instid0(VALU_DEP_1) | instskip(SKIP_1) | instid1(VALU_DEP_2)
	v_div_fmas_f64 v[10:11], v[10:11], v[12:13], v[16:17]
	v_mov_b64_e32 v[12:13], v[4:5]
	v_div_fixup_f64 v[8:9], v[10:11], v[8:9], 1.0
	s_delay_alu instid0(VALU_DEP_1)
	v_dual_cndmask_b32 v11, v7, v9, s1 :: v_dual_cndmask_b32 v10, v6, v8, s1
	s_mov_b32 s22, -1
	s_cmp_gt_i32 s25, 3
	s_mov_b32 s23, -1
	s_cbranch_scc1 .LBB12_18
.LBB12_36:                              ;   in Loop: Header=BB12_9 Depth=1
	s_cmp_eq_u32 s25, 0
	s_cselect_b32 s23, -1, 0
	s_delay_alu instid0(SALU_CYCLE_1)
	s_and_not1_b32 vcc_lo, exec_lo, s23
	s_cbranch_vccnz .LBB12_19
.LBB12_37:                              ;   in Loop: Header=BB12_9 Depth=1
	s_add_co_i32 s29, s29, 1
	s_delay_alu instid0(SALU_CYCLE_1) | instskip(SKIP_1) | instid1(SALU_CYCLE_1)
	s_cmp_ge_i32 s29, s26
	s_cselect_b32 s22, -1, 0
	s_and_not1_b32 vcc_lo, exec_lo, s22
	s_cbranch_vccz .LBB12_44
.LBB12_38:                              ;   in Loop: Header=BB12_9 Depth=1
	s_delay_alu instid0(VALU_DEP_1) | instskip(SKIP_2) | instid1(SALU_CYCLE_1)
	v_mov_b64_e32 v[4:5], v[12:13]
	v_mov_b64_e32 v[6:7], v[10:11]
	s_sub_co_i32 s22, s29, s17
	s_and_b32 s22, s22, 63
	s_delay_alu instid0(SALU_CYCLE_1)
	s_cmp_lg_u32 s22, 0
	s_cbranch_scc1 .LBB12_9
	s_branch .LBB12_6
.LBB12_39:                              ;   in Loop: Header=BB12_9 Depth=1
	s_ashr_i32 s25, s24, 31
	s_mov_b32 s30, 0
	s_lshl_b64 s[24:25], s[24:25], 2
	s_delay_alu instid0(SALU_CYCLE_1)
	s_add_nc_u64 s[24:25], s[18:19], s[24:25]
	s_branch .LBB12_41
.LBB12_40:                              ;   in Loop: Header=BB12_41 Depth=2
	global_load_b32 v10, v15, s[24:25] scope:SCOPE_DEV
	s_cmp_lt_u32 s30, 0xf43
	s_cselect_b32 s31, -1, 0
	s_delay_alu instid0(SALU_CYCLE_1)
	s_cmp_lg_u32 s31, 0
	s_add_co_ci_u32 s30, s30, 0
	s_wait_loadcnt 0x0
	v_cmp_ne_u32_e32 vcc_lo, 0, v10
	s_cbranch_vccnz .LBB12_32
.LBB12_41:                              ;   Parent Loop BB12_9 Depth=1
                                        ; =>  This Loop Header: Depth=2
                                        ;       Child Loop BB12_42 Depth 3
	s_cmp_eq_u32 s30, 0
	s_mov_b32 s31, s30
	s_cbranch_scc1 .LBB12_40
.LBB12_42:                              ;   Parent Loop BB12_9 Depth=1
                                        ;     Parent Loop BB12_41 Depth=2
                                        ; =>    This Inner Loop Header: Depth=3
	s_add_co_i32 s31, s31, -1
	s_sleep 1
	s_cmp_eq_u32 s31, 0
	s_cbranch_scc0 .LBB12_42
	s_branch .LBB12_40
.LBB12_43:
	v_mov_b64_e32 v[12:13], v[4:5]
.LBB12_44:
	s_and_saveexec_b32 s0, s2
	s_cbranch_execz .LBB12_46
; %bb.45:
	s_delay_alu instid0(VALU_DEP_1) | instskip(SKIP_3) | instid1(VALU_DEP_2)
	v_mul_f64_e32 v[4:5], v[10:11], v[12:13]
	s_cmp_eq_u32 s6, 0
	v_lshl_add_u64 v[2:3], s[20:21], 3, v[2:3]
	s_cselect_b32 vcc_lo, -1, 0
	v_dual_cndmask_b32 v5, v13, v5 :: v_dual_cndmask_b32 v4, v12, v4
	global_store_b64 v[2:3], v[4:5], off
.LBB12_46:
	s_wait_xcnt 0x0
	s_or_b32 exec_lo, exec_lo, s0
	global_wb scope:SCOPE_DEV
	s_wait_loadcnt 0x0
	s_wait_storecnt 0x0
	global_inv scope:SCOPE_DEV
	s_wait_loadcnt 0x0
	s_barrier_signal -1
	s_barrier_wait -1
	s_mov_b32 s0, exec_lo
	v_cmpx_eq_u32_e32 0, v0
	s_cbranch_execz .LBB12_48
; %bb.47:
	s_add_co_i32 s0, s16, s7
	s_delay_alu instid0(SALU_CYCLE_1)
	v_dual_mov_b32 v0, 1 :: v_dual_mov_b32 v1, s0
	global_store_b32 v1, v0, s[18:19] scale_offset scope:SCOPE_DEV
.LBB12_48:
	s_endpgm
	.section	.rodata,"a",@progbits
	.p2align	6, 0x0
	.amdhsa_kernel _ZN9rocsparseL5csrsmILj64ELj64ELb1EiidEEv20rocsparse_operation_T3_S2_NS_24const_host_device_scalarIT4_EEPKT2_PKS2_PKS4_PS4_lPiSA_PS2_21rocsparse_index_base_20rocsparse_fill_mode_20rocsparse_diag_type_b
		.amdhsa_group_segment_fixed_size 768
		.amdhsa_private_segment_fixed_size 0
		.amdhsa_kernarg_size 104
		.amdhsa_user_sgpr_count 2
		.amdhsa_user_sgpr_dispatch_ptr 0
		.amdhsa_user_sgpr_queue_ptr 0
		.amdhsa_user_sgpr_kernarg_segment_ptr 1
		.amdhsa_user_sgpr_dispatch_id 0
		.amdhsa_user_sgpr_kernarg_preload_length 0
		.amdhsa_user_sgpr_kernarg_preload_offset 0
		.amdhsa_user_sgpr_private_segment_size 0
		.amdhsa_wavefront_size32 1
		.amdhsa_uses_dynamic_stack 0
		.amdhsa_enable_private_segment 0
		.amdhsa_system_sgpr_workgroup_id_x 1
		.amdhsa_system_sgpr_workgroup_id_y 0
		.amdhsa_system_sgpr_workgroup_id_z 0
		.amdhsa_system_sgpr_workgroup_info 0
		.amdhsa_system_vgpr_workitem_id 0
		.amdhsa_next_free_vgpr 20
		.amdhsa_next_free_sgpr 32
		.amdhsa_named_barrier_count 0
		.amdhsa_reserve_vcc 1
		.amdhsa_float_round_mode_32 0
		.amdhsa_float_round_mode_16_64 0
		.amdhsa_float_denorm_mode_32 3
		.amdhsa_float_denorm_mode_16_64 3
		.amdhsa_fp16_overflow 0
		.amdhsa_memory_ordered 1
		.amdhsa_forward_progress 1
		.amdhsa_inst_pref_size 14
		.amdhsa_round_robin_scheduling 0
		.amdhsa_exception_fp_ieee_invalid_op 0
		.amdhsa_exception_fp_denorm_src 0
		.amdhsa_exception_fp_ieee_div_zero 0
		.amdhsa_exception_fp_ieee_overflow 0
		.amdhsa_exception_fp_ieee_underflow 0
		.amdhsa_exception_fp_ieee_inexact 0
		.amdhsa_exception_int_div_zero 0
	.end_amdhsa_kernel
	.section	.text._ZN9rocsparseL5csrsmILj64ELj64ELb1EiidEEv20rocsparse_operation_T3_S2_NS_24const_host_device_scalarIT4_EEPKT2_PKS2_PKS4_PS4_lPiSA_PS2_21rocsparse_index_base_20rocsparse_fill_mode_20rocsparse_diag_type_b,"axG",@progbits,_ZN9rocsparseL5csrsmILj64ELj64ELb1EiidEEv20rocsparse_operation_T3_S2_NS_24const_host_device_scalarIT4_EEPKT2_PKS2_PKS4_PS4_lPiSA_PS2_21rocsparse_index_base_20rocsparse_fill_mode_20rocsparse_diag_type_b,comdat
.Lfunc_end12:
	.size	_ZN9rocsparseL5csrsmILj64ELj64ELb1EiidEEv20rocsparse_operation_T3_S2_NS_24const_host_device_scalarIT4_EEPKT2_PKS2_PKS4_PS4_lPiSA_PS2_21rocsparse_index_base_20rocsparse_fill_mode_20rocsparse_diag_type_b, .Lfunc_end12-_ZN9rocsparseL5csrsmILj64ELj64ELb1EiidEEv20rocsparse_operation_T3_S2_NS_24const_host_device_scalarIT4_EEPKT2_PKS2_PKS4_PS4_lPiSA_PS2_21rocsparse_index_base_20rocsparse_fill_mode_20rocsparse_diag_type_b
                                        ; -- End function
	.set _ZN9rocsparseL5csrsmILj64ELj64ELb1EiidEEv20rocsparse_operation_T3_S2_NS_24const_host_device_scalarIT4_EEPKT2_PKS2_PKS4_PS4_lPiSA_PS2_21rocsparse_index_base_20rocsparse_fill_mode_20rocsparse_diag_type_b.num_vgpr, 20
	.set _ZN9rocsparseL5csrsmILj64ELj64ELb1EiidEEv20rocsparse_operation_T3_S2_NS_24const_host_device_scalarIT4_EEPKT2_PKS2_PKS4_PS4_lPiSA_PS2_21rocsparse_index_base_20rocsparse_fill_mode_20rocsparse_diag_type_b.num_agpr, 0
	.set _ZN9rocsparseL5csrsmILj64ELj64ELb1EiidEEv20rocsparse_operation_T3_S2_NS_24const_host_device_scalarIT4_EEPKT2_PKS2_PKS4_PS4_lPiSA_PS2_21rocsparse_index_base_20rocsparse_fill_mode_20rocsparse_diag_type_b.numbered_sgpr, 32
	.set _ZN9rocsparseL5csrsmILj64ELj64ELb1EiidEEv20rocsparse_operation_T3_S2_NS_24const_host_device_scalarIT4_EEPKT2_PKS2_PKS4_PS4_lPiSA_PS2_21rocsparse_index_base_20rocsparse_fill_mode_20rocsparse_diag_type_b.num_named_barrier, 0
	.set _ZN9rocsparseL5csrsmILj64ELj64ELb1EiidEEv20rocsparse_operation_T3_S2_NS_24const_host_device_scalarIT4_EEPKT2_PKS2_PKS4_PS4_lPiSA_PS2_21rocsparse_index_base_20rocsparse_fill_mode_20rocsparse_diag_type_b.private_seg_size, 0
	.set _ZN9rocsparseL5csrsmILj64ELj64ELb1EiidEEv20rocsparse_operation_T3_S2_NS_24const_host_device_scalarIT4_EEPKT2_PKS2_PKS4_PS4_lPiSA_PS2_21rocsparse_index_base_20rocsparse_fill_mode_20rocsparse_diag_type_b.uses_vcc, 1
	.set _ZN9rocsparseL5csrsmILj64ELj64ELb1EiidEEv20rocsparse_operation_T3_S2_NS_24const_host_device_scalarIT4_EEPKT2_PKS2_PKS4_PS4_lPiSA_PS2_21rocsparse_index_base_20rocsparse_fill_mode_20rocsparse_diag_type_b.uses_flat_scratch, 0
	.set _ZN9rocsparseL5csrsmILj64ELj64ELb1EiidEEv20rocsparse_operation_T3_S2_NS_24const_host_device_scalarIT4_EEPKT2_PKS2_PKS4_PS4_lPiSA_PS2_21rocsparse_index_base_20rocsparse_fill_mode_20rocsparse_diag_type_b.has_dyn_sized_stack, 0
	.set _ZN9rocsparseL5csrsmILj64ELj64ELb1EiidEEv20rocsparse_operation_T3_S2_NS_24const_host_device_scalarIT4_EEPKT2_PKS2_PKS4_PS4_lPiSA_PS2_21rocsparse_index_base_20rocsparse_fill_mode_20rocsparse_diag_type_b.has_recursion, 0
	.set _ZN9rocsparseL5csrsmILj64ELj64ELb1EiidEEv20rocsparse_operation_T3_S2_NS_24const_host_device_scalarIT4_EEPKT2_PKS2_PKS4_PS4_lPiSA_PS2_21rocsparse_index_base_20rocsparse_fill_mode_20rocsparse_diag_type_b.has_indirect_call, 0
	.section	.AMDGPU.csdata,"",@progbits
; Kernel info:
; codeLenInByte = 1732
; TotalNumSgprs: 34
; NumVgprs: 20
; ScratchSize: 0
; MemoryBound: 0
; FloatMode: 240
; IeeeMode: 1
; LDSByteSize: 768 bytes/workgroup (compile time only)
; SGPRBlocks: 0
; VGPRBlocks: 1
; NumSGPRsForWavesPerEU: 34
; NumVGPRsForWavesPerEU: 20
; NamedBarCnt: 0
; Occupancy: 16
; WaveLimiterHint : 1
; COMPUTE_PGM_RSRC2:SCRATCH_EN: 0
; COMPUTE_PGM_RSRC2:USER_SGPR: 2
; COMPUTE_PGM_RSRC2:TRAP_HANDLER: 0
; COMPUTE_PGM_RSRC2:TGID_X_EN: 1
; COMPUTE_PGM_RSRC2:TGID_Y_EN: 0
; COMPUTE_PGM_RSRC2:TGID_Z_EN: 0
; COMPUTE_PGM_RSRC2:TIDIG_COMP_CNT: 0
	.section	.text._ZN9rocsparseL5csrsmILj64ELj64ELb0EiidEEv20rocsparse_operation_T3_S2_NS_24const_host_device_scalarIT4_EEPKT2_PKS2_PKS4_PS4_lPiSA_PS2_21rocsparse_index_base_20rocsparse_fill_mode_20rocsparse_diag_type_b,"axG",@progbits,_ZN9rocsparseL5csrsmILj64ELj64ELb0EiidEEv20rocsparse_operation_T3_S2_NS_24const_host_device_scalarIT4_EEPKT2_PKS2_PKS4_PS4_lPiSA_PS2_21rocsparse_index_base_20rocsparse_fill_mode_20rocsparse_diag_type_b,comdat
	.globl	_ZN9rocsparseL5csrsmILj64ELj64ELb0EiidEEv20rocsparse_operation_T3_S2_NS_24const_host_device_scalarIT4_EEPKT2_PKS2_PKS4_PS4_lPiSA_PS2_21rocsparse_index_base_20rocsparse_fill_mode_20rocsparse_diag_type_b ; -- Begin function _ZN9rocsparseL5csrsmILj64ELj64ELb0EiidEEv20rocsparse_operation_T3_S2_NS_24const_host_device_scalarIT4_EEPKT2_PKS2_PKS4_PS4_lPiSA_PS2_21rocsparse_index_base_20rocsparse_fill_mode_20rocsparse_diag_type_b
	.p2align	8
	.type	_ZN9rocsparseL5csrsmILj64ELj64ELb0EiidEEv20rocsparse_operation_T3_S2_NS_24const_host_device_scalarIT4_EEPKT2_PKS2_PKS4_PS4_lPiSA_PS2_21rocsparse_index_base_20rocsparse_fill_mode_20rocsparse_diag_type_b,@function
_ZN9rocsparseL5csrsmILj64ELj64ELb0EiidEEv20rocsparse_operation_T3_S2_NS_24const_host_device_scalarIT4_EEPKT2_PKS2_PKS4_PS4_lPiSA_PS2_21rocsparse_index_base_20rocsparse_fill_mode_20rocsparse_diag_type_b: ; @_ZN9rocsparseL5csrsmILj64ELj64ELb0EiidEEv20rocsparse_operation_T3_S2_NS_24const_host_device_scalarIT4_EEPKT2_PKS2_PKS4_PS4_lPiSA_PS2_21rocsparse_index_base_20rocsparse_fill_mode_20rocsparse_diag_type_b
; %bb.0:
	s_clause 0x2
	s_load_b128 s[4:7], s[0:1], 0x58
	s_load_b128 s[12:15], s[0:1], 0x10
	s_load_b64 s[2:3], s[0:1], 0x48
	s_wait_kmcnt 0x0
	s_bitcmp1_b32 s7, 0
	v_mov_b64_e32 v[2:3], s[12:13]
	s_cselect_b32 s7, -1, 0
	s_delay_alu instid0(SALU_CYCLE_1)
	s_and_b32 vcc_lo, exec_lo, s7
	s_cbranch_vccnz .LBB13_2
; %bb.1:
	v_mov_b32_e32 v1, 0
	flat_load_b64 v[2:3], v1, s[12:13]
.LBB13_2:
	s_wait_xcnt 0x0
	s_load_b64 s[12:13], s[0:1], 0x4
	s_bfe_u32 s9, ttmp6, 0x4000c
	s_and_b32 s8, ttmp6, 15
	s_add_co_i32 s9, s9, 1
	s_getreg_b32 s11, hwreg(HW_REG_IB_STS2, 6, 4)
	s_mul_i32 s9, ttmp9, s9
	v_mov_b64_e32 v[4:5], 0
	s_add_co_i32 s8, s8, s9
	s_wait_kmcnt 0x0
	s_cvt_f32_u32 s7, s12
	s_sub_co_i32 s10, 0, s12
	s_delay_alu instid0(SALU_CYCLE_2) | instskip(SKIP_1) | instid1(TRANS32_DEP_1)
	v_rcp_iflag_f32_e32 v1, s7
	v_nop
	v_readfirstlane_b32 s7, v1
	s_mul_f32 s7, s7, 0x4f7ffffe
	s_delay_alu instid0(SALU_CYCLE_3) | instskip(NEXT) | instid1(SALU_CYCLE_3)
	s_cvt_u32_f32 s7, s7
	s_mul_i32 s10, s10, s7
	s_delay_alu instid0(SALU_CYCLE_1) | instskip(NEXT) | instid1(SALU_CYCLE_1)
	s_mul_hi_u32 s10, s7, s10
	s_add_co_i32 s7, s7, s10
	s_cmp_eq_u32 s11, 0
	s_cselect_b32 s8, ttmp9, s8
	s_delay_alu instid0(SALU_CYCLE_1) | instskip(NEXT) | instid1(SALU_CYCLE_1)
	s_mul_hi_u32 s7, s8, s7
	s_mul_i32 s9, s7, s12
	s_add_co_i32 s10, s7, 1
	s_sub_co_i32 s9, s8, s9
	s_delay_alu instid0(SALU_CYCLE_1)
	s_sub_co_i32 s11, s9, s12
	s_cmp_ge_u32 s9, s12
	s_cselect_b32 s7, s10, s7
	s_cselect_b32 s9, s11, s9
	s_add_co_i32 s10, s7, 1
	s_cmp_ge_u32 s9, s12
	s_cselect_b32 s20, s10, s7
	s_delay_alu instid0(SALU_CYCLE_1) | instskip(SKIP_2) | instid1(SALU_CYCLE_1)
	s_mul_i32 s7, s20, s12
	v_lshl_or_b32 v6, s20, 6, v0
	s_sub_co_i32 s8, s8, s7
	s_ashr_i32 s9, s8, 31
	s_delay_alu instid0(VALU_DEP_1) | instskip(SKIP_1) | instid1(SALU_CYCLE_1)
	v_ashrrev_i32_e32 v7, 31, v6
	s_lshl_b64 s[8:9], s[8:9], 2
	s_add_nc_u64 s[2:3], s[2:3], s[8:9]
	s_load_b128 s[8:11], s[0:1], 0x30
	s_load_b32 s16, s[2:3], 0x0
	s_wait_kmcnt 0x0
	s_ashr_i32 s17, s16, 31
	s_delay_alu instid0(SALU_CYCLE_1)
	s_lshl_b64 s[2:3], s[16:17], 2
	s_mul_u64 s[20:21], s[10:11], s[16:17]
	s_add_nc_u64 s[2:3], s[14:15], s[2:3]
	s_load_b64 s[18:19], s[0:1], 0x40
	s_load_b64 s[22:23], s[2:3], 0x0
	s_wait_xcnt 0x0
	v_cmp_gt_i32_e64 s2, s13, v6
	s_and_saveexec_b32 s3, s2
	s_cbranch_execz .LBB13_4
; %bb.3:
	v_add_nc_u64_e32 v[4:5], s[20:21], v[6:7]
	s_delay_alu instid0(VALU_DEP_1)
	v_lshl_add_u64 v[4:5], v[4:5], 3, s[8:9]
	global_load_b64 v[4:5], v[4:5], off
	s_wait_loadcnt_dscnt 0x0
	v_mul_f64_e32 v[4:5], v[2:3], v[4:5]
.LBB13_4:
	s_or_b32 exec_lo, exec_lo, s3
	v_mov_b64_e32 v[10:11], 1.0
	s_wait_loadcnt_dscnt 0x0
	v_lshl_add_u64 v[2:3], v[6:7], 3, s[8:9]
	v_cmp_eq_u32_e64 s3, 0, v0
	s_wait_kmcnt 0x0
	s_cmp_ge_i32 s22, s23
	s_cbranch_scc1 .LBB13_41
; %bb.5:
	s_clause 0x1
	s_load_b64 s[8:9], s[0:1], 0x50
	s_load_b128 s[12:15], s[0:1], 0x20
	s_sub_co_i32 s17, s22, s4
	s_sub_co_i32 s26, s23, s4
	s_cmp_lg_u32 s6, 0
	v_mov_b64_e32 v[6:7], 1.0
	v_lshl_or_b32 v1, v0, 2, 0x200
	v_dual_mov_b32 v15, 0 :: v_dual_lshlrev_b32 v14, 3, v0
	s_cselect_b32 s27, -1, 0
	s_wait_xcnt 0x0
	v_cmp_ne_u32_e64 s0, 0, v0
	s_add_co_i32 s28, s16, s4
	s_cmp_eq_u32 s6, 0
	s_mov_b32 s29, s17
	s_cselect_b32 s1, -1, 0
	s_sub_co_i32 s22, s29, s17
	s_delay_alu instid0(SALU_CYCLE_1) | instskip(NEXT) | instid1(SALU_CYCLE_1)
	s_and_b32 s22, s22, 63
	s_cmp_lg_u32 s22, 0
	s_cbranch_scc1 .LBB13_9
.LBB13_6:
	s_sub_co_i32 s23, s26, s29
	v_mov_b64_e32 v[8:9], -1.0
	v_cmp_gt_u32_e32 vcc_lo, s23, v0
	v_mov_b32_e32 v10, -1
	s_and_saveexec_b32 s23, vcc_lo
	s_cbranch_execz .LBB13_8
; %bb.7:
	v_add_nc_u32_e32 v10, s29, v0
	s_wait_kmcnt 0x0
	s_clause 0x1
	global_load_b32 v11, v10, s[12:13] scale_offset
	global_load_b64 v[8:9], v10, s[14:15] scale_offset
	s_wait_loadcnt 0x1
	s_wait_xcnt 0x0
	v_subrev_nc_u32_e32 v10, s4, v11
.LBB13_8:
	s_or_b32 exec_lo, exec_lo, s23
	ds_store_b32 v1, v10
	s_wait_loadcnt 0x0
	ds_store_b64 v14, v[8:9]
.LBB13_9:                               ; =>This Loop Header: Depth=1
                                        ;     Child Loop BB13_33 Depth 2
	s_lshl_b32 s23, s22, 3
	s_lshl_b32 s22, s22, 2
	s_delay_alu instid0(SALU_CYCLE_1)
	v_dual_mov_b32 v8, s23 :: v_dual_mov_b32 v10, s22
	s_wait_dscnt 0x0
	s_barrier_signal -1
	s_barrier_wait -1
	ds_load_b64 v[8:9], v8
	ds_load_b32 v10, v10 offset:512
	s_wait_dscnt 0x1
	v_cmp_neq_f64_e32 vcc_lo, 0, v[8:9]
	s_wait_dscnt 0x0
	v_readfirstlane_b32 s22, v10
	s_cmp_lg_u32 s22, s16
	s_cselect_b32 s23, -1, 0
	s_delay_alu instid0(SALU_CYCLE_1) | instskip(NEXT) | instid1(SALU_CYCLE_1)
	s_or_b32 s23, s27, s23
	s_or_b32 vcc_lo, vcc_lo, s23
	v_cndmask_b32_e32 v9, 0x3ff00000, v9, vcc_lo
	v_cndmask_b32_e32 v8, 0, v8, vcc_lo
	s_nor_b32 s24, s0, vcc_lo
	s_delay_alu instid0(SALU_CYCLE_1)
	s_and_saveexec_b32 s23, s24
	s_cbranch_execz .LBB13_13
; %bb.10:                               ;   in Loop: Header=BB13_9 Depth=1
	v_mbcnt_lo_u32_b32 v8, exec_lo, 0
	s_mov_b32 s24, exec_lo
	s_delay_alu instid0(VALU_DEP_1)
	v_cmpx_eq_u32_e32 0, v8
	s_cbranch_execz .LBB13_12
; %bb.11:                               ;   in Loop: Header=BB13_9 Depth=1
	v_mov_b32_e32 v8, s28
	s_wait_kmcnt 0x0
	global_atomic_min_i32 v15, v8, s[8:9] scope:SCOPE_DEV
.LBB13_12:                              ;   in Loop: Header=BB13_9 Depth=1
	s_wait_xcnt 0x0
	s_or_b32 exec_lo, exec_lo, s24
	v_mov_b64_e32 v[8:9], 1.0
.LBB13_13:                              ;   in Loop: Header=BB13_9 Depth=1
	s_or_b32 exec_lo, exec_lo, s23
	s_mov_b32 s25, -1
	s_mov_b32 s23, 0
	s_cmp_lt_i32 s5, 1
	s_mov_b32 s24, 0
                                        ; implicit-def: $vgpr10_vgpr11
	s_cbranch_scc0 .LBB13_20
; %bb.14:                               ;   in Loop: Header=BB13_9 Depth=1
	s_and_b32 vcc_lo, exec_lo, s25
	s_mov_b32 s25, 4
	s_cbranch_vccnz .LBB13_25
.LBB13_15:                              ;   in Loop: Header=BB13_9 Depth=1
	v_mov_b64_e32 v[12:13], v[4:5]
	s_and_b32 vcc_lo, exec_lo, s24
	s_cbranch_vccnz .LBB13_30
.LBB13_16:                              ;   in Loop: Header=BB13_9 Depth=1
	s_and_b32 vcc_lo, exec_lo, s23
	s_cbranch_vccnz .LBB13_37
.LBB13_17:                              ;   in Loop: Header=BB13_9 Depth=1
	s_mov_b32 s22, -1
	s_cmp_gt_i32 s25, 3
	s_mov_b32 s23, -1
	s_cbranch_scc0 .LBB13_38
.LBB13_18:                              ;   in Loop: Header=BB13_9 Depth=1
	s_and_not1_b32 vcc_lo, exec_lo, s23
	s_cbranch_vccz .LBB13_39
.LBB13_19:                              ;   in Loop: Header=BB13_9 Depth=1
	s_and_not1_b32 vcc_lo, exec_lo, s22
	s_cbranch_vccnz .LBB13_40
	s_branch .LBB13_42
.LBB13_20:                              ;   in Loop: Header=BB13_9 Depth=1
	s_cmp_eq_u32 s5, 1
	s_mov_b32 s24, -1
                                        ; implicit-def: $vgpr10_vgpr11
	s_cbranch_scc0 .LBB13_24
; %bb.21:                               ;   in Loop: Header=BB13_9 Depth=1
	v_mov_b64_e32 v[10:11], v[6:7]
	s_cmp_ge_i32 s22, s16
	s_mov_b32 s24, 0
	s_cbranch_scc0 .LBB13_24
; %bb.22:                               ;   in Loop: Header=BB13_9 Depth=1
	s_cmp_eq_u32 s22, s16
	s_mov_b32 s24, -1
                                        ; implicit-def: $vgpr10_vgpr11
	s_cbranch_scc0 .LBB13_24
; %bb.23:                               ;   in Loop: Header=BB13_9 Depth=1
	v_div_scale_f64 v[10:11], null, v[8:9], v[8:9], 1.0
	v_div_scale_f64 v[18:19], vcc_lo, 1.0, v[8:9], 1.0
	s_mov_b32 s24, 0
	v_rcp_f64_e32 v[12:13], v[10:11]
	v_nop
	s_delay_alu instid0(TRANS32_DEP_1) | instskip(NEXT) | instid1(VALU_DEP_1)
	v_fma_f64 v[16:17], -v[10:11], v[12:13], 1.0
	v_fmac_f64_e32 v[12:13], v[12:13], v[16:17]
	s_delay_alu instid0(VALU_DEP_1) | instskip(NEXT) | instid1(VALU_DEP_1)
	v_fma_f64 v[16:17], -v[10:11], v[12:13], 1.0
	v_fmac_f64_e32 v[12:13], v[12:13], v[16:17]
	s_delay_alu instid0(VALU_DEP_1) | instskip(NEXT) | instid1(VALU_DEP_1)
	v_mul_f64_e32 v[16:17], v[18:19], v[12:13]
	v_fma_f64 v[10:11], -v[10:11], v[16:17], v[18:19]
	s_delay_alu instid0(VALU_DEP_1) | instskip(NEXT) | instid1(VALU_DEP_1)
	v_div_fmas_f64 v[10:11], v[10:11], v[12:13], v[16:17]
	v_div_fixup_f64 v[10:11], v[10:11], v[8:9], 1.0
	s_delay_alu instid0(VALU_DEP_1)
	v_dual_cndmask_b32 v11, v7, v11, s1 :: v_dual_cndmask_b32 v10, v6, v10, s1
.LBB13_24:                              ;   in Loop: Header=BB13_9 Depth=1
	s_mov_b32 s25, 4
	s_branch .LBB13_15
.LBB13_25:                              ;   in Loop: Header=BB13_9 Depth=1
	s_cmp_eq_u32 s5, 0
	s_cbranch_scc1 .LBB13_27
; %bb.26:                               ;   in Loop: Header=BB13_9 Depth=1
	s_mov_b32 s24, -1
	s_branch .LBB13_29
.LBB13_27:                              ;   in Loop: Header=BB13_9 Depth=1
	s_cmp_le_i32 s22, s16
	s_mov_b32 s24, 0
	s_cbranch_scc0 .LBB13_29
; %bb.28:                               ;   in Loop: Header=BB13_9 Depth=1
	s_cmp_lg_u32 s22, s16
	s_mov_b32 s23, -1
	s_cselect_b32 s24, -1, 0
.LBB13_29:                              ;   in Loop: Header=BB13_9 Depth=1
	v_mov_b64_e32 v[10:11], v[6:7]
	s_mov_b32 s25, 2
	v_mov_b64_e32 v[12:13], v[4:5]
	s_and_b32 vcc_lo, exec_lo, s24
	s_cbranch_vccz .LBB13_16
.LBB13_30:                              ;   in Loop: Header=BB13_9 Depth=1
	s_and_saveexec_b32 s23, s3
	s_cbranch_execz .LBB13_34
; %bb.31:                               ;   in Loop: Header=BB13_9 Depth=1
	s_add_co_i32 s24, s22, s7
	s_delay_alu instid0(SALU_CYCLE_1)
	v_mov_b32_e32 v10, s24
	global_load_b32 v10, v10, s[18:19] scale_offset scope:SCOPE_DEV
	s_wait_loadcnt 0x0
	v_cmp_ne_u32_e32 vcc_lo, 0, v10
	s_cbranch_vccnz .LBB13_34
; %bb.32:                               ;   in Loop: Header=BB13_9 Depth=1
	s_ashr_i32 s25, s24, 31
	s_delay_alu instid0(SALU_CYCLE_1) | instskip(NEXT) | instid1(SALU_CYCLE_1)
	s_lshl_b64 s[24:25], s[24:25], 2
	s_add_nc_u64 s[24:25], s[18:19], s[24:25]
.LBB13_33:                              ;   Parent Loop BB13_9 Depth=1
                                        ; =>  This Inner Loop Header: Depth=2
	global_load_b32 v10, v15, s[24:25] scope:SCOPE_DEV
	s_wait_loadcnt 0x0
	v_cmp_eq_u32_e32 vcc_lo, 0, v10
	s_cbranch_vccnz .LBB13_33
.LBB13_34:                              ;   in Loop: Header=BB13_9 Depth=1
	s_wait_xcnt 0x0
	s_or_b32 exec_lo, exec_lo, s23
	v_mov_b64_e32 v[12:13], 0
	s_wait_storecnt 0x0
	s_barrier_signal -1
	s_barrier_wait -1
	global_inv scope:SCOPE_DEV
	s_and_saveexec_b32 s24, s2
	s_cbranch_execz .LBB13_36
; %bb.35:                               ;   in Loop: Header=BB13_9 Depth=1
	s_ashr_i32 s23, s22, 31
	s_delay_alu instid0(SALU_CYCLE_1) | instskip(NEXT) | instid1(SALU_CYCLE_1)
	s_mul_u64 s[22:23], s[10:11], s[22:23]
	v_lshl_add_u64 v[10:11], s[22:23], 3, v[2:3]
	global_load_b64 v[10:11], v[10:11], off
	s_wait_loadcnt 0x0
	v_fma_f64 v[12:13], -v[8:9], v[10:11], v[4:5]
.LBB13_36:                              ;   in Loop: Header=BB13_9 Depth=1
	s_or_b32 exec_lo, exec_lo, s24
	v_mov_b64_e32 v[10:11], v[6:7]
	s_mov_b32 s25, 0
	s_branch .LBB13_17
.LBB13_37:                              ;   in Loop: Header=BB13_9 Depth=1
	v_div_scale_f64 v[10:11], null, v[8:9], v[8:9], 1.0
	v_div_scale_f64 v[18:19], vcc_lo, 1.0, v[8:9], 1.0
	s_mov_b32 s25, 2
	v_rcp_f64_e32 v[12:13], v[10:11]
	v_nop
	s_delay_alu instid0(TRANS32_DEP_1) | instskip(NEXT) | instid1(VALU_DEP_1)
	v_fma_f64 v[16:17], -v[10:11], v[12:13], 1.0
	v_fmac_f64_e32 v[12:13], v[12:13], v[16:17]
	s_delay_alu instid0(VALU_DEP_1) | instskip(NEXT) | instid1(VALU_DEP_1)
	v_fma_f64 v[16:17], -v[10:11], v[12:13], 1.0
	v_fmac_f64_e32 v[12:13], v[12:13], v[16:17]
	s_delay_alu instid0(VALU_DEP_1) | instskip(NEXT) | instid1(VALU_DEP_1)
	v_mul_f64_e32 v[16:17], v[18:19], v[12:13]
	v_fma_f64 v[10:11], -v[10:11], v[16:17], v[18:19]
	s_delay_alu instid0(VALU_DEP_1) | instskip(SKIP_1) | instid1(VALU_DEP_2)
	v_div_fmas_f64 v[10:11], v[10:11], v[12:13], v[16:17]
	v_mov_b64_e32 v[12:13], v[4:5]
	v_div_fixup_f64 v[8:9], v[10:11], v[8:9], 1.0
	s_delay_alu instid0(VALU_DEP_1)
	v_dual_cndmask_b32 v11, v7, v9, s1 :: v_dual_cndmask_b32 v10, v6, v8, s1
	s_mov_b32 s22, -1
	s_cmp_gt_i32 s25, 3
	s_mov_b32 s23, -1
	s_cbranch_scc1 .LBB13_18
.LBB13_38:                              ;   in Loop: Header=BB13_9 Depth=1
	s_cmp_eq_u32 s25, 0
	s_cselect_b32 s23, -1, 0
	s_delay_alu instid0(SALU_CYCLE_1)
	s_and_not1_b32 vcc_lo, exec_lo, s23
	s_cbranch_vccnz .LBB13_19
.LBB13_39:                              ;   in Loop: Header=BB13_9 Depth=1
	s_add_co_i32 s29, s29, 1
	s_delay_alu instid0(SALU_CYCLE_1) | instskip(SKIP_1) | instid1(SALU_CYCLE_1)
	s_cmp_ge_i32 s29, s26
	s_cselect_b32 s22, -1, 0
	s_and_not1_b32 vcc_lo, exec_lo, s22
	s_cbranch_vccz .LBB13_42
.LBB13_40:                              ;   in Loop: Header=BB13_9 Depth=1
	s_delay_alu instid0(VALU_DEP_1) | instskip(SKIP_2) | instid1(SALU_CYCLE_1)
	v_mov_b64_e32 v[4:5], v[12:13]
	v_mov_b64_e32 v[6:7], v[10:11]
	s_sub_co_i32 s22, s29, s17
	s_and_b32 s22, s22, 63
	s_delay_alu instid0(SALU_CYCLE_1)
	s_cmp_lg_u32 s22, 0
	s_cbranch_scc1 .LBB13_9
	s_branch .LBB13_6
.LBB13_41:
	v_mov_b64_e32 v[12:13], v[4:5]
.LBB13_42:
	s_and_saveexec_b32 s0, s2
	s_cbranch_execz .LBB13_44
; %bb.43:
	s_delay_alu instid0(VALU_DEP_1) | instskip(SKIP_3) | instid1(VALU_DEP_2)
	v_mul_f64_e32 v[4:5], v[10:11], v[12:13]
	s_cmp_eq_u32 s6, 0
	v_lshl_add_u64 v[2:3], s[20:21], 3, v[2:3]
	s_cselect_b32 vcc_lo, -1, 0
	v_dual_cndmask_b32 v5, v13, v5 :: v_dual_cndmask_b32 v4, v12, v4
	global_store_b64 v[2:3], v[4:5], off
.LBB13_44:
	s_wait_xcnt 0x0
	s_or_b32 exec_lo, exec_lo, s0
	global_wb scope:SCOPE_DEV
	s_wait_loadcnt 0x0
	s_wait_storecnt 0x0
	global_inv scope:SCOPE_DEV
	s_wait_loadcnt 0x0
	s_barrier_signal -1
	s_barrier_wait -1
	s_mov_b32 s0, exec_lo
	v_cmpx_eq_u32_e32 0, v0
	s_cbranch_execz .LBB13_46
; %bb.45:
	s_add_co_i32 s0, s16, s7
	s_delay_alu instid0(SALU_CYCLE_1)
	v_dual_mov_b32 v0, 1 :: v_dual_mov_b32 v1, s0
	global_store_b32 v1, v0, s[18:19] scale_offset scope:SCOPE_DEV
.LBB13_46:
	s_endpgm
	.section	.rodata,"a",@progbits
	.p2align	6, 0x0
	.amdhsa_kernel _ZN9rocsparseL5csrsmILj64ELj64ELb0EiidEEv20rocsparse_operation_T3_S2_NS_24const_host_device_scalarIT4_EEPKT2_PKS2_PKS4_PS4_lPiSA_PS2_21rocsparse_index_base_20rocsparse_fill_mode_20rocsparse_diag_type_b
		.amdhsa_group_segment_fixed_size 768
		.amdhsa_private_segment_fixed_size 0
		.amdhsa_kernarg_size 104
		.amdhsa_user_sgpr_count 2
		.amdhsa_user_sgpr_dispatch_ptr 0
		.amdhsa_user_sgpr_queue_ptr 0
		.amdhsa_user_sgpr_kernarg_segment_ptr 1
		.amdhsa_user_sgpr_dispatch_id 0
		.amdhsa_user_sgpr_kernarg_preload_length 0
		.amdhsa_user_sgpr_kernarg_preload_offset 0
		.amdhsa_user_sgpr_private_segment_size 0
		.amdhsa_wavefront_size32 1
		.amdhsa_uses_dynamic_stack 0
		.amdhsa_enable_private_segment 0
		.amdhsa_system_sgpr_workgroup_id_x 1
		.amdhsa_system_sgpr_workgroup_id_y 0
		.amdhsa_system_sgpr_workgroup_id_z 0
		.amdhsa_system_sgpr_workgroup_info 0
		.amdhsa_system_vgpr_workitem_id 0
		.amdhsa_next_free_vgpr 20
		.amdhsa_next_free_sgpr 30
		.amdhsa_named_barrier_count 0
		.amdhsa_reserve_vcc 1
		.amdhsa_float_round_mode_32 0
		.amdhsa_float_round_mode_16_64 0
		.amdhsa_float_denorm_mode_32 3
		.amdhsa_float_denorm_mode_16_64 3
		.amdhsa_fp16_overflow 0
		.amdhsa_memory_ordered 1
		.amdhsa_forward_progress 1
		.amdhsa_inst_pref_size 14
		.amdhsa_round_robin_scheduling 0
		.amdhsa_exception_fp_ieee_invalid_op 0
		.amdhsa_exception_fp_denorm_src 0
		.amdhsa_exception_fp_ieee_div_zero 0
		.amdhsa_exception_fp_ieee_overflow 0
		.amdhsa_exception_fp_ieee_underflow 0
		.amdhsa_exception_fp_ieee_inexact 0
		.amdhsa_exception_int_div_zero 0
	.end_amdhsa_kernel
	.section	.text._ZN9rocsparseL5csrsmILj64ELj64ELb0EiidEEv20rocsparse_operation_T3_S2_NS_24const_host_device_scalarIT4_EEPKT2_PKS2_PKS4_PS4_lPiSA_PS2_21rocsparse_index_base_20rocsparse_fill_mode_20rocsparse_diag_type_b,"axG",@progbits,_ZN9rocsparseL5csrsmILj64ELj64ELb0EiidEEv20rocsparse_operation_T3_S2_NS_24const_host_device_scalarIT4_EEPKT2_PKS2_PKS4_PS4_lPiSA_PS2_21rocsparse_index_base_20rocsparse_fill_mode_20rocsparse_diag_type_b,comdat
.Lfunc_end13:
	.size	_ZN9rocsparseL5csrsmILj64ELj64ELb0EiidEEv20rocsparse_operation_T3_S2_NS_24const_host_device_scalarIT4_EEPKT2_PKS2_PKS4_PS4_lPiSA_PS2_21rocsparse_index_base_20rocsparse_fill_mode_20rocsparse_diag_type_b, .Lfunc_end13-_ZN9rocsparseL5csrsmILj64ELj64ELb0EiidEEv20rocsparse_operation_T3_S2_NS_24const_host_device_scalarIT4_EEPKT2_PKS2_PKS4_PS4_lPiSA_PS2_21rocsparse_index_base_20rocsparse_fill_mode_20rocsparse_diag_type_b
                                        ; -- End function
	.set _ZN9rocsparseL5csrsmILj64ELj64ELb0EiidEEv20rocsparse_operation_T3_S2_NS_24const_host_device_scalarIT4_EEPKT2_PKS2_PKS4_PS4_lPiSA_PS2_21rocsparse_index_base_20rocsparse_fill_mode_20rocsparse_diag_type_b.num_vgpr, 20
	.set _ZN9rocsparseL5csrsmILj64ELj64ELb0EiidEEv20rocsparse_operation_T3_S2_NS_24const_host_device_scalarIT4_EEPKT2_PKS2_PKS4_PS4_lPiSA_PS2_21rocsparse_index_base_20rocsparse_fill_mode_20rocsparse_diag_type_b.num_agpr, 0
	.set _ZN9rocsparseL5csrsmILj64ELj64ELb0EiidEEv20rocsparse_operation_T3_S2_NS_24const_host_device_scalarIT4_EEPKT2_PKS2_PKS4_PS4_lPiSA_PS2_21rocsparse_index_base_20rocsparse_fill_mode_20rocsparse_diag_type_b.numbered_sgpr, 30
	.set _ZN9rocsparseL5csrsmILj64ELj64ELb0EiidEEv20rocsparse_operation_T3_S2_NS_24const_host_device_scalarIT4_EEPKT2_PKS2_PKS4_PS4_lPiSA_PS2_21rocsparse_index_base_20rocsparse_fill_mode_20rocsparse_diag_type_b.num_named_barrier, 0
	.set _ZN9rocsparseL5csrsmILj64ELj64ELb0EiidEEv20rocsparse_operation_T3_S2_NS_24const_host_device_scalarIT4_EEPKT2_PKS2_PKS4_PS4_lPiSA_PS2_21rocsparse_index_base_20rocsparse_fill_mode_20rocsparse_diag_type_b.private_seg_size, 0
	.set _ZN9rocsparseL5csrsmILj64ELj64ELb0EiidEEv20rocsparse_operation_T3_S2_NS_24const_host_device_scalarIT4_EEPKT2_PKS2_PKS4_PS4_lPiSA_PS2_21rocsparse_index_base_20rocsparse_fill_mode_20rocsparse_diag_type_b.uses_vcc, 1
	.set _ZN9rocsparseL5csrsmILj64ELj64ELb0EiidEEv20rocsparse_operation_T3_S2_NS_24const_host_device_scalarIT4_EEPKT2_PKS2_PKS4_PS4_lPiSA_PS2_21rocsparse_index_base_20rocsparse_fill_mode_20rocsparse_diag_type_b.uses_flat_scratch, 0
	.set _ZN9rocsparseL5csrsmILj64ELj64ELb0EiidEEv20rocsparse_operation_T3_S2_NS_24const_host_device_scalarIT4_EEPKT2_PKS2_PKS4_PS4_lPiSA_PS2_21rocsparse_index_base_20rocsparse_fill_mode_20rocsparse_diag_type_b.has_dyn_sized_stack, 0
	.set _ZN9rocsparseL5csrsmILj64ELj64ELb0EiidEEv20rocsparse_operation_T3_S2_NS_24const_host_device_scalarIT4_EEPKT2_PKS2_PKS4_PS4_lPiSA_PS2_21rocsparse_index_base_20rocsparse_fill_mode_20rocsparse_diag_type_b.has_recursion, 0
	.set _ZN9rocsparseL5csrsmILj64ELj64ELb0EiidEEv20rocsparse_operation_T3_S2_NS_24const_host_device_scalarIT4_EEPKT2_PKS2_PKS4_PS4_lPiSA_PS2_21rocsparse_index_base_20rocsparse_fill_mode_20rocsparse_diag_type_b.has_indirect_call, 0
	.section	.AMDGPU.csdata,"",@progbits
; Kernel info:
; codeLenInByte = 1668
; TotalNumSgprs: 32
; NumVgprs: 20
; ScratchSize: 0
; MemoryBound: 0
; FloatMode: 240
; IeeeMode: 1
; LDSByteSize: 768 bytes/workgroup (compile time only)
; SGPRBlocks: 0
; VGPRBlocks: 1
; NumSGPRsForWavesPerEU: 32
; NumVGPRsForWavesPerEU: 20
; NamedBarCnt: 0
; Occupancy: 16
; WaveLimiterHint : 1
; COMPUTE_PGM_RSRC2:SCRATCH_EN: 0
; COMPUTE_PGM_RSRC2:USER_SGPR: 2
; COMPUTE_PGM_RSRC2:TRAP_HANDLER: 0
; COMPUTE_PGM_RSRC2:TGID_X_EN: 1
; COMPUTE_PGM_RSRC2:TGID_Y_EN: 0
; COMPUTE_PGM_RSRC2:TGID_Z_EN: 0
; COMPUTE_PGM_RSRC2:TIDIG_COMP_CNT: 0
	.section	.text._ZN9rocsparseL5csrsmILj128ELj64ELb1EiidEEv20rocsparse_operation_T3_S2_NS_24const_host_device_scalarIT4_EEPKT2_PKS2_PKS4_PS4_lPiSA_PS2_21rocsparse_index_base_20rocsparse_fill_mode_20rocsparse_diag_type_b,"axG",@progbits,_ZN9rocsparseL5csrsmILj128ELj64ELb1EiidEEv20rocsparse_operation_T3_S2_NS_24const_host_device_scalarIT4_EEPKT2_PKS2_PKS4_PS4_lPiSA_PS2_21rocsparse_index_base_20rocsparse_fill_mode_20rocsparse_diag_type_b,comdat
	.globl	_ZN9rocsparseL5csrsmILj128ELj64ELb1EiidEEv20rocsparse_operation_T3_S2_NS_24const_host_device_scalarIT4_EEPKT2_PKS2_PKS4_PS4_lPiSA_PS2_21rocsparse_index_base_20rocsparse_fill_mode_20rocsparse_diag_type_b ; -- Begin function _ZN9rocsparseL5csrsmILj128ELj64ELb1EiidEEv20rocsparse_operation_T3_S2_NS_24const_host_device_scalarIT4_EEPKT2_PKS2_PKS4_PS4_lPiSA_PS2_21rocsparse_index_base_20rocsparse_fill_mode_20rocsparse_diag_type_b
	.p2align	8
	.type	_ZN9rocsparseL5csrsmILj128ELj64ELb1EiidEEv20rocsparse_operation_T3_S2_NS_24const_host_device_scalarIT4_EEPKT2_PKS2_PKS4_PS4_lPiSA_PS2_21rocsparse_index_base_20rocsparse_fill_mode_20rocsparse_diag_type_b,@function
_ZN9rocsparseL5csrsmILj128ELj64ELb1EiidEEv20rocsparse_operation_T3_S2_NS_24const_host_device_scalarIT4_EEPKT2_PKS2_PKS4_PS4_lPiSA_PS2_21rocsparse_index_base_20rocsparse_fill_mode_20rocsparse_diag_type_b: ; @_ZN9rocsparseL5csrsmILj128ELj64ELb1EiidEEv20rocsparse_operation_T3_S2_NS_24const_host_device_scalarIT4_EEPKT2_PKS2_PKS4_PS4_lPiSA_PS2_21rocsparse_index_base_20rocsparse_fill_mode_20rocsparse_diag_type_b
; %bb.0:
	s_clause 0x2
	s_load_b128 s[4:7], s[0:1], 0x58
	s_load_b128 s[12:15], s[0:1], 0x10
	s_load_b64 s[2:3], s[0:1], 0x48
	s_wait_kmcnt 0x0
	s_bitcmp1_b32 s7, 0
	v_mov_b64_e32 v[2:3], s[12:13]
	s_cselect_b32 s7, -1, 0
	s_delay_alu instid0(SALU_CYCLE_1)
	s_and_b32 vcc_lo, exec_lo, s7
	s_cbranch_vccnz .LBB14_2
; %bb.1:
	v_mov_b32_e32 v1, 0
	flat_load_b64 v[2:3], v1, s[12:13]
.LBB14_2:
	s_wait_xcnt 0x0
	s_load_b64 s[12:13], s[0:1], 0x4
	s_bfe_u32 s9, ttmp6, 0x4000c
	s_and_b32 s8, ttmp6, 15
	s_add_co_i32 s9, s9, 1
	s_getreg_b32 s11, hwreg(HW_REG_IB_STS2, 6, 4)
	s_mul_i32 s9, ttmp9, s9
	v_mov_b64_e32 v[4:5], 0
	s_add_co_i32 s8, s8, s9
	s_wait_kmcnt 0x0
	s_cvt_f32_u32 s7, s12
	s_sub_co_i32 s10, 0, s12
	s_delay_alu instid0(SALU_CYCLE_2) | instskip(SKIP_1) | instid1(TRANS32_DEP_1)
	v_rcp_iflag_f32_e32 v1, s7
	v_nop
	v_readfirstlane_b32 s7, v1
	s_mul_f32 s7, s7, 0x4f7ffffe
	s_delay_alu instid0(SALU_CYCLE_3) | instskip(NEXT) | instid1(SALU_CYCLE_3)
	s_cvt_u32_f32 s7, s7
	s_mul_i32 s10, s10, s7
	s_delay_alu instid0(SALU_CYCLE_1) | instskip(NEXT) | instid1(SALU_CYCLE_1)
	s_mul_hi_u32 s10, s7, s10
	s_add_co_i32 s7, s7, s10
	s_cmp_eq_u32 s11, 0
	s_cselect_b32 s8, ttmp9, s8
	s_delay_alu instid0(SALU_CYCLE_1) | instskip(NEXT) | instid1(SALU_CYCLE_1)
	s_mul_hi_u32 s7, s8, s7
	s_mul_i32 s9, s7, s12
	s_add_co_i32 s10, s7, 1
	s_sub_co_i32 s9, s8, s9
	s_delay_alu instid0(SALU_CYCLE_1)
	s_sub_co_i32 s11, s9, s12
	s_cmp_ge_u32 s9, s12
	s_cselect_b32 s7, s10, s7
	s_cselect_b32 s9, s11, s9
	s_add_co_i32 s10, s7, 1
	s_cmp_ge_u32 s9, s12
	s_cselect_b32 s20, s10, s7
	s_delay_alu instid0(SALU_CYCLE_1) | instskip(SKIP_2) | instid1(SALU_CYCLE_1)
	s_mul_i32 s7, s20, s12
	v_lshl_or_b32 v6, s20, 7, v0
	s_sub_co_i32 s8, s8, s7
	s_ashr_i32 s9, s8, 31
	s_delay_alu instid0(VALU_DEP_1) | instskip(SKIP_1) | instid1(SALU_CYCLE_1)
	v_ashrrev_i32_e32 v7, 31, v6
	s_lshl_b64 s[8:9], s[8:9], 2
	s_add_nc_u64 s[2:3], s[2:3], s[8:9]
	s_load_b128 s[8:11], s[0:1], 0x30
	s_load_b32 s16, s[2:3], 0x0
	s_wait_kmcnt 0x0
	s_ashr_i32 s17, s16, 31
	s_delay_alu instid0(SALU_CYCLE_1)
	s_lshl_b64 s[2:3], s[16:17], 2
	s_mul_u64 s[20:21], s[10:11], s[16:17]
	s_add_nc_u64 s[2:3], s[14:15], s[2:3]
	s_load_b64 s[18:19], s[0:1], 0x40
	s_load_b64 s[22:23], s[2:3], 0x0
	s_wait_xcnt 0x0
	v_cmp_gt_i32_e64 s2, s13, v6
	s_and_saveexec_b32 s3, s2
	s_cbranch_execz .LBB14_4
; %bb.3:
	v_add_nc_u64_e32 v[4:5], s[20:21], v[6:7]
	s_delay_alu instid0(VALU_DEP_1)
	v_lshl_add_u64 v[4:5], v[4:5], 3, s[8:9]
	global_load_b64 v[4:5], v[4:5], off
	s_wait_loadcnt_dscnt 0x0
	v_mul_f64_e32 v[4:5], v[2:3], v[4:5]
.LBB14_4:
	s_or_b32 exec_lo, exec_lo, s3
	v_mov_b64_e32 v[10:11], 1.0
	s_wait_loadcnt_dscnt 0x0
	v_lshl_add_u64 v[2:3], v[6:7], 3, s[8:9]
	v_cmp_eq_u32_e64 s3, 0, v0
	s_wait_kmcnt 0x0
	s_cmp_ge_i32 s22, s23
	s_cbranch_scc1 .LBB14_43
; %bb.5:
	s_clause 0x1
	s_load_b64 s[8:9], s[0:1], 0x50
	s_load_b128 s[12:15], s[0:1], 0x20
	s_sub_co_i32 s17, s22, s4
	s_sub_co_i32 s26, s23, s4
	s_cmp_lg_u32 s6, 0
	v_mov_b64_e32 v[6:7], 1.0
	v_lshl_or_b32 v1, v0, 2, 0x400
	v_dual_mov_b32 v15, 0 :: v_dual_lshlrev_b32 v14, 3, v0
	s_cselect_b32 s27, -1, 0
	s_wait_xcnt 0x0
	v_cmp_ne_u32_e64 s0, 0, v0
	s_add_co_i32 s28, s16, s4
	s_cmp_eq_u32 s6, 0
	s_mov_b32 s29, s17
	s_cselect_b32 s1, -1, 0
	s_sub_co_i32 s22, s29, s17
	s_delay_alu instid0(SALU_CYCLE_1) | instskip(NEXT) | instid1(SALU_CYCLE_1)
	s_and_b32 s22, s22, 0x7f
	s_cmp_lg_u32 s22, 0
	s_cbranch_scc1 .LBB14_9
.LBB14_6:
	s_sub_co_i32 s23, s26, s29
	v_mov_b64_e32 v[8:9], -1.0
	v_cmp_gt_u32_e32 vcc_lo, s23, v0
	v_mov_b32_e32 v10, -1
	s_and_saveexec_b32 s23, vcc_lo
	s_cbranch_execz .LBB14_8
; %bb.7:
	v_add_nc_u32_e32 v10, s29, v0
	s_wait_kmcnt 0x0
	s_clause 0x1
	global_load_b32 v11, v10, s[12:13] scale_offset
	global_load_b64 v[8:9], v10, s[14:15] scale_offset
	s_wait_loadcnt 0x1
	s_wait_xcnt 0x0
	v_subrev_nc_u32_e32 v10, s4, v11
.LBB14_8:
	s_or_b32 exec_lo, exec_lo, s23
	ds_store_b32 v1, v10
	s_wait_loadcnt 0x0
	ds_store_b64 v14, v[8:9]
.LBB14_9:                               ; =>This Loop Header: Depth=1
                                        ;     Child Loop BB14_41 Depth 2
                                        ;       Child Loop BB14_42 Depth 3
	s_lshl_b32 s23, s22, 3
	s_lshl_b32 s22, s22, 2
	s_delay_alu instid0(SALU_CYCLE_1)
	v_dual_mov_b32 v8, s23 :: v_dual_mov_b32 v10, s22
	s_wait_dscnt 0x0
	s_barrier_signal -1
	s_barrier_wait -1
	ds_load_b64 v[8:9], v8
	ds_load_b32 v10, v10 offset:1024
	s_wait_dscnt 0x1
	v_cmp_neq_f64_e32 vcc_lo, 0, v[8:9]
	s_wait_dscnt 0x0
	v_readfirstlane_b32 s22, v10
	s_cmp_lg_u32 s22, s16
	s_cselect_b32 s23, -1, 0
	s_delay_alu instid0(SALU_CYCLE_1) | instskip(NEXT) | instid1(SALU_CYCLE_1)
	s_or_b32 s23, s27, s23
	s_or_b32 vcc_lo, vcc_lo, s23
	v_cndmask_b32_e32 v9, 0x3ff00000, v9, vcc_lo
	v_cndmask_b32_e32 v8, 0, v8, vcc_lo
	s_nor_b32 s24, s0, vcc_lo
	s_delay_alu instid0(SALU_CYCLE_1)
	s_and_saveexec_b32 s23, s24
	s_cbranch_execz .LBB14_13
; %bb.10:                               ;   in Loop: Header=BB14_9 Depth=1
	v_mbcnt_lo_u32_b32 v8, exec_lo, 0
	s_mov_b32 s24, exec_lo
	s_delay_alu instid0(VALU_DEP_1)
	v_cmpx_eq_u32_e32 0, v8
	s_cbranch_execz .LBB14_12
; %bb.11:                               ;   in Loop: Header=BB14_9 Depth=1
	v_mov_b32_e32 v8, s28
	s_wait_kmcnt 0x0
	global_atomic_min_i32 v15, v8, s[8:9] scope:SCOPE_DEV
.LBB14_12:                              ;   in Loop: Header=BB14_9 Depth=1
	s_wait_xcnt 0x0
	s_or_b32 exec_lo, exec_lo, s24
	v_mov_b64_e32 v[8:9], 1.0
.LBB14_13:                              ;   in Loop: Header=BB14_9 Depth=1
	s_or_b32 exec_lo, exec_lo, s23
	s_mov_b32 s25, -1
	s_mov_b32 s23, 0
	s_cmp_lt_i32 s5, 1
	s_mov_b32 s24, 0
                                        ; implicit-def: $vgpr10_vgpr11
	s_cbranch_scc0 .LBB14_20
; %bb.14:                               ;   in Loop: Header=BB14_9 Depth=1
	s_and_b32 vcc_lo, exec_lo, s25
	s_mov_b32 s25, 4
	s_cbranch_vccnz .LBB14_25
.LBB14_15:                              ;   in Loop: Header=BB14_9 Depth=1
	v_mov_b64_e32 v[12:13], v[4:5]
	s_and_b32 vcc_lo, exec_lo, s24
	s_cbranch_vccnz .LBB14_30
.LBB14_16:                              ;   in Loop: Header=BB14_9 Depth=1
	s_and_b32 vcc_lo, exec_lo, s23
	s_cbranch_vccnz .LBB14_35
.LBB14_17:                              ;   in Loop: Header=BB14_9 Depth=1
	s_mov_b32 s22, -1
	s_cmp_gt_i32 s25, 3
	s_mov_b32 s23, -1
	s_cbranch_scc0 .LBB14_36
.LBB14_18:                              ;   in Loop: Header=BB14_9 Depth=1
	s_and_not1_b32 vcc_lo, exec_lo, s23
	s_cbranch_vccz .LBB14_37
.LBB14_19:                              ;   in Loop: Header=BB14_9 Depth=1
	s_and_not1_b32 vcc_lo, exec_lo, s22
	s_cbranch_vccnz .LBB14_38
	s_branch .LBB14_44
.LBB14_20:                              ;   in Loop: Header=BB14_9 Depth=1
	s_cmp_eq_u32 s5, 1
	s_mov_b32 s24, -1
                                        ; implicit-def: $vgpr10_vgpr11
	s_cbranch_scc0 .LBB14_24
; %bb.21:                               ;   in Loop: Header=BB14_9 Depth=1
	v_mov_b64_e32 v[10:11], v[6:7]
	s_cmp_ge_i32 s22, s16
	s_mov_b32 s24, 0
	s_cbranch_scc0 .LBB14_24
; %bb.22:                               ;   in Loop: Header=BB14_9 Depth=1
	s_cmp_eq_u32 s22, s16
	s_mov_b32 s24, -1
                                        ; implicit-def: $vgpr10_vgpr11
	s_cbranch_scc0 .LBB14_24
; %bb.23:                               ;   in Loop: Header=BB14_9 Depth=1
	v_div_scale_f64 v[10:11], null, v[8:9], v[8:9], 1.0
	v_div_scale_f64 v[18:19], vcc_lo, 1.0, v[8:9], 1.0
	s_mov_b32 s24, 0
	v_rcp_f64_e32 v[12:13], v[10:11]
	v_nop
	s_delay_alu instid0(TRANS32_DEP_1) | instskip(NEXT) | instid1(VALU_DEP_1)
	v_fma_f64 v[16:17], -v[10:11], v[12:13], 1.0
	v_fmac_f64_e32 v[12:13], v[12:13], v[16:17]
	s_delay_alu instid0(VALU_DEP_1) | instskip(NEXT) | instid1(VALU_DEP_1)
	v_fma_f64 v[16:17], -v[10:11], v[12:13], 1.0
	v_fmac_f64_e32 v[12:13], v[12:13], v[16:17]
	s_delay_alu instid0(VALU_DEP_1) | instskip(NEXT) | instid1(VALU_DEP_1)
	v_mul_f64_e32 v[16:17], v[18:19], v[12:13]
	v_fma_f64 v[10:11], -v[10:11], v[16:17], v[18:19]
	s_delay_alu instid0(VALU_DEP_1) | instskip(NEXT) | instid1(VALU_DEP_1)
	v_div_fmas_f64 v[10:11], v[10:11], v[12:13], v[16:17]
	v_div_fixup_f64 v[10:11], v[10:11], v[8:9], 1.0
	s_delay_alu instid0(VALU_DEP_1)
	v_dual_cndmask_b32 v11, v7, v11, s1 :: v_dual_cndmask_b32 v10, v6, v10, s1
.LBB14_24:                              ;   in Loop: Header=BB14_9 Depth=1
	s_mov_b32 s25, 4
	s_branch .LBB14_15
.LBB14_25:                              ;   in Loop: Header=BB14_9 Depth=1
	s_cmp_eq_u32 s5, 0
	s_cbranch_scc1 .LBB14_27
; %bb.26:                               ;   in Loop: Header=BB14_9 Depth=1
	s_mov_b32 s24, -1
	s_branch .LBB14_29
.LBB14_27:                              ;   in Loop: Header=BB14_9 Depth=1
	s_cmp_le_i32 s22, s16
	s_mov_b32 s24, 0
	s_cbranch_scc0 .LBB14_29
; %bb.28:                               ;   in Loop: Header=BB14_9 Depth=1
	s_cmp_lg_u32 s22, s16
	s_mov_b32 s23, -1
	s_cselect_b32 s24, -1, 0
.LBB14_29:                              ;   in Loop: Header=BB14_9 Depth=1
	v_mov_b64_e32 v[10:11], v[6:7]
	s_mov_b32 s25, 2
	v_mov_b64_e32 v[12:13], v[4:5]
	s_and_b32 vcc_lo, exec_lo, s24
	s_cbranch_vccz .LBB14_16
.LBB14_30:                              ;   in Loop: Header=BB14_9 Depth=1
	s_and_saveexec_b32 s23, s3
	s_cbranch_execz .LBB14_32
; %bb.31:                               ;   in Loop: Header=BB14_9 Depth=1
	s_add_co_i32 s24, s22, s7
	s_delay_alu instid0(SALU_CYCLE_1)
	v_mov_b32_e32 v10, s24
	global_load_b32 v10, v10, s[18:19] scale_offset scope:SCOPE_DEV
	s_wait_loadcnt 0x0
	v_cmp_ne_u32_e32 vcc_lo, 0, v10
	s_cbranch_vccz .LBB14_39
.LBB14_32:                              ;   in Loop: Header=BB14_9 Depth=1
	s_wait_xcnt 0x0
	s_or_b32 exec_lo, exec_lo, s23
	v_mov_b64_e32 v[12:13], 0
	s_wait_storecnt 0x0
	s_barrier_signal -1
	s_barrier_wait -1
	global_inv scope:SCOPE_DEV
	s_and_saveexec_b32 s24, s2
	s_cbranch_execz .LBB14_34
; %bb.33:                               ;   in Loop: Header=BB14_9 Depth=1
	s_ashr_i32 s23, s22, 31
	s_delay_alu instid0(SALU_CYCLE_1) | instskip(NEXT) | instid1(SALU_CYCLE_1)
	s_mul_u64 s[22:23], s[10:11], s[22:23]
	v_lshl_add_u64 v[10:11], s[22:23], 3, v[2:3]
	global_load_b64 v[10:11], v[10:11], off
	s_wait_loadcnt 0x0
	v_fma_f64 v[12:13], -v[8:9], v[10:11], v[4:5]
.LBB14_34:                              ;   in Loop: Header=BB14_9 Depth=1
	s_or_b32 exec_lo, exec_lo, s24
	v_mov_b64_e32 v[10:11], v[6:7]
	s_mov_b32 s25, 0
	s_branch .LBB14_17
.LBB14_35:                              ;   in Loop: Header=BB14_9 Depth=1
	v_div_scale_f64 v[10:11], null, v[8:9], v[8:9], 1.0
	v_div_scale_f64 v[18:19], vcc_lo, 1.0, v[8:9], 1.0
	s_mov_b32 s25, 2
	v_rcp_f64_e32 v[12:13], v[10:11]
	v_nop
	s_delay_alu instid0(TRANS32_DEP_1) | instskip(NEXT) | instid1(VALU_DEP_1)
	v_fma_f64 v[16:17], -v[10:11], v[12:13], 1.0
	v_fmac_f64_e32 v[12:13], v[12:13], v[16:17]
	s_delay_alu instid0(VALU_DEP_1) | instskip(NEXT) | instid1(VALU_DEP_1)
	v_fma_f64 v[16:17], -v[10:11], v[12:13], 1.0
	v_fmac_f64_e32 v[12:13], v[12:13], v[16:17]
	s_delay_alu instid0(VALU_DEP_1) | instskip(NEXT) | instid1(VALU_DEP_1)
	v_mul_f64_e32 v[16:17], v[18:19], v[12:13]
	v_fma_f64 v[10:11], -v[10:11], v[16:17], v[18:19]
	s_delay_alu instid0(VALU_DEP_1) | instskip(SKIP_1) | instid1(VALU_DEP_2)
	v_div_fmas_f64 v[10:11], v[10:11], v[12:13], v[16:17]
	v_mov_b64_e32 v[12:13], v[4:5]
	v_div_fixup_f64 v[8:9], v[10:11], v[8:9], 1.0
	s_delay_alu instid0(VALU_DEP_1)
	v_dual_cndmask_b32 v11, v7, v9, s1 :: v_dual_cndmask_b32 v10, v6, v8, s1
	s_mov_b32 s22, -1
	s_cmp_gt_i32 s25, 3
	s_mov_b32 s23, -1
	s_cbranch_scc1 .LBB14_18
.LBB14_36:                              ;   in Loop: Header=BB14_9 Depth=1
	s_cmp_eq_u32 s25, 0
	s_cselect_b32 s23, -1, 0
	s_delay_alu instid0(SALU_CYCLE_1)
	s_and_not1_b32 vcc_lo, exec_lo, s23
	s_cbranch_vccnz .LBB14_19
.LBB14_37:                              ;   in Loop: Header=BB14_9 Depth=1
	s_add_co_i32 s29, s29, 1
	s_delay_alu instid0(SALU_CYCLE_1) | instskip(SKIP_1) | instid1(SALU_CYCLE_1)
	s_cmp_ge_i32 s29, s26
	s_cselect_b32 s22, -1, 0
	s_and_not1_b32 vcc_lo, exec_lo, s22
	s_cbranch_vccz .LBB14_44
.LBB14_38:                              ;   in Loop: Header=BB14_9 Depth=1
	s_delay_alu instid0(VALU_DEP_1) | instskip(SKIP_2) | instid1(SALU_CYCLE_1)
	v_mov_b64_e32 v[4:5], v[12:13]
	v_mov_b64_e32 v[6:7], v[10:11]
	s_sub_co_i32 s22, s29, s17
	s_and_b32 s22, s22, 0x7f
	s_delay_alu instid0(SALU_CYCLE_1)
	s_cmp_lg_u32 s22, 0
	s_cbranch_scc1 .LBB14_9
	s_branch .LBB14_6
.LBB14_39:                              ;   in Loop: Header=BB14_9 Depth=1
	s_ashr_i32 s25, s24, 31
	s_mov_b32 s30, 0
	s_lshl_b64 s[24:25], s[24:25], 2
	s_delay_alu instid0(SALU_CYCLE_1)
	s_add_nc_u64 s[24:25], s[18:19], s[24:25]
	s_branch .LBB14_41
.LBB14_40:                              ;   in Loop: Header=BB14_41 Depth=2
	global_load_b32 v10, v15, s[24:25] scope:SCOPE_DEV
	s_cmp_lt_u32 s30, 0xf43
	s_cselect_b32 s31, -1, 0
	s_delay_alu instid0(SALU_CYCLE_1)
	s_cmp_lg_u32 s31, 0
	s_add_co_ci_u32 s30, s30, 0
	s_wait_loadcnt 0x0
	v_cmp_ne_u32_e32 vcc_lo, 0, v10
	s_cbranch_vccnz .LBB14_32
.LBB14_41:                              ;   Parent Loop BB14_9 Depth=1
                                        ; =>  This Loop Header: Depth=2
                                        ;       Child Loop BB14_42 Depth 3
	s_cmp_eq_u32 s30, 0
	s_mov_b32 s31, s30
	s_cbranch_scc1 .LBB14_40
.LBB14_42:                              ;   Parent Loop BB14_9 Depth=1
                                        ;     Parent Loop BB14_41 Depth=2
                                        ; =>    This Inner Loop Header: Depth=3
	s_add_co_i32 s31, s31, -1
	s_sleep 1
	s_cmp_eq_u32 s31, 0
	s_cbranch_scc0 .LBB14_42
	s_branch .LBB14_40
.LBB14_43:
	v_mov_b64_e32 v[12:13], v[4:5]
.LBB14_44:
	s_and_saveexec_b32 s0, s2
	s_cbranch_execz .LBB14_46
; %bb.45:
	s_delay_alu instid0(VALU_DEP_1) | instskip(SKIP_3) | instid1(VALU_DEP_2)
	v_mul_f64_e32 v[4:5], v[10:11], v[12:13]
	s_cmp_eq_u32 s6, 0
	v_lshl_add_u64 v[2:3], s[20:21], 3, v[2:3]
	s_cselect_b32 vcc_lo, -1, 0
	v_dual_cndmask_b32 v5, v13, v5 :: v_dual_cndmask_b32 v4, v12, v4
	global_store_b64 v[2:3], v[4:5], off
.LBB14_46:
	s_wait_xcnt 0x0
	s_or_b32 exec_lo, exec_lo, s0
	global_wb scope:SCOPE_DEV
	s_wait_loadcnt 0x0
	s_wait_storecnt 0x0
	global_inv scope:SCOPE_DEV
	s_wait_loadcnt 0x0
	s_barrier_signal -1
	s_barrier_wait -1
	s_mov_b32 s0, exec_lo
	v_cmpx_eq_u32_e32 0, v0
	s_cbranch_execz .LBB14_48
; %bb.47:
	s_add_co_i32 s0, s16, s7
	s_delay_alu instid0(SALU_CYCLE_1)
	v_dual_mov_b32 v0, 1 :: v_dual_mov_b32 v1, s0
	global_store_b32 v1, v0, s[18:19] scale_offset scope:SCOPE_DEV
.LBB14_48:
	s_endpgm
	.section	.rodata,"a",@progbits
	.p2align	6, 0x0
	.amdhsa_kernel _ZN9rocsparseL5csrsmILj128ELj64ELb1EiidEEv20rocsparse_operation_T3_S2_NS_24const_host_device_scalarIT4_EEPKT2_PKS2_PKS4_PS4_lPiSA_PS2_21rocsparse_index_base_20rocsparse_fill_mode_20rocsparse_diag_type_b
		.amdhsa_group_segment_fixed_size 1536
		.amdhsa_private_segment_fixed_size 0
		.amdhsa_kernarg_size 104
		.amdhsa_user_sgpr_count 2
		.amdhsa_user_sgpr_dispatch_ptr 0
		.amdhsa_user_sgpr_queue_ptr 0
		.amdhsa_user_sgpr_kernarg_segment_ptr 1
		.amdhsa_user_sgpr_dispatch_id 0
		.amdhsa_user_sgpr_kernarg_preload_length 0
		.amdhsa_user_sgpr_kernarg_preload_offset 0
		.amdhsa_user_sgpr_private_segment_size 0
		.amdhsa_wavefront_size32 1
		.amdhsa_uses_dynamic_stack 0
		.amdhsa_enable_private_segment 0
		.amdhsa_system_sgpr_workgroup_id_x 1
		.amdhsa_system_sgpr_workgroup_id_y 0
		.amdhsa_system_sgpr_workgroup_id_z 0
		.amdhsa_system_sgpr_workgroup_info 0
		.amdhsa_system_vgpr_workitem_id 0
		.amdhsa_next_free_vgpr 20
		.amdhsa_next_free_sgpr 32
		.amdhsa_named_barrier_count 0
		.amdhsa_reserve_vcc 1
		.amdhsa_float_round_mode_32 0
		.amdhsa_float_round_mode_16_64 0
		.amdhsa_float_denorm_mode_32 3
		.amdhsa_float_denorm_mode_16_64 3
		.amdhsa_fp16_overflow 0
		.amdhsa_memory_ordered 1
		.amdhsa_forward_progress 1
		.amdhsa_inst_pref_size 14
		.amdhsa_round_robin_scheduling 0
		.amdhsa_exception_fp_ieee_invalid_op 0
		.amdhsa_exception_fp_denorm_src 0
		.amdhsa_exception_fp_ieee_div_zero 0
		.amdhsa_exception_fp_ieee_overflow 0
		.amdhsa_exception_fp_ieee_underflow 0
		.amdhsa_exception_fp_ieee_inexact 0
		.amdhsa_exception_int_div_zero 0
	.end_amdhsa_kernel
	.section	.text._ZN9rocsparseL5csrsmILj128ELj64ELb1EiidEEv20rocsparse_operation_T3_S2_NS_24const_host_device_scalarIT4_EEPKT2_PKS2_PKS4_PS4_lPiSA_PS2_21rocsparse_index_base_20rocsparse_fill_mode_20rocsparse_diag_type_b,"axG",@progbits,_ZN9rocsparseL5csrsmILj128ELj64ELb1EiidEEv20rocsparse_operation_T3_S2_NS_24const_host_device_scalarIT4_EEPKT2_PKS2_PKS4_PS4_lPiSA_PS2_21rocsparse_index_base_20rocsparse_fill_mode_20rocsparse_diag_type_b,comdat
.Lfunc_end14:
	.size	_ZN9rocsparseL5csrsmILj128ELj64ELb1EiidEEv20rocsparse_operation_T3_S2_NS_24const_host_device_scalarIT4_EEPKT2_PKS2_PKS4_PS4_lPiSA_PS2_21rocsparse_index_base_20rocsparse_fill_mode_20rocsparse_diag_type_b, .Lfunc_end14-_ZN9rocsparseL5csrsmILj128ELj64ELb1EiidEEv20rocsparse_operation_T3_S2_NS_24const_host_device_scalarIT4_EEPKT2_PKS2_PKS4_PS4_lPiSA_PS2_21rocsparse_index_base_20rocsparse_fill_mode_20rocsparse_diag_type_b
                                        ; -- End function
	.set _ZN9rocsparseL5csrsmILj128ELj64ELb1EiidEEv20rocsparse_operation_T3_S2_NS_24const_host_device_scalarIT4_EEPKT2_PKS2_PKS4_PS4_lPiSA_PS2_21rocsparse_index_base_20rocsparse_fill_mode_20rocsparse_diag_type_b.num_vgpr, 20
	.set _ZN9rocsparseL5csrsmILj128ELj64ELb1EiidEEv20rocsparse_operation_T3_S2_NS_24const_host_device_scalarIT4_EEPKT2_PKS2_PKS4_PS4_lPiSA_PS2_21rocsparse_index_base_20rocsparse_fill_mode_20rocsparse_diag_type_b.num_agpr, 0
	.set _ZN9rocsparseL5csrsmILj128ELj64ELb1EiidEEv20rocsparse_operation_T3_S2_NS_24const_host_device_scalarIT4_EEPKT2_PKS2_PKS4_PS4_lPiSA_PS2_21rocsparse_index_base_20rocsparse_fill_mode_20rocsparse_diag_type_b.numbered_sgpr, 32
	.set _ZN9rocsparseL5csrsmILj128ELj64ELb1EiidEEv20rocsparse_operation_T3_S2_NS_24const_host_device_scalarIT4_EEPKT2_PKS2_PKS4_PS4_lPiSA_PS2_21rocsparse_index_base_20rocsparse_fill_mode_20rocsparse_diag_type_b.num_named_barrier, 0
	.set _ZN9rocsparseL5csrsmILj128ELj64ELb1EiidEEv20rocsparse_operation_T3_S2_NS_24const_host_device_scalarIT4_EEPKT2_PKS2_PKS4_PS4_lPiSA_PS2_21rocsparse_index_base_20rocsparse_fill_mode_20rocsparse_diag_type_b.private_seg_size, 0
	.set _ZN9rocsparseL5csrsmILj128ELj64ELb1EiidEEv20rocsparse_operation_T3_S2_NS_24const_host_device_scalarIT4_EEPKT2_PKS2_PKS4_PS4_lPiSA_PS2_21rocsparse_index_base_20rocsparse_fill_mode_20rocsparse_diag_type_b.uses_vcc, 1
	.set _ZN9rocsparseL5csrsmILj128ELj64ELb1EiidEEv20rocsparse_operation_T3_S2_NS_24const_host_device_scalarIT4_EEPKT2_PKS2_PKS4_PS4_lPiSA_PS2_21rocsparse_index_base_20rocsparse_fill_mode_20rocsparse_diag_type_b.uses_flat_scratch, 0
	.set _ZN9rocsparseL5csrsmILj128ELj64ELb1EiidEEv20rocsparse_operation_T3_S2_NS_24const_host_device_scalarIT4_EEPKT2_PKS2_PKS4_PS4_lPiSA_PS2_21rocsparse_index_base_20rocsparse_fill_mode_20rocsparse_diag_type_b.has_dyn_sized_stack, 0
	.set _ZN9rocsparseL5csrsmILj128ELj64ELb1EiidEEv20rocsparse_operation_T3_S2_NS_24const_host_device_scalarIT4_EEPKT2_PKS2_PKS4_PS4_lPiSA_PS2_21rocsparse_index_base_20rocsparse_fill_mode_20rocsparse_diag_type_b.has_recursion, 0
	.set _ZN9rocsparseL5csrsmILj128ELj64ELb1EiidEEv20rocsparse_operation_T3_S2_NS_24const_host_device_scalarIT4_EEPKT2_PKS2_PKS4_PS4_lPiSA_PS2_21rocsparse_index_base_20rocsparse_fill_mode_20rocsparse_diag_type_b.has_indirect_call, 0
	.section	.AMDGPU.csdata,"",@progbits
; Kernel info:
; codeLenInByte = 1740
; TotalNumSgprs: 34
; NumVgprs: 20
; ScratchSize: 0
; MemoryBound: 0
; FloatMode: 240
; IeeeMode: 1
; LDSByteSize: 1536 bytes/workgroup (compile time only)
; SGPRBlocks: 0
; VGPRBlocks: 1
; NumSGPRsForWavesPerEU: 34
; NumVGPRsForWavesPerEU: 20
; NamedBarCnt: 0
; Occupancy: 16
; WaveLimiterHint : 1
; COMPUTE_PGM_RSRC2:SCRATCH_EN: 0
; COMPUTE_PGM_RSRC2:USER_SGPR: 2
; COMPUTE_PGM_RSRC2:TRAP_HANDLER: 0
; COMPUTE_PGM_RSRC2:TGID_X_EN: 1
; COMPUTE_PGM_RSRC2:TGID_Y_EN: 0
; COMPUTE_PGM_RSRC2:TGID_Z_EN: 0
; COMPUTE_PGM_RSRC2:TIDIG_COMP_CNT: 0
	.section	.text._ZN9rocsparseL5csrsmILj128ELj64ELb0EiidEEv20rocsparse_operation_T3_S2_NS_24const_host_device_scalarIT4_EEPKT2_PKS2_PKS4_PS4_lPiSA_PS2_21rocsparse_index_base_20rocsparse_fill_mode_20rocsparse_diag_type_b,"axG",@progbits,_ZN9rocsparseL5csrsmILj128ELj64ELb0EiidEEv20rocsparse_operation_T3_S2_NS_24const_host_device_scalarIT4_EEPKT2_PKS2_PKS4_PS4_lPiSA_PS2_21rocsparse_index_base_20rocsparse_fill_mode_20rocsparse_diag_type_b,comdat
	.globl	_ZN9rocsparseL5csrsmILj128ELj64ELb0EiidEEv20rocsparse_operation_T3_S2_NS_24const_host_device_scalarIT4_EEPKT2_PKS2_PKS4_PS4_lPiSA_PS2_21rocsparse_index_base_20rocsparse_fill_mode_20rocsparse_diag_type_b ; -- Begin function _ZN9rocsparseL5csrsmILj128ELj64ELb0EiidEEv20rocsparse_operation_T3_S2_NS_24const_host_device_scalarIT4_EEPKT2_PKS2_PKS4_PS4_lPiSA_PS2_21rocsparse_index_base_20rocsparse_fill_mode_20rocsparse_diag_type_b
	.p2align	8
	.type	_ZN9rocsparseL5csrsmILj128ELj64ELb0EiidEEv20rocsparse_operation_T3_S2_NS_24const_host_device_scalarIT4_EEPKT2_PKS2_PKS4_PS4_lPiSA_PS2_21rocsparse_index_base_20rocsparse_fill_mode_20rocsparse_diag_type_b,@function
_ZN9rocsparseL5csrsmILj128ELj64ELb0EiidEEv20rocsparse_operation_T3_S2_NS_24const_host_device_scalarIT4_EEPKT2_PKS2_PKS4_PS4_lPiSA_PS2_21rocsparse_index_base_20rocsparse_fill_mode_20rocsparse_diag_type_b: ; @_ZN9rocsparseL5csrsmILj128ELj64ELb0EiidEEv20rocsparse_operation_T3_S2_NS_24const_host_device_scalarIT4_EEPKT2_PKS2_PKS4_PS4_lPiSA_PS2_21rocsparse_index_base_20rocsparse_fill_mode_20rocsparse_diag_type_b
; %bb.0:
	s_clause 0x2
	s_load_b128 s[4:7], s[0:1], 0x58
	s_load_b128 s[12:15], s[0:1], 0x10
	s_load_b64 s[2:3], s[0:1], 0x48
	s_wait_kmcnt 0x0
	s_bitcmp1_b32 s7, 0
	v_mov_b64_e32 v[2:3], s[12:13]
	s_cselect_b32 s7, -1, 0
	s_delay_alu instid0(SALU_CYCLE_1)
	s_and_b32 vcc_lo, exec_lo, s7
	s_cbranch_vccnz .LBB15_2
; %bb.1:
	v_mov_b32_e32 v1, 0
	flat_load_b64 v[2:3], v1, s[12:13]
.LBB15_2:
	s_wait_xcnt 0x0
	s_load_b64 s[12:13], s[0:1], 0x4
	s_bfe_u32 s9, ttmp6, 0x4000c
	s_and_b32 s8, ttmp6, 15
	s_add_co_i32 s9, s9, 1
	s_getreg_b32 s11, hwreg(HW_REG_IB_STS2, 6, 4)
	s_mul_i32 s9, ttmp9, s9
	v_mov_b64_e32 v[4:5], 0
	s_add_co_i32 s8, s8, s9
	s_wait_kmcnt 0x0
	s_cvt_f32_u32 s7, s12
	s_sub_co_i32 s10, 0, s12
	s_delay_alu instid0(SALU_CYCLE_2) | instskip(SKIP_1) | instid1(TRANS32_DEP_1)
	v_rcp_iflag_f32_e32 v1, s7
	v_nop
	v_readfirstlane_b32 s7, v1
	s_mul_f32 s7, s7, 0x4f7ffffe
	s_delay_alu instid0(SALU_CYCLE_3) | instskip(NEXT) | instid1(SALU_CYCLE_3)
	s_cvt_u32_f32 s7, s7
	s_mul_i32 s10, s10, s7
	s_delay_alu instid0(SALU_CYCLE_1) | instskip(NEXT) | instid1(SALU_CYCLE_1)
	s_mul_hi_u32 s10, s7, s10
	s_add_co_i32 s7, s7, s10
	s_cmp_eq_u32 s11, 0
	s_cselect_b32 s8, ttmp9, s8
	s_delay_alu instid0(SALU_CYCLE_1) | instskip(NEXT) | instid1(SALU_CYCLE_1)
	s_mul_hi_u32 s7, s8, s7
	s_mul_i32 s9, s7, s12
	s_add_co_i32 s10, s7, 1
	s_sub_co_i32 s9, s8, s9
	s_delay_alu instid0(SALU_CYCLE_1)
	s_sub_co_i32 s11, s9, s12
	s_cmp_ge_u32 s9, s12
	s_cselect_b32 s7, s10, s7
	s_cselect_b32 s9, s11, s9
	s_add_co_i32 s10, s7, 1
	s_cmp_ge_u32 s9, s12
	s_cselect_b32 s20, s10, s7
	s_delay_alu instid0(SALU_CYCLE_1) | instskip(SKIP_2) | instid1(SALU_CYCLE_1)
	s_mul_i32 s7, s20, s12
	v_lshl_or_b32 v6, s20, 7, v0
	s_sub_co_i32 s8, s8, s7
	s_ashr_i32 s9, s8, 31
	s_delay_alu instid0(VALU_DEP_1) | instskip(SKIP_1) | instid1(SALU_CYCLE_1)
	v_ashrrev_i32_e32 v7, 31, v6
	s_lshl_b64 s[8:9], s[8:9], 2
	s_add_nc_u64 s[2:3], s[2:3], s[8:9]
	s_load_b128 s[8:11], s[0:1], 0x30
	s_load_b32 s16, s[2:3], 0x0
	s_wait_kmcnt 0x0
	s_ashr_i32 s17, s16, 31
	s_delay_alu instid0(SALU_CYCLE_1)
	s_lshl_b64 s[2:3], s[16:17], 2
	s_mul_u64 s[20:21], s[10:11], s[16:17]
	s_add_nc_u64 s[2:3], s[14:15], s[2:3]
	s_load_b64 s[18:19], s[0:1], 0x40
	s_load_b64 s[22:23], s[2:3], 0x0
	s_wait_xcnt 0x0
	v_cmp_gt_i32_e64 s2, s13, v6
	s_and_saveexec_b32 s3, s2
	s_cbranch_execz .LBB15_4
; %bb.3:
	v_add_nc_u64_e32 v[4:5], s[20:21], v[6:7]
	s_delay_alu instid0(VALU_DEP_1)
	v_lshl_add_u64 v[4:5], v[4:5], 3, s[8:9]
	global_load_b64 v[4:5], v[4:5], off
	s_wait_loadcnt_dscnt 0x0
	v_mul_f64_e32 v[4:5], v[2:3], v[4:5]
.LBB15_4:
	s_or_b32 exec_lo, exec_lo, s3
	v_mov_b64_e32 v[10:11], 1.0
	s_wait_loadcnt_dscnt 0x0
	v_lshl_add_u64 v[2:3], v[6:7], 3, s[8:9]
	v_cmp_eq_u32_e64 s3, 0, v0
	s_wait_kmcnt 0x0
	s_cmp_ge_i32 s22, s23
	s_cbranch_scc1 .LBB15_41
; %bb.5:
	s_clause 0x1
	s_load_b64 s[8:9], s[0:1], 0x50
	s_load_b128 s[12:15], s[0:1], 0x20
	s_sub_co_i32 s17, s22, s4
	s_sub_co_i32 s26, s23, s4
	s_cmp_lg_u32 s6, 0
	v_mov_b64_e32 v[6:7], 1.0
	v_lshl_or_b32 v1, v0, 2, 0x400
	v_dual_mov_b32 v15, 0 :: v_dual_lshlrev_b32 v14, 3, v0
	s_cselect_b32 s27, -1, 0
	s_wait_xcnt 0x0
	v_cmp_ne_u32_e64 s0, 0, v0
	s_add_co_i32 s28, s16, s4
	s_cmp_eq_u32 s6, 0
	s_mov_b32 s29, s17
	s_cselect_b32 s1, -1, 0
	s_sub_co_i32 s22, s29, s17
	s_delay_alu instid0(SALU_CYCLE_1) | instskip(NEXT) | instid1(SALU_CYCLE_1)
	s_and_b32 s22, s22, 0x7f
	s_cmp_lg_u32 s22, 0
	s_cbranch_scc1 .LBB15_9
.LBB15_6:
	s_sub_co_i32 s23, s26, s29
	v_mov_b64_e32 v[8:9], -1.0
	v_cmp_gt_u32_e32 vcc_lo, s23, v0
	v_mov_b32_e32 v10, -1
	s_and_saveexec_b32 s23, vcc_lo
	s_cbranch_execz .LBB15_8
; %bb.7:
	v_add_nc_u32_e32 v10, s29, v0
	s_wait_kmcnt 0x0
	s_clause 0x1
	global_load_b32 v11, v10, s[12:13] scale_offset
	global_load_b64 v[8:9], v10, s[14:15] scale_offset
	s_wait_loadcnt 0x1
	s_wait_xcnt 0x0
	v_subrev_nc_u32_e32 v10, s4, v11
.LBB15_8:
	s_or_b32 exec_lo, exec_lo, s23
	ds_store_b32 v1, v10
	s_wait_loadcnt 0x0
	ds_store_b64 v14, v[8:9]
.LBB15_9:                               ; =>This Loop Header: Depth=1
                                        ;     Child Loop BB15_33 Depth 2
	s_lshl_b32 s23, s22, 3
	s_lshl_b32 s22, s22, 2
	s_delay_alu instid0(SALU_CYCLE_1)
	v_dual_mov_b32 v8, s23 :: v_dual_mov_b32 v10, s22
	s_wait_dscnt 0x0
	s_barrier_signal -1
	s_barrier_wait -1
	ds_load_b64 v[8:9], v8
	ds_load_b32 v10, v10 offset:1024
	s_wait_dscnt 0x1
	v_cmp_neq_f64_e32 vcc_lo, 0, v[8:9]
	s_wait_dscnt 0x0
	v_readfirstlane_b32 s22, v10
	s_cmp_lg_u32 s22, s16
	s_cselect_b32 s23, -1, 0
	s_delay_alu instid0(SALU_CYCLE_1) | instskip(NEXT) | instid1(SALU_CYCLE_1)
	s_or_b32 s23, s27, s23
	s_or_b32 vcc_lo, vcc_lo, s23
	v_cndmask_b32_e32 v9, 0x3ff00000, v9, vcc_lo
	v_cndmask_b32_e32 v8, 0, v8, vcc_lo
	s_nor_b32 s24, s0, vcc_lo
	s_delay_alu instid0(SALU_CYCLE_1)
	s_and_saveexec_b32 s23, s24
	s_cbranch_execz .LBB15_13
; %bb.10:                               ;   in Loop: Header=BB15_9 Depth=1
	v_mbcnt_lo_u32_b32 v8, exec_lo, 0
	s_mov_b32 s24, exec_lo
	s_delay_alu instid0(VALU_DEP_1)
	v_cmpx_eq_u32_e32 0, v8
	s_cbranch_execz .LBB15_12
; %bb.11:                               ;   in Loop: Header=BB15_9 Depth=1
	v_mov_b32_e32 v8, s28
	s_wait_kmcnt 0x0
	global_atomic_min_i32 v15, v8, s[8:9] scope:SCOPE_DEV
.LBB15_12:                              ;   in Loop: Header=BB15_9 Depth=1
	s_wait_xcnt 0x0
	s_or_b32 exec_lo, exec_lo, s24
	v_mov_b64_e32 v[8:9], 1.0
.LBB15_13:                              ;   in Loop: Header=BB15_9 Depth=1
	s_or_b32 exec_lo, exec_lo, s23
	s_mov_b32 s25, -1
	s_mov_b32 s23, 0
	s_cmp_lt_i32 s5, 1
	s_mov_b32 s24, 0
                                        ; implicit-def: $vgpr10_vgpr11
	s_cbranch_scc0 .LBB15_20
; %bb.14:                               ;   in Loop: Header=BB15_9 Depth=1
	s_and_b32 vcc_lo, exec_lo, s25
	s_mov_b32 s25, 4
	s_cbranch_vccnz .LBB15_25
.LBB15_15:                              ;   in Loop: Header=BB15_9 Depth=1
	v_mov_b64_e32 v[12:13], v[4:5]
	s_and_b32 vcc_lo, exec_lo, s24
	s_cbranch_vccnz .LBB15_30
.LBB15_16:                              ;   in Loop: Header=BB15_9 Depth=1
	s_and_b32 vcc_lo, exec_lo, s23
	s_cbranch_vccnz .LBB15_37
.LBB15_17:                              ;   in Loop: Header=BB15_9 Depth=1
	s_mov_b32 s22, -1
	s_cmp_gt_i32 s25, 3
	s_mov_b32 s23, -1
	s_cbranch_scc0 .LBB15_38
.LBB15_18:                              ;   in Loop: Header=BB15_9 Depth=1
	s_and_not1_b32 vcc_lo, exec_lo, s23
	s_cbranch_vccz .LBB15_39
.LBB15_19:                              ;   in Loop: Header=BB15_9 Depth=1
	s_and_not1_b32 vcc_lo, exec_lo, s22
	s_cbranch_vccnz .LBB15_40
	s_branch .LBB15_42
.LBB15_20:                              ;   in Loop: Header=BB15_9 Depth=1
	s_cmp_eq_u32 s5, 1
	s_mov_b32 s24, -1
                                        ; implicit-def: $vgpr10_vgpr11
	s_cbranch_scc0 .LBB15_24
; %bb.21:                               ;   in Loop: Header=BB15_9 Depth=1
	v_mov_b64_e32 v[10:11], v[6:7]
	s_cmp_ge_i32 s22, s16
	s_mov_b32 s24, 0
	s_cbranch_scc0 .LBB15_24
; %bb.22:                               ;   in Loop: Header=BB15_9 Depth=1
	s_cmp_eq_u32 s22, s16
	s_mov_b32 s24, -1
                                        ; implicit-def: $vgpr10_vgpr11
	s_cbranch_scc0 .LBB15_24
; %bb.23:                               ;   in Loop: Header=BB15_9 Depth=1
	v_div_scale_f64 v[10:11], null, v[8:9], v[8:9], 1.0
	v_div_scale_f64 v[18:19], vcc_lo, 1.0, v[8:9], 1.0
	s_mov_b32 s24, 0
	v_rcp_f64_e32 v[12:13], v[10:11]
	v_nop
	s_delay_alu instid0(TRANS32_DEP_1) | instskip(NEXT) | instid1(VALU_DEP_1)
	v_fma_f64 v[16:17], -v[10:11], v[12:13], 1.0
	v_fmac_f64_e32 v[12:13], v[12:13], v[16:17]
	s_delay_alu instid0(VALU_DEP_1) | instskip(NEXT) | instid1(VALU_DEP_1)
	v_fma_f64 v[16:17], -v[10:11], v[12:13], 1.0
	v_fmac_f64_e32 v[12:13], v[12:13], v[16:17]
	s_delay_alu instid0(VALU_DEP_1) | instskip(NEXT) | instid1(VALU_DEP_1)
	v_mul_f64_e32 v[16:17], v[18:19], v[12:13]
	v_fma_f64 v[10:11], -v[10:11], v[16:17], v[18:19]
	s_delay_alu instid0(VALU_DEP_1) | instskip(NEXT) | instid1(VALU_DEP_1)
	v_div_fmas_f64 v[10:11], v[10:11], v[12:13], v[16:17]
	v_div_fixup_f64 v[10:11], v[10:11], v[8:9], 1.0
	s_delay_alu instid0(VALU_DEP_1)
	v_dual_cndmask_b32 v11, v7, v11, s1 :: v_dual_cndmask_b32 v10, v6, v10, s1
.LBB15_24:                              ;   in Loop: Header=BB15_9 Depth=1
	s_mov_b32 s25, 4
	s_branch .LBB15_15
.LBB15_25:                              ;   in Loop: Header=BB15_9 Depth=1
	s_cmp_eq_u32 s5, 0
	s_cbranch_scc1 .LBB15_27
; %bb.26:                               ;   in Loop: Header=BB15_9 Depth=1
	s_mov_b32 s24, -1
	s_branch .LBB15_29
.LBB15_27:                              ;   in Loop: Header=BB15_9 Depth=1
	s_cmp_le_i32 s22, s16
	s_mov_b32 s24, 0
	s_cbranch_scc0 .LBB15_29
; %bb.28:                               ;   in Loop: Header=BB15_9 Depth=1
	s_cmp_lg_u32 s22, s16
	s_mov_b32 s23, -1
	s_cselect_b32 s24, -1, 0
.LBB15_29:                              ;   in Loop: Header=BB15_9 Depth=1
	v_mov_b64_e32 v[10:11], v[6:7]
	s_mov_b32 s25, 2
	v_mov_b64_e32 v[12:13], v[4:5]
	s_and_b32 vcc_lo, exec_lo, s24
	s_cbranch_vccz .LBB15_16
.LBB15_30:                              ;   in Loop: Header=BB15_9 Depth=1
	s_and_saveexec_b32 s23, s3
	s_cbranch_execz .LBB15_34
; %bb.31:                               ;   in Loop: Header=BB15_9 Depth=1
	s_add_co_i32 s24, s22, s7
	s_delay_alu instid0(SALU_CYCLE_1)
	v_mov_b32_e32 v10, s24
	global_load_b32 v10, v10, s[18:19] scale_offset scope:SCOPE_DEV
	s_wait_loadcnt 0x0
	v_cmp_ne_u32_e32 vcc_lo, 0, v10
	s_cbranch_vccnz .LBB15_34
; %bb.32:                               ;   in Loop: Header=BB15_9 Depth=1
	s_ashr_i32 s25, s24, 31
	s_delay_alu instid0(SALU_CYCLE_1) | instskip(NEXT) | instid1(SALU_CYCLE_1)
	s_lshl_b64 s[24:25], s[24:25], 2
	s_add_nc_u64 s[24:25], s[18:19], s[24:25]
.LBB15_33:                              ;   Parent Loop BB15_9 Depth=1
                                        ; =>  This Inner Loop Header: Depth=2
	global_load_b32 v10, v15, s[24:25] scope:SCOPE_DEV
	s_wait_loadcnt 0x0
	v_cmp_eq_u32_e32 vcc_lo, 0, v10
	s_cbranch_vccnz .LBB15_33
.LBB15_34:                              ;   in Loop: Header=BB15_9 Depth=1
	s_wait_xcnt 0x0
	s_or_b32 exec_lo, exec_lo, s23
	v_mov_b64_e32 v[12:13], 0
	s_wait_storecnt 0x0
	s_barrier_signal -1
	s_barrier_wait -1
	global_inv scope:SCOPE_DEV
	s_and_saveexec_b32 s24, s2
	s_cbranch_execz .LBB15_36
; %bb.35:                               ;   in Loop: Header=BB15_9 Depth=1
	s_ashr_i32 s23, s22, 31
	s_delay_alu instid0(SALU_CYCLE_1) | instskip(NEXT) | instid1(SALU_CYCLE_1)
	s_mul_u64 s[22:23], s[10:11], s[22:23]
	v_lshl_add_u64 v[10:11], s[22:23], 3, v[2:3]
	global_load_b64 v[10:11], v[10:11], off
	s_wait_loadcnt 0x0
	v_fma_f64 v[12:13], -v[8:9], v[10:11], v[4:5]
.LBB15_36:                              ;   in Loop: Header=BB15_9 Depth=1
	s_or_b32 exec_lo, exec_lo, s24
	v_mov_b64_e32 v[10:11], v[6:7]
	s_mov_b32 s25, 0
	s_branch .LBB15_17
.LBB15_37:                              ;   in Loop: Header=BB15_9 Depth=1
	v_div_scale_f64 v[10:11], null, v[8:9], v[8:9], 1.0
	v_div_scale_f64 v[18:19], vcc_lo, 1.0, v[8:9], 1.0
	s_mov_b32 s25, 2
	v_rcp_f64_e32 v[12:13], v[10:11]
	v_nop
	s_delay_alu instid0(TRANS32_DEP_1) | instskip(NEXT) | instid1(VALU_DEP_1)
	v_fma_f64 v[16:17], -v[10:11], v[12:13], 1.0
	v_fmac_f64_e32 v[12:13], v[12:13], v[16:17]
	s_delay_alu instid0(VALU_DEP_1) | instskip(NEXT) | instid1(VALU_DEP_1)
	v_fma_f64 v[16:17], -v[10:11], v[12:13], 1.0
	v_fmac_f64_e32 v[12:13], v[12:13], v[16:17]
	s_delay_alu instid0(VALU_DEP_1) | instskip(NEXT) | instid1(VALU_DEP_1)
	v_mul_f64_e32 v[16:17], v[18:19], v[12:13]
	v_fma_f64 v[10:11], -v[10:11], v[16:17], v[18:19]
	s_delay_alu instid0(VALU_DEP_1) | instskip(SKIP_1) | instid1(VALU_DEP_2)
	v_div_fmas_f64 v[10:11], v[10:11], v[12:13], v[16:17]
	v_mov_b64_e32 v[12:13], v[4:5]
	v_div_fixup_f64 v[8:9], v[10:11], v[8:9], 1.0
	s_delay_alu instid0(VALU_DEP_1)
	v_dual_cndmask_b32 v11, v7, v9, s1 :: v_dual_cndmask_b32 v10, v6, v8, s1
	s_mov_b32 s22, -1
	s_cmp_gt_i32 s25, 3
	s_mov_b32 s23, -1
	s_cbranch_scc1 .LBB15_18
.LBB15_38:                              ;   in Loop: Header=BB15_9 Depth=1
	s_cmp_eq_u32 s25, 0
	s_cselect_b32 s23, -1, 0
	s_delay_alu instid0(SALU_CYCLE_1)
	s_and_not1_b32 vcc_lo, exec_lo, s23
	s_cbranch_vccnz .LBB15_19
.LBB15_39:                              ;   in Loop: Header=BB15_9 Depth=1
	s_add_co_i32 s29, s29, 1
	s_delay_alu instid0(SALU_CYCLE_1) | instskip(SKIP_1) | instid1(SALU_CYCLE_1)
	s_cmp_ge_i32 s29, s26
	s_cselect_b32 s22, -1, 0
	s_and_not1_b32 vcc_lo, exec_lo, s22
	s_cbranch_vccz .LBB15_42
.LBB15_40:                              ;   in Loop: Header=BB15_9 Depth=1
	s_delay_alu instid0(VALU_DEP_1) | instskip(SKIP_2) | instid1(SALU_CYCLE_1)
	v_mov_b64_e32 v[4:5], v[12:13]
	v_mov_b64_e32 v[6:7], v[10:11]
	s_sub_co_i32 s22, s29, s17
	s_and_b32 s22, s22, 0x7f
	s_delay_alu instid0(SALU_CYCLE_1)
	s_cmp_lg_u32 s22, 0
	s_cbranch_scc1 .LBB15_9
	s_branch .LBB15_6
.LBB15_41:
	v_mov_b64_e32 v[12:13], v[4:5]
.LBB15_42:
	s_and_saveexec_b32 s0, s2
	s_cbranch_execz .LBB15_44
; %bb.43:
	s_delay_alu instid0(VALU_DEP_1) | instskip(SKIP_3) | instid1(VALU_DEP_2)
	v_mul_f64_e32 v[4:5], v[10:11], v[12:13]
	s_cmp_eq_u32 s6, 0
	v_lshl_add_u64 v[2:3], s[20:21], 3, v[2:3]
	s_cselect_b32 vcc_lo, -1, 0
	v_dual_cndmask_b32 v5, v13, v5 :: v_dual_cndmask_b32 v4, v12, v4
	global_store_b64 v[2:3], v[4:5], off
.LBB15_44:
	s_wait_xcnt 0x0
	s_or_b32 exec_lo, exec_lo, s0
	global_wb scope:SCOPE_DEV
	s_wait_loadcnt 0x0
	s_wait_storecnt 0x0
	global_inv scope:SCOPE_DEV
	s_wait_loadcnt 0x0
	s_barrier_signal -1
	s_barrier_wait -1
	s_mov_b32 s0, exec_lo
	v_cmpx_eq_u32_e32 0, v0
	s_cbranch_execz .LBB15_46
; %bb.45:
	s_add_co_i32 s0, s16, s7
	s_delay_alu instid0(SALU_CYCLE_1)
	v_dual_mov_b32 v0, 1 :: v_dual_mov_b32 v1, s0
	global_store_b32 v1, v0, s[18:19] scale_offset scope:SCOPE_DEV
.LBB15_46:
	s_endpgm
	.section	.rodata,"a",@progbits
	.p2align	6, 0x0
	.amdhsa_kernel _ZN9rocsparseL5csrsmILj128ELj64ELb0EiidEEv20rocsparse_operation_T3_S2_NS_24const_host_device_scalarIT4_EEPKT2_PKS2_PKS4_PS4_lPiSA_PS2_21rocsparse_index_base_20rocsparse_fill_mode_20rocsparse_diag_type_b
		.amdhsa_group_segment_fixed_size 1536
		.amdhsa_private_segment_fixed_size 0
		.amdhsa_kernarg_size 104
		.amdhsa_user_sgpr_count 2
		.amdhsa_user_sgpr_dispatch_ptr 0
		.amdhsa_user_sgpr_queue_ptr 0
		.amdhsa_user_sgpr_kernarg_segment_ptr 1
		.amdhsa_user_sgpr_dispatch_id 0
		.amdhsa_user_sgpr_kernarg_preload_length 0
		.amdhsa_user_sgpr_kernarg_preload_offset 0
		.amdhsa_user_sgpr_private_segment_size 0
		.amdhsa_wavefront_size32 1
		.amdhsa_uses_dynamic_stack 0
		.amdhsa_enable_private_segment 0
		.amdhsa_system_sgpr_workgroup_id_x 1
		.amdhsa_system_sgpr_workgroup_id_y 0
		.amdhsa_system_sgpr_workgroup_id_z 0
		.amdhsa_system_sgpr_workgroup_info 0
		.amdhsa_system_vgpr_workitem_id 0
		.amdhsa_next_free_vgpr 20
		.amdhsa_next_free_sgpr 30
		.amdhsa_named_barrier_count 0
		.amdhsa_reserve_vcc 1
		.amdhsa_float_round_mode_32 0
		.amdhsa_float_round_mode_16_64 0
		.amdhsa_float_denorm_mode_32 3
		.amdhsa_float_denorm_mode_16_64 3
		.amdhsa_fp16_overflow 0
		.amdhsa_memory_ordered 1
		.amdhsa_forward_progress 1
		.amdhsa_inst_pref_size 14
		.amdhsa_round_robin_scheduling 0
		.amdhsa_exception_fp_ieee_invalid_op 0
		.amdhsa_exception_fp_denorm_src 0
		.amdhsa_exception_fp_ieee_div_zero 0
		.amdhsa_exception_fp_ieee_overflow 0
		.amdhsa_exception_fp_ieee_underflow 0
		.amdhsa_exception_fp_ieee_inexact 0
		.amdhsa_exception_int_div_zero 0
	.end_amdhsa_kernel
	.section	.text._ZN9rocsparseL5csrsmILj128ELj64ELb0EiidEEv20rocsparse_operation_T3_S2_NS_24const_host_device_scalarIT4_EEPKT2_PKS2_PKS4_PS4_lPiSA_PS2_21rocsparse_index_base_20rocsparse_fill_mode_20rocsparse_diag_type_b,"axG",@progbits,_ZN9rocsparseL5csrsmILj128ELj64ELb0EiidEEv20rocsparse_operation_T3_S2_NS_24const_host_device_scalarIT4_EEPKT2_PKS2_PKS4_PS4_lPiSA_PS2_21rocsparse_index_base_20rocsparse_fill_mode_20rocsparse_diag_type_b,comdat
.Lfunc_end15:
	.size	_ZN9rocsparseL5csrsmILj128ELj64ELb0EiidEEv20rocsparse_operation_T3_S2_NS_24const_host_device_scalarIT4_EEPKT2_PKS2_PKS4_PS4_lPiSA_PS2_21rocsparse_index_base_20rocsparse_fill_mode_20rocsparse_diag_type_b, .Lfunc_end15-_ZN9rocsparseL5csrsmILj128ELj64ELb0EiidEEv20rocsparse_operation_T3_S2_NS_24const_host_device_scalarIT4_EEPKT2_PKS2_PKS4_PS4_lPiSA_PS2_21rocsparse_index_base_20rocsparse_fill_mode_20rocsparse_diag_type_b
                                        ; -- End function
	.set _ZN9rocsparseL5csrsmILj128ELj64ELb0EiidEEv20rocsparse_operation_T3_S2_NS_24const_host_device_scalarIT4_EEPKT2_PKS2_PKS4_PS4_lPiSA_PS2_21rocsparse_index_base_20rocsparse_fill_mode_20rocsparse_diag_type_b.num_vgpr, 20
	.set _ZN9rocsparseL5csrsmILj128ELj64ELb0EiidEEv20rocsparse_operation_T3_S2_NS_24const_host_device_scalarIT4_EEPKT2_PKS2_PKS4_PS4_lPiSA_PS2_21rocsparse_index_base_20rocsparse_fill_mode_20rocsparse_diag_type_b.num_agpr, 0
	.set _ZN9rocsparseL5csrsmILj128ELj64ELb0EiidEEv20rocsparse_operation_T3_S2_NS_24const_host_device_scalarIT4_EEPKT2_PKS2_PKS4_PS4_lPiSA_PS2_21rocsparse_index_base_20rocsparse_fill_mode_20rocsparse_diag_type_b.numbered_sgpr, 30
	.set _ZN9rocsparseL5csrsmILj128ELj64ELb0EiidEEv20rocsparse_operation_T3_S2_NS_24const_host_device_scalarIT4_EEPKT2_PKS2_PKS4_PS4_lPiSA_PS2_21rocsparse_index_base_20rocsparse_fill_mode_20rocsparse_diag_type_b.num_named_barrier, 0
	.set _ZN9rocsparseL5csrsmILj128ELj64ELb0EiidEEv20rocsparse_operation_T3_S2_NS_24const_host_device_scalarIT4_EEPKT2_PKS2_PKS4_PS4_lPiSA_PS2_21rocsparse_index_base_20rocsparse_fill_mode_20rocsparse_diag_type_b.private_seg_size, 0
	.set _ZN9rocsparseL5csrsmILj128ELj64ELb0EiidEEv20rocsparse_operation_T3_S2_NS_24const_host_device_scalarIT4_EEPKT2_PKS2_PKS4_PS4_lPiSA_PS2_21rocsparse_index_base_20rocsparse_fill_mode_20rocsparse_diag_type_b.uses_vcc, 1
	.set _ZN9rocsparseL5csrsmILj128ELj64ELb0EiidEEv20rocsparse_operation_T3_S2_NS_24const_host_device_scalarIT4_EEPKT2_PKS2_PKS4_PS4_lPiSA_PS2_21rocsparse_index_base_20rocsparse_fill_mode_20rocsparse_diag_type_b.uses_flat_scratch, 0
	.set _ZN9rocsparseL5csrsmILj128ELj64ELb0EiidEEv20rocsparse_operation_T3_S2_NS_24const_host_device_scalarIT4_EEPKT2_PKS2_PKS4_PS4_lPiSA_PS2_21rocsparse_index_base_20rocsparse_fill_mode_20rocsparse_diag_type_b.has_dyn_sized_stack, 0
	.set _ZN9rocsparseL5csrsmILj128ELj64ELb0EiidEEv20rocsparse_operation_T3_S2_NS_24const_host_device_scalarIT4_EEPKT2_PKS2_PKS4_PS4_lPiSA_PS2_21rocsparse_index_base_20rocsparse_fill_mode_20rocsparse_diag_type_b.has_recursion, 0
	.set _ZN9rocsparseL5csrsmILj128ELj64ELb0EiidEEv20rocsparse_operation_T3_S2_NS_24const_host_device_scalarIT4_EEPKT2_PKS2_PKS4_PS4_lPiSA_PS2_21rocsparse_index_base_20rocsparse_fill_mode_20rocsparse_diag_type_b.has_indirect_call, 0
	.section	.AMDGPU.csdata,"",@progbits
; Kernel info:
; codeLenInByte = 1676
; TotalNumSgprs: 32
; NumVgprs: 20
; ScratchSize: 0
; MemoryBound: 0
; FloatMode: 240
; IeeeMode: 1
; LDSByteSize: 1536 bytes/workgroup (compile time only)
; SGPRBlocks: 0
; VGPRBlocks: 1
; NumSGPRsForWavesPerEU: 32
; NumVGPRsForWavesPerEU: 20
; NamedBarCnt: 0
; Occupancy: 16
; WaveLimiterHint : 1
; COMPUTE_PGM_RSRC2:SCRATCH_EN: 0
; COMPUTE_PGM_RSRC2:USER_SGPR: 2
; COMPUTE_PGM_RSRC2:TRAP_HANDLER: 0
; COMPUTE_PGM_RSRC2:TGID_X_EN: 1
; COMPUTE_PGM_RSRC2:TGID_Y_EN: 0
; COMPUTE_PGM_RSRC2:TGID_Z_EN: 0
; COMPUTE_PGM_RSRC2:TIDIG_COMP_CNT: 0
	.section	.text._ZN9rocsparseL5csrsmILj256ELj64ELb1EiidEEv20rocsparse_operation_T3_S2_NS_24const_host_device_scalarIT4_EEPKT2_PKS2_PKS4_PS4_lPiSA_PS2_21rocsparse_index_base_20rocsparse_fill_mode_20rocsparse_diag_type_b,"axG",@progbits,_ZN9rocsparseL5csrsmILj256ELj64ELb1EiidEEv20rocsparse_operation_T3_S2_NS_24const_host_device_scalarIT4_EEPKT2_PKS2_PKS4_PS4_lPiSA_PS2_21rocsparse_index_base_20rocsparse_fill_mode_20rocsparse_diag_type_b,comdat
	.globl	_ZN9rocsparseL5csrsmILj256ELj64ELb1EiidEEv20rocsparse_operation_T3_S2_NS_24const_host_device_scalarIT4_EEPKT2_PKS2_PKS4_PS4_lPiSA_PS2_21rocsparse_index_base_20rocsparse_fill_mode_20rocsparse_diag_type_b ; -- Begin function _ZN9rocsparseL5csrsmILj256ELj64ELb1EiidEEv20rocsparse_operation_T3_S2_NS_24const_host_device_scalarIT4_EEPKT2_PKS2_PKS4_PS4_lPiSA_PS2_21rocsparse_index_base_20rocsparse_fill_mode_20rocsparse_diag_type_b
	.p2align	8
	.type	_ZN9rocsparseL5csrsmILj256ELj64ELb1EiidEEv20rocsparse_operation_T3_S2_NS_24const_host_device_scalarIT4_EEPKT2_PKS2_PKS4_PS4_lPiSA_PS2_21rocsparse_index_base_20rocsparse_fill_mode_20rocsparse_diag_type_b,@function
_ZN9rocsparseL5csrsmILj256ELj64ELb1EiidEEv20rocsparse_operation_T3_S2_NS_24const_host_device_scalarIT4_EEPKT2_PKS2_PKS4_PS4_lPiSA_PS2_21rocsparse_index_base_20rocsparse_fill_mode_20rocsparse_diag_type_b: ; @_ZN9rocsparseL5csrsmILj256ELj64ELb1EiidEEv20rocsparse_operation_T3_S2_NS_24const_host_device_scalarIT4_EEPKT2_PKS2_PKS4_PS4_lPiSA_PS2_21rocsparse_index_base_20rocsparse_fill_mode_20rocsparse_diag_type_b
; %bb.0:
	s_clause 0x2
	s_load_b128 s[4:7], s[0:1], 0x58
	s_load_b128 s[12:15], s[0:1], 0x10
	s_load_b64 s[2:3], s[0:1], 0x48
	s_wait_kmcnt 0x0
	s_bitcmp1_b32 s7, 0
	v_mov_b64_e32 v[2:3], s[12:13]
	s_cselect_b32 s7, -1, 0
	s_delay_alu instid0(SALU_CYCLE_1)
	s_and_b32 vcc_lo, exec_lo, s7
	s_cbranch_vccnz .LBB16_2
; %bb.1:
	v_mov_b32_e32 v1, 0
	flat_load_b64 v[2:3], v1, s[12:13]
.LBB16_2:
	s_wait_xcnt 0x0
	s_load_b64 s[12:13], s[0:1], 0x4
	s_bfe_u32 s9, ttmp6, 0x4000c
	s_and_b32 s8, ttmp6, 15
	s_add_co_i32 s9, s9, 1
	s_getreg_b32 s11, hwreg(HW_REG_IB_STS2, 6, 4)
	s_mul_i32 s9, ttmp9, s9
	v_mov_b64_e32 v[4:5], 0
	s_add_co_i32 s8, s8, s9
	s_wait_kmcnt 0x0
	s_cvt_f32_u32 s7, s12
	s_sub_co_i32 s10, 0, s12
	s_delay_alu instid0(SALU_CYCLE_2) | instskip(SKIP_1) | instid1(TRANS32_DEP_1)
	v_rcp_iflag_f32_e32 v1, s7
	v_nop
	v_readfirstlane_b32 s7, v1
	s_mul_f32 s7, s7, 0x4f7ffffe
	s_delay_alu instid0(SALU_CYCLE_3) | instskip(NEXT) | instid1(SALU_CYCLE_3)
	s_cvt_u32_f32 s7, s7
	s_mul_i32 s10, s10, s7
	s_delay_alu instid0(SALU_CYCLE_1) | instskip(NEXT) | instid1(SALU_CYCLE_1)
	s_mul_hi_u32 s10, s7, s10
	s_add_co_i32 s7, s7, s10
	s_cmp_eq_u32 s11, 0
	s_cselect_b32 s8, ttmp9, s8
	s_delay_alu instid0(SALU_CYCLE_1) | instskip(NEXT) | instid1(SALU_CYCLE_1)
	s_mul_hi_u32 s7, s8, s7
	s_mul_i32 s9, s7, s12
	s_add_co_i32 s10, s7, 1
	s_sub_co_i32 s9, s8, s9
	s_delay_alu instid0(SALU_CYCLE_1)
	s_sub_co_i32 s11, s9, s12
	s_cmp_ge_u32 s9, s12
	s_cselect_b32 s7, s10, s7
	s_cselect_b32 s9, s11, s9
	s_add_co_i32 s10, s7, 1
	s_cmp_ge_u32 s9, s12
	s_cselect_b32 s20, s10, s7
	s_delay_alu instid0(SALU_CYCLE_1) | instskip(SKIP_2) | instid1(SALU_CYCLE_1)
	s_mul_i32 s7, s20, s12
	v_lshl_or_b32 v6, s20, 8, v0
	s_sub_co_i32 s8, s8, s7
	s_ashr_i32 s9, s8, 31
	s_delay_alu instid0(VALU_DEP_1) | instskip(SKIP_1) | instid1(SALU_CYCLE_1)
	v_ashrrev_i32_e32 v7, 31, v6
	s_lshl_b64 s[8:9], s[8:9], 2
	s_add_nc_u64 s[2:3], s[2:3], s[8:9]
	s_load_b128 s[8:11], s[0:1], 0x30
	s_load_b32 s16, s[2:3], 0x0
	s_wait_kmcnt 0x0
	s_ashr_i32 s17, s16, 31
	s_delay_alu instid0(SALU_CYCLE_1)
	s_lshl_b64 s[2:3], s[16:17], 2
	s_mul_u64 s[20:21], s[10:11], s[16:17]
	s_add_nc_u64 s[2:3], s[14:15], s[2:3]
	s_load_b64 s[18:19], s[0:1], 0x40
	s_load_b64 s[22:23], s[2:3], 0x0
	s_wait_xcnt 0x0
	v_cmp_gt_i32_e64 s2, s13, v6
	s_and_saveexec_b32 s3, s2
	s_cbranch_execz .LBB16_4
; %bb.3:
	v_add_nc_u64_e32 v[4:5], s[20:21], v[6:7]
	s_delay_alu instid0(VALU_DEP_1)
	v_lshl_add_u64 v[4:5], v[4:5], 3, s[8:9]
	global_load_b64 v[4:5], v[4:5], off
	s_wait_loadcnt_dscnt 0x0
	v_mul_f64_e32 v[4:5], v[2:3], v[4:5]
.LBB16_4:
	s_or_b32 exec_lo, exec_lo, s3
	v_mov_b64_e32 v[10:11], 1.0
	s_wait_loadcnt_dscnt 0x0
	v_lshl_add_u64 v[2:3], v[6:7], 3, s[8:9]
	v_cmp_eq_u32_e64 s3, 0, v0
	s_wait_kmcnt 0x0
	s_cmp_ge_i32 s22, s23
	s_cbranch_scc1 .LBB16_43
; %bb.5:
	s_clause 0x1
	s_load_b64 s[8:9], s[0:1], 0x50
	s_load_b128 s[12:15], s[0:1], 0x20
	s_sub_co_i32 s17, s22, s4
	s_sub_co_i32 s26, s23, s4
	s_cmp_lg_u32 s6, 0
	v_mov_b64_e32 v[6:7], 1.0
	v_lshl_or_b32 v1, v0, 2, 0x800
	v_dual_mov_b32 v15, 0 :: v_dual_lshlrev_b32 v14, 3, v0
	s_cselect_b32 s27, -1, 0
	s_wait_xcnt 0x0
	v_cmp_ne_u32_e64 s0, 0, v0
	s_add_co_i32 s28, s16, s4
	s_cmp_eq_u32 s6, 0
	s_mov_b32 s29, s17
	s_cselect_b32 s1, -1, 0
	s_sub_co_i32 s22, s29, s17
	s_delay_alu instid0(SALU_CYCLE_1) | instskip(NEXT) | instid1(SALU_CYCLE_1)
	s_and_b32 s22, s22, 0xff
	s_cmp_lg_u32 s22, 0
	s_cbranch_scc1 .LBB16_9
.LBB16_6:
	s_sub_co_i32 s23, s26, s29
	v_mov_b64_e32 v[8:9], -1.0
	v_cmp_gt_u32_e32 vcc_lo, s23, v0
	v_mov_b32_e32 v10, -1
	s_and_saveexec_b32 s23, vcc_lo
	s_cbranch_execz .LBB16_8
; %bb.7:
	v_add_nc_u32_e32 v10, s29, v0
	s_wait_kmcnt 0x0
	s_clause 0x1
	global_load_b32 v11, v10, s[12:13] scale_offset
	global_load_b64 v[8:9], v10, s[14:15] scale_offset
	s_wait_loadcnt 0x1
	s_wait_xcnt 0x0
	v_subrev_nc_u32_e32 v10, s4, v11
.LBB16_8:
	s_or_b32 exec_lo, exec_lo, s23
	ds_store_b32 v1, v10
	s_wait_loadcnt 0x0
	ds_store_b64 v14, v[8:9]
.LBB16_9:                               ; =>This Loop Header: Depth=1
                                        ;     Child Loop BB16_41 Depth 2
                                        ;       Child Loop BB16_42 Depth 3
	s_lshl_b32 s23, s22, 3
	s_lshl_b32 s22, s22, 2
	s_delay_alu instid0(SALU_CYCLE_1)
	v_dual_mov_b32 v8, s23 :: v_dual_mov_b32 v10, s22
	s_wait_dscnt 0x0
	s_barrier_signal -1
	s_barrier_wait -1
	ds_load_b64 v[8:9], v8
	ds_load_b32 v10, v10 offset:2048
	s_wait_dscnt 0x1
	v_cmp_neq_f64_e32 vcc_lo, 0, v[8:9]
	s_wait_dscnt 0x0
	v_readfirstlane_b32 s22, v10
	s_cmp_lg_u32 s22, s16
	s_cselect_b32 s23, -1, 0
	s_delay_alu instid0(SALU_CYCLE_1) | instskip(NEXT) | instid1(SALU_CYCLE_1)
	s_or_b32 s23, s27, s23
	s_or_b32 vcc_lo, vcc_lo, s23
	v_cndmask_b32_e32 v9, 0x3ff00000, v9, vcc_lo
	v_cndmask_b32_e32 v8, 0, v8, vcc_lo
	s_nor_b32 s24, s0, vcc_lo
	s_delay_alu instid0(SALU_CYCLE_1)
	s_and_saveexec_b32 s23, s24
	s_cbranch_execz .LBB16_13
; %bb.10:                               ;   in Loop: Header=BB16_9 Depth=1
	v_mbcnt_lo_u32_b32 v8, exec_lo, 0
	s_mov_b32 s24, exec_lo
	s_delay_alu instid0(VALU_DEP_1)
	v_cmpx_eq_u32_e32 0, v8
	s_cbranch_execz .LBB16_12
; %bb.11:                               ;   in Loop: Header=BB16_9 Depth=1
	v_mov_b32_e32 v8, s28
	s_wait_kmcnt 0x0
	global_atomic_min_i32 v15, v8, s[8:9] scope:SCOPE_DEV
.LBB16_12:                              ;   in Loop: Header=BB16_9 Depth=1
	s_wait_xcnt 0x0
	s_or_b32 exec_lo, exec_lo, s24
	v_mov_b64_e32 v[8:9], 1.0
.LBB16_13:                              ;   in Loop: Header=BB16_9 Depth=1
	s_or_b32 exec_lo, exec_lo, s23
	s_mov_b32 s25, -1
	s_mov_b32 s23, 0
	s_cmp_lt_i32 s5, 1
	s_mov_b32 s24, 0
                                        ; implicit-def: $vgpr10_vgpr11
	s_cbranch_scc0 .LBB16_20
; %bb.14:                               ;   in Loop: Header=BB16_9 Depth=1
	s_and_b32 vcc_lo, exec_lo, s25
	s_mov_b32 s25, 4
	s_cbranch_vccnz .LBB16_25
.LBB16_15:                              ;   in Loop: Header=BB16_9 Depth=1
	v_mov_b64_e32 v[12:13], v[4:5]
	s_and_b32 vcc_lo, exec_lo, s24
	s_cbranch_vccnz .LBB16_30
.LBB16_16:                              ;   in Loop: Header=BB16_9 Depth=1
	s_and_b32 vcc_lo, exec_lo, s23
	s_cbranch_vccnz .LBB16_35
.LBB16_17:                              ;   in Loop: Header=BB16_9 Depth=1
	s_mov_b32 s22, -1
	s_cmp_gt_i32 s25, 3
	s_mov_b32 s23, -1
	s_cbranch_scc0 .LBB16_36
.LBB16_18:                              ;   in Loop: Header=BB16_9 Depth=1
	s_and_not1_b32 vcc_lo, exec_lo, s23
	s_cbranch_vccz .LBB16_37
.LBB16_19:                              ;   in Loop: Header=BB16_9 Depth=1
	s_and_not1_b32 vcc_lo, exec_lo, s22
	s_cbranch_vccnz .LBB16_38
	s_branch .LBB16_44
.LBB16_20:                              ;   in Loop: Header=BB16_9 Depth=1
	s_cmp_eq_u32 s5, 1
	s_mov_b32 s24, -1
                                        ; implicit-def: $vgpr10_vgpr11
	s_cbranch_scc0 .LBB16_24
; %bb.21:                               ;   in Loop: Header=BB16_9 Depth=1
	v_mov_b64_e32 v[10:11], v[6:7]
	s_cmp_ge_i32 s22, s16
	s_mov_b32 s24, 0
	s_cbranch_scc0 .LBB16_24
; %bb.22:                               ;   in Loop: Header=BB16_9 Depth=1
	s_cmp_eq_u32 s22, s16
	s_mov_b32 s24, -1
                                        ; implicit-def: $vgpr10_vgpr11
	s_cbranch_scc0 .LBB16_24
; %bb.23:                               ;   in Loop: Header=BB16_9 Depth=1
	v_div_scale_f64 v[10:11], null, v[8:9], v[8:9], 1.0
	v_div_scale_f64 v[18:19], vcc_lo, 1.0, v[8:9], 1.0
	s_mov_b32 s24, 0
	v_rcp_f64_e32 v[12:13], v[10:11]
	v_nop
	s_delay_alu instid0(TRANS32_DEP_1) | instskip(NEXT) | instid1(VALU_DEP_1)
	v_fma_f64 v[16:17], -v[10:11], v[12:13], 1.0
	v_fmac_f64_e32 v[12:13], v[12:13], v[16:17]
	s_delay_alu instid0(VALU_DEP_1) | instskip(NEXT) | instid1(VALU_DEP_1)
	v_fma_f64 v[16:17], -v[10:11], v[12:13], 1.0
	v_fmac_f64_e32 v[12:13], v[12:13], v[16:17]
	s_delay_alu instid0(VALU_DEP_1) | instskip(NEXT) | instid1(VALU_DEP_1)
	v_mul_f64_e32 v[16:17], v[18:19], v[12:13]
	v_fma_f64 v[10:11], -v[10:11], v[16:17], v[18:19]
	s_delay_alu instid0(VALU_DEP_1) | instskip(NEXT) | instid1(VALU_DEP_1)
	v_div_fmas_f64 v[10:11], v[10:11], v[12:13], v[16:17]
	v_div_fixup_f64 v[10:11], v[10:11], v[8:9], 1.0
	s_delay_alu instid0(VALU_DEP_1)
	v_dual_cndmask_b32 v11, v7, v11, s1 :: v_dual_cndmask_b32 v10, v6, v10, s1
.LBB16_24:                              ;   in Loop: Header=BB16_9 Depth=1
	s_mov_b32 s25, 4
	s_branch .LBB16_15
.LBB16_25:                              ;   in Loop: Header=BB16_9 Depth=1
	s_cmp_eq_u32 s5, 0
	s_cbranch_scc1 .LBB16_27
; %bb.26:                               ;   in Loop: Header=BB16_9 Depth=1
	s_mov_b32 s24, -1
	s_branch .LBB16_29
.LBB16_27:                              ;   in Loop: Header=BB16_9 Depth=1
	s_cmp_le_i32 s22, s16
	s_mov_b32 s24, 0
	s_cbranch_scc0 .LBB16_29
; %bb.28:                               ;   in Loop: Header=BB16_9 Depth=1
	s_cmp_lg_u32 s22, s16
	s_mov_b32 s23, -1
	s_cselect_b32 s24, -1, 0
.LBB16_29:                              ;   in Loop: Header=BB16_9 Depth=1
	v_mov_b64_e32 v[10:11], v[6:7]
	s_mov_b32 s25, 2
	v_mov_b64_e32 v[12:13], v[4:5]
	s_and_b32 vcc_lo, exec_lo, s24
	s_cbranch_vccz .LBB16_16
.LBB16_30:                              ;   in Loop: Header=BB16_9 Depth=1
	s_and_saveexec_b32 s23, s3
	s_cbranch_execz .LBB16_32
; %bb.31:                               ;   in Loop: Header=BB16_9 Depth=1
	s_add_co_i32 s24, s22, s7
	s_delay_alu instid0(SALU_CYCLE_1)
	v_mov_b32_e32 v10, s24
	global_load_b32 v10, v10, s[18:19] scale_offset scope:SCOPE_DEV
	s_wait_loadcnt 0x0
	v_cmp_ne_u32_e32 vcc_lo, 0, v10
	s_cbranch_vccz .LBB16_39
.LBB16_32:                              ;   in Loop: Header=BB16_9 Depth=1
	s_wait_xcnt 0x0
	s_or_b32 exec_lo, exec_lo, s23
	v_mov_b64_e32 v[12:13], 0
	s_wait_storecnt 0x0
	s_barrier_signal -1
	s_barrier_wait -1
	global_inv scope:SCOPE_DEV
	s_and_saveexec_b32 s24, s2
	s_cbranch_execz .LBB16_34
; %bb.33:                               ;   in Loop: Header=BB16_9 Depth=1
	s_ashr_i32 s23, s22, 31
	s_delay_alu instid0(SALU_CYCLE_1) | instskip(NEXT) | instid1(SALU_CYCLE_1)
	s_mul_u64 s[22:23], s[10:11], s[22:23]
	v_lshl_add_u64 v[10:11], s[22:23], 3, v[2:3]
	global_load_b64 v[10:11], v[10:11], off
	s_wait_loadcnt 0x0
	v_fma_f64 v[12:13], -v[8:9], v[10:11], v[4:5]
.LBB16_34:                              ;   in Loop: Header=BB16_9 Depth=1
	s_or_b32 exec_lo, exec_lo, s24
	v_mov_b64_e32 v[10:11], v[6:7]
	s_mov_b32 s25, 0
	s_branch .LBB16_17
.LBB16_35:                              ;   in Loop: Header=BB16_9 Depth=1
	v_div_scale_f64 v[10:11], null, v[8:9], v[8:9], 1.0
	v_div_scale_f64 v[18:19], vcc_lo, 1.0, v[8:9], 1.0
	s_mov_b32 s25, 2
	v_rcp_f64_e32 v[12:13], v[10:11]
	v_nop
	s_delay_alu instid0(TRANS32_DEP_1) | instskip(NEXT) | instid1(VALU_DEP_1)
	v_fma_f64 v[16:17], -v[10:11], v[12:13], 1.0
	v_fmac_f64_e32 v[12:13], v[12:13], v[16:17]
	s_delay_alu instid0(VALU_DEP_1) | instskip(NEXT) | instid1(VALU_DEP_1)
	v_fma_f64 v[16:17], -v[10:11], v[12:13], 1.0
	v_fmac_f64_e32 v[12:13], v[12:13], v[16:17]
	s_delay_alu instid0(VALU_DEP_1) | instskip(NEXT) | instid1(VALU_DEP_1)
	v_mul_f64_e32 v[16:17], v[18:19], v[12:13]
	v_fma_f64 v[10:11], -v[10:11], v[16:17], v[18:19]
	s_delay_alu instid0(VALU_DEP_1) | instskip(SKIP_1) | instid1(VALU_DEP_2)
	v_div_fmas_f64 v[10:11], v[10:11], v[12:13], v[16:17]
	v_mov_b64_e32 v[12:13], v[4:5]
	v_div_fixup_f64 v[8:9], v[10:11], v[8:9], 1.0
	s_delay_alu instid0(VALU_DEP_1)
	v_dual_cndmask_b32 v11, v7, v9, s1 :: v_dual_cndmask_b32 v10, v6, v8, s1
	s_mov_b32 s22, -1
	s_cmp_gt_i32 s25, 3
	s_mov_b32 s23, -1
	s_cbranch_scc1 .LBB16_18
.LBB16_36:                              ;   in Loop: Header=BB16_9 Depth=1
	s_cmp_eq_u32 s25, 0
	s_cselect_b32 s23, -1, 0
	s_delay_alu instid0(SALU_CYCLE_1)
	s_and_not1_b32 vcc_lo, exec_lo, s23
	s_cbranch_vccnz .LBB16_19
.LBB16_37:                              ;   in Loop: Header=BB16_9 Depth=1
	s_add_co_i32 s29, s29, 1
	s_delay_alu instid0(SALU_CYCLE_1) | instskip(SKIP_1) | instid1(SALU_CYCLE_1)
	s_cmp_ge_i32 s29, s26
	s_cselect_b32 s22, -1, 0
	s_and_not1_b32 vcc_lo, exec_lo, s22
	s_cbranch_vccz .LBB16_44
.LBB16_38:                              ;   in Loop: Header=BB16_9 Depth=1
	s_delay_alu instid0(VALU_DEP_1) | instskip(SKIP_2) | instid1(SALU_CYCLE_1)
	v_mov_b64_e32 v[4:5], v[12:13]
	v_mov_b64_e32 v[6:7], v[10:11]
	s_sub_co_i32 s22, s29, s17
	s_and_b32 s22, s22, 0xff
	s_delay_alu instid0(SALU_CYCLE_1)
	s_cmp_lg_u32 s22, 0
	s_cbranch_scc1 .LBB16_9
	s_branch .LBB16_6
.LBB16_39:                              ;   in Loop: Header=BB16_9 Depth=1
	s_ashr_i32 s25, s24, 31
	s_mov_b32 s30, 0
	s_lshl_b64 s[24:25], s[24:25], 2
	s_delay_alu instid0(SALU_CYCLE_1)
	s_add_nc_u64 s[24:25], s[18:19], s[24:25]
	s_branch .LBB16_41
.LBB16_40:                              ;   in Loop: Header=BB16_41 Depth=2
	global_load_b32 v10, v15, s[24:25] scope:SCOPE_DEV
	s_cmp_lt_u32 s30, 0xf43
	s_cselect_b32 s31, -1, 0
	s_delay_alu instid0(SALU_CYCLE_1)
	s_cmp_lg_u32 s31, 0
	s_add_co_ci_u32 s30, s30, 0
	s_wait_loadcnt 0x0
	v_cmp_ne_u32_e32 vcc_lo, 0, v10
	s_cbranch_vccnz .LBB16_32
.LBB16_41:                              ;   Parent Loop BB16_9 Depth=1
                                        ; =>  This Loop Header: Depth=2
                                        ;       Child Loop BB16_42 Depth 3
	s_cmp_eq_u32 s30, 0
	s_mov_b32 s31, s30
	s_cbranch_scc1 .LBB16_40
.LBB16_42:                              ;   Parent Loop BB16_9 Depth=1
                                        ;     Parent Loop BB16_41 Depth=2
                                        ; =>    This Inner Loop Header: Depth=3
	s_add_co_i32 s31, s31, -1
	s_sleep 1
	s_cmp_eq_u32 s31, 0
	s_cbranch_scc0 .LBB16_42
	s_branch .LBB16_40
.LBB16_43:
	v_mov_b64_e32 v[12:13], v[4:5]
.LBB16_44:
	s_and_saveexec_b32 s0, s2
	s_cbranch_execz .LBB16_46
; %bb.45:
	s_delay_alu instid0(VALU_DEP_1) | instskip(SKIP_3) | instid1(VALU_DEP_2)
	v_mul_f64_e32 v[4:5], v[10:11], v[12:13]
	s_cmp_eq_u32 s6, 0
	v_lshl_add_u64 v[2:3], s[20:21], 3, v[2:3]
	s_cselect_b32 vcc_lo, -1, 0
	v_dual_cndmask_b32 v5, v13, v5 :: v_dual_cndmask_b32 v4, v12, v4
	global_store_b64 v[2:3], v[4:5], off
.LBB16_46:
	s_wait_xcnt 0x0
	s_or_b32 exec_lo, exec_lo, s0
	global_wb scope:SCOPE_DEV
	s_wait_loadcnt 0x0
	s_wait_storecnt 0x0
	global_inv scope:SCOPE_DEV
	s_wait_loadcnt 0x0
	s_barrier_signal -1
	s_barrier_wait -1
	s_mov_b32 s0, exec_lo
	v_cmpx_eq_u32_e32 0, v0
	s_cbranch_execz .LBB16_48
; %bb.47:
	s_add_co_i32 s0, s16, s7
	s_delay_alu instid0(SALU_CYCLE_1)
	v_dual_mov_b32 v0, 1 :: v_dual_mov_b32 v1, s0
	global_store_b32 v1, v0, s[18:19] scale_offset scope:SCOPE_DEV
.LBB16_48:
	s_endpgm
	.section	.rodata,"a",@progbits
	.p2align	6, 0x0
	.amdhsa_kernel _ZN9rocsparseL5csrsmILj256ELj64ELb1EiidEEv20rocsparse_operation_T3_S2_NS_24const_host_device_scalarIT4_EEPKT2_PKS2_PKS4_PS4_lPiSA_PS2_21rocsparse_index_base_20rocsparse_fill_mode_20rocsparse_diag_type_b
		.amdhsa_group_segment_fixed_size 3072
		.amdhsa_private_segment_fixed_size 0
		.amdhsa_kernarg_size 104
		.amdhsa_user_sgpr_count 2
		.amdhsa_user_sgpr_dispatch_ptr 0
		.amdhsa_user_sgpr_queue_ptr 0
		.amdhsa_user_sgpr_kernarg_segment_ptr 1
		.amdhsa_user_sgpr_dispatch_id 0
		.amdhsa_user_sgpr_kernarg_preload_length 0
		.amdhsa_user_sgpr_kernarg_preload_offset 0
		.amdhsa_user_sgpr_private_segment_size 0
		.amdhsa_wavefront_size32 1
		.amdhsa_uses_dynamic_stack 0
		.amdhsa_enable_private_segment 0
		.amdhsa_system_sgpr_workgroup_id_x 1
		.amdhsa_system_sgpr_workgroup_id_y 0
		.amdhsa_system_sgpr_workgroup_id_z 0
		.amdhsa_system_sgpr_workgroup_info 0
		.amdhsa_system_vgpr_workitem_id 0
		.amdhsa_next_free_vgpr 20
		.amdhsa_next_free_sgpr 32
		.amdhsa_named_barrier_count 0
		.amdhsa_reserve_vcc 1
		.amdhsa_float_round_mode_32 0
		.amdhsa_float_round_mode_16_64 0
		.amdhsa_float_denorm_mode_32 3
		.amdhsa_float_denorm_mode_16_64 3
		.amdhsa_fp16_overflow 0
		.amdhsa_memory_ordered 1
		.amdhsa_forward_progress 1
		.amdhsa_inst_pref_size 14
		.amdhsa_round_robin_scheduling 0
		.amdhsa_exception_fp_ieee_invalid_op 0
		.amdhsa_exception_fp_denorm_src 0
		.amdhsa_exception_fp_ieee_div_zero 0
		.amdhsa_exception_fp_ieee_overflow 0
		.amdhsa_exception_fp_ieee_underflow 0
		.amdhsa_exception_fp_ieee_inexact 0
		.amdhsa_exception_int_div_zero 0
	.end_amdhsa_kernel
	.section	.text._ZN9rocsparseL5csrsmILj256ELj64ELb1EiidEEv20rocsparse_operation_T3_S2_NS_24const_host_device_scalarIT4_EEPKT2_PKS2_PKS4_PS4_lPiSA_PS2_21rocsparse_index_base_20rocsparse_fill_mode_20rocsparse_diag_type_b,"axG",@progbits,_ZN9rocsparseL5csrsmILj256ELj64ELb1EiidEEv20rocsparse_operation_T3_S2_NS_24const_host_device_scalarIT4_EEPKT2_PKS2_PKS4_PS4_lPiSA_PS2_21rocsparse_index_base_20rocsparse_fill_mode_20rocsparse_diag_type_b,comdat
.Lfunc_end16:
	.size	_ZN9rocsparseL5csrsmILj256ELj64ELb1EiidEEv20rocsparse_operation_T3_S2_NS_24const_host_device_scalarIT4_EEPKT2_PKS2_PKS4_PS4_lPiSA_PS2_21rocsparse_index_base_20rocsparse_fill_mode_20rocsparse_diag_type_b, .Lfunc_end16-_ZN9rocsparseL5csrsmILj256ELj64ELb1EiidEEv20rocsparse_operation_T3_S2_NS_24const_host_device_scalarIT4_EEPKT2_PKS2_PKS4_PS4_lPiSA_PS2_21rocsparse_index_base_20rocsparse_fill_mode_20rocsparse_diag_type_b
                                        ; -- End function
	.set _ZN9rocsparseL5csrsmILj256ELj64ELb1EiidEEv20rocsparse_operation_T3_S2_NS_24const_host_device_scalarIT4_EEPKT2_PKS2_PKS4_PS4_lPiSA_PS2_21rocsparse_index_base_20rocsparse_fill_mode_20rocsparse_diag_type_b.num_vgpr, 20
	.set _ZN9rocsparseL5csrsmILj256ELj64ELb1EiidEEv20rocsparse_operation_T3_S2_NS_24const_host_device_scalarIT4_EEPKT2_PKS2_PKS4_PS4_lPiSA_PS2_21rocsparse_index_base_20rocsparse_fill_mode_20rocsparse_diag_type_b.num_agpr, 0
	.set _ZN9rocsparseL5csrsmILj256ELj64ELb1EiidEEv20rocsparse_operation_T3_S2_NS_24const_host_device_scalarIT4_EEPKT2_PKS2_PKS4_PS4_lPiSA_PS2_21rocsparse_index_base_20rocsparse_fill_mode_20rocsparse_diag_type_b.numbered_sgpr, 32
	.set _ZN9rocsparseL5csrsmILj256ELj64ELb1EiidEEv20rocsparse_operation_T3_S2_NS_24const_host_device_scalarIT4_EEPKT2_PKS2_PKS4_PS4_lPiSA_PS2_21rocsparse_index_base_20rocsparse_fill_mode_20rocsparse_diag_type_b.num_named_barrier, 0
	.set _ZN9rocsparseL5csrsmILj256ELj64ELb1EiidEEv20rocsparse_operation_T3_S2_NS_24const_host_device_scalarIT4_EEPKT2_PKS2_PKS4_PS4_lPiSA_PS2_21rocsparse_index_base_20rocsparse_fill_mode_20rocsparse_diag_type_b.private_seg_size, 0
	.set _ZN9rocsparseL5csrsmILj256ELj64ELb1EiidEEv20rocsparse_operation_T3_S2_NS_24const_host_device_scalarIT4_EEPKT2_PKS2_PKS4_PS4_lPiSA_PS2_21rocsparse_index_base_20rocsparse_fill_mode_20rocsparse_diag_type_b.uses_vcc, 1
	.set _ZN9rocsparseL5csrsmILj256ELj64ELb1EiidEEv20rocsparse_operation_T3_S2_NS_24const_host_device_scalarIT4_EEPKT2_PKS2_PKS4_PS4_lPiSA_PS2_21rocsparse_index_base_20rocsparse_fill_mode_20rocsparse_diag_type_b.uses_flat_scratch, 0
	.set _ZN9rocsparseL5csrsmILj256ELj64ELb1EiidEEv20rocsparse_operation_T3_S2_NS_24const_host_device_scalarIT4_EEPKT2_PKS2_PKS4_PS4_lPiSA_PS2_21rocsparse_index_base_20rocsparse_fill_mode_20rocsparse_diag_type_b.has_dyn_sized_stack, 0
	.set _ZN9rocsparseL5csrsmILj256ELj64ELb1EiidEEv20rocsparse_operation_T3_S2_NS_24const_host_device_scalarIT4_EEPKT2_PKS2_PKS4_PS4_lPiSA_PS2_21rocsparse_index_base_20rocsparse_fill_mode_20rocsparse_diag_type_b.has_recursion, 0
	.set _ZN9rocsparseL5csrsmILj256ELj64ELb1EiidEEv20rocsparse_operation_T3_S2_NS_24const_host_device_scalarIT4_EEPKT2_PKS2_PKS4_PS4_lPiSA_PS2_21rocsparse_index_base_20rocsparse_fill_mode_20rocsparse_diag_type_b.has_indirect_call, 0
	.section	.AMDGPU.csdata,"",@progbits
; Kernel info:
; codeLenInByte = 1740
; TotalNumSgprs: 34
; NumVgprs: 20
; ScratchSize: 0
; MemoryBound: 0
; FloatMode: 240
; IeeeMode: 1
; LDSByteSize: 3072 bytes/workgroup (compile time only)
; SGPRBlocks: 0
; VGPRBlocks: 1
; NumSGPRsForWavesPerEU: 34
; NumVGPRsForWavesPerEU: 20
; NamedBarCnt: 0
; Occupancy: 16
; WaveLimiterHint : 1
; COMPUTE_PGM_RSRC2:SCRATCH_EN: 0
; COMPUTE_PGM_RSRC2:USER_SGPR: 2
; COMPUTE_PGM_RSRC2:TRAP_HANDLER: 0
; COMPUTE_PGM_RSRC2:TGID_X_EN: 1
; COMPUTE_PGM_RSRC2:TGID_Y_EN: 0
; COMPUTE_PGM_RSRC2:TGID_Z_EN: 0
; COMPUTE_PGM_RSRC2:TIDIG_COMP_CNT: 0
	.section	.text._ZN9rocsparseL5csrsmILj256ELj64ELb0EiidEEv20rocsparse_operation_T3_S2_NS_24const_host_device_scalarIT4_EEPKT2_PKS2_PKS4_PS4_lPiSA_PS2_21rocsparse_index_base_20rocsparse_fill_mode_20rocsparse_diag_type_b,"axG",@progbits,_ZN9rocsparseL5csrsmILj256ELj64ELb0EiidEEv20rocsparse_operation_T3_S2_NS_24const_host_device_scalarIT4_EEPKT2_PKS2_PKS4_PS4_lPiSA_PS2_21rocsparse_index_base_20rocsparse_fill_mode_20rocsparse_diag_type_b,comdat
	.globl	_ZN9rocsparseL5csrsmILj256ELj64ELb0EiidEEv20rocsparse_operation_T3_S2_NS_24const_host_device_scalarIT4_EEPKT2_PKS2_PKS4_PS4_lPiSA_PS2_21rocsparse_index_base_20rocsparse_fill_mode_20rocsparse_diag_type_b ; -- Begin function _ZN9rocsparseL5csrsmILj256ELj64ELb0EiidEEv20rocsparse_operation_T3_S2_NS_24const_host_device_scalarIT4_EEPKT2_PKS2_PKS4_PS4_lPiSA_PS2_21rocsparse_index_base_20rocsparse_fill_mode_20rocsparse_diag_type_b
	.p2align	8
	.type	_ZN9rocsparseL5csrsmILj256ELj64ELb0EiidEEv20rocsparse_operation_T3_S2_NS_24const_host_device_scalarIT4_EEPKT2_PKS2_PKS4_PS4_lPiSA_PS2_21rocsparse_index_base_20rocsparse_fill_mode_20rocsparse_diag_type_b,@function
_ZN9rocsparseL5csrsmILj256ELj64ELb0EiidEEv20rocsparse_operation_T3_S2_NS_24const_host_device_scalarIT4_EEPKT2_PKS2_PKS4_PS4_lPiSA_PS2_21rocsparse_index_base_20rocsparse_fill_mode_20rocsparse_diag_type_b: ; @_ZN9rocsparseL5csrsmILj256ELj64ELb0EiidEEv20rocsparse_operation_T3_S2_NS_24const_host_device_scalarIT4_EEPKT2_PKS2_PKS4_PS4_lPiSA_PS2_21rocsparse_index_base_20rocsparse_fill_mode_20rocsparse_diag_type_b
; %bb.0:
	s_clause 0x2
	s_load_b128 s[4:7], s[0:1], 0x58
	s_load_b128 s[12:15], s[0:1], 0x10
	s_load_b64 s[2:3], s[0:1], 0x48
	s_wait_kmcnt 0x0
	s_bitcmp1_b32 s7, 0
	v_mov_b64_e32 v[2:3], s[12:13]
	s_cselect_b32 s7, -1, 0
	s_delay_alu instid0(SALU_CYCLE_1)
	s_and_b32 vcc_lo, exec_lo, s7
	s_cbranch_vccnz .LBB17_2
; %bb.1:
	v_mov_b32_e32 v1, 0
	flat_load_b64 v[2:3], v1, s[12:13]
.LBB17_2:
	s_wait_xcnt 0x0
	s_load_b64 s[12:13], s[0:1], 0x4
	s_bfe_u32 s9, ttmp6, 0x4000c
	s_and_b32 s8, ttmp6, 15
	s_add_co_i32 s9, s9, 1
	s_getreg_b32 s11, hwreg(HW_REG_IB_STS2, 6, 4)
	s_mul_i32 s9, ttmp9, s9
	v_mov_b64_e32 v[4:5], 0
	s_add_co_i32 s8, s8, s9
	s_wait_kmcnt 0x0
	s_cvt_f32_u32 s7, s12
	s_sub_co_i32 s10, 0, s12
	s_delay_alu instid0(SALU_CYCLE_2) | instskip(SKIP_1) | instid1(TRANS32_DEP_1)
	v_rcp_iflag_f32_e32 v1, s7
	v_nop
	v_readfirstlane_b32 s7, v1
	s_mul_f32 s7, s7, 0x4f7ffffe
	s_delay_alu instid0(SALU_CYCLE_3) | instskip(NEXT) | instid1(SALU_CYCLE_3)
	s_cvt_u32_f32 s7, s7
	s_mul_i32 s10, s10, s7
	s_delay_alu instid0(SALU_CYCLE_1) | instskip(NEXT) | instid1(SALU_CYCLE_1)
	s_mul_hi_u32 s10, s7, s10
	s_add_co_i32 s7, s7, s10
	s_cmp_eq_u32 s11, 0
	s_cselect_b32 s8, ttmp9, s8
	s_delay_alu instid0(SALU_CYCLE_1) | instskip(NEXT) | instid1(SALU_CYCLE_1)
	s_mul_hi_u32 s7, s8, s7
	s_mul_i32 s9, s7, s12
	s_add_co_i32 s10, s7, 1
	s_sub_co_i32 s9, s8, s9
	s_delay_alu instid0(SALU_CYCLE_1)
	s_sub_co_i32 s11, s9, s12
	s_cmp_ge_u32 s9, s12
	s_cselect_b32 s7, s10, s7
	s_cselect_b32 s9, s11, s9
	s_add_co_i32 s10, s7, 1
	s_cmp_ge_u32 s9, s12
	s_cselect_b32 s20, s10, s7
	s_delay_alu instid0(SALU_CYCLE_1) | instskip(SKIP_2) | instid1(SALU_CYCLE_1)
	s_mul_i32 s7, s20, s12
	v_lshl_or_b32 v6, s20, 8, v0
	s_sub_co_i32 s8, s8, s7
	s_ashr_i32 s9, s8, 31
	s_delay_alu instid0(VALU_DEP_1) | instskip(SKIP_1) | instid1(SALU_CYCLE_1)
	v_ashrrev_i32_e32 v7, 31, v6
	s_lshl_b64 s[8:9], s[8:9], 2
	s_add_nc_u64 s[2:3], s[2:3], s[8:9]
	s_load_b128 s[8:11], s[0:1], 0x30
	s_load_b32 s16, s[2:3], 0x0
	s_wait_kmcnt 0x0
	s_ashr_i32 s17, s16, 31
	s_delay_alu instid0(SALU_CYCLE_1)
	s_lshl_b64 s[2:3], s[16:17], 2
	s_mul_u64 s[20:21], s[10:11], s[16:17]
	s_add_nc_u64 s[2:3], s[14:15], s[2:3]
	s_load_b64 s[18:19], s[0:1], 0x40
	s_load_b64 s[22:23], s[2:3], 0x0
	s_wait_xcnt 0x0
	v_cmp_gt_i32_e64 s2, s13, v6
	s_and_saveexec_b32 s3, s2
	s_cbranch_execz .LBB17_4
; %bb.3:
	v_add_nc_u64_e32 v[4:5], s[20:21], v[6:7]
	s_delay_alu instid0(VALU_DEP_1)
	v_lshl_add_u64 v[4:5], v[4:5], 3, s[8:9]
	global_load_b64 v[4:5], v[4:5], off
	s_wait_loadcnt_dscnt 0x0
	v_mul_f64_e32 v[4:5], v[2:3], v[4:5]
.LBB17_4:
	s_or_b32 exec_lo, exec_lo, s3
	v_mov_b64_e32 v[10:11], 1.0
	s_wait_loadcnt_dscnt 0x0
	v_lshl_add_u64 v[2:3], v[6:7], 3, s[8:9]
	v_cmp_eq_u32_e64 s3, 0, v0
	s_wait_kmcnt 0x0
	s_cmp_ge_i32 s22, s23
	s_cbranch_scc1 .LBB17_41
; %bb.5:
	s_clause 0x1
	s_load_b64 s[8:9], s[0:1], 0x50
	s_load_b128 s[12:15], s[0:1], 0x20
	s_sub_co_i32 s17, s22, s4
	s_sub_co_i32 s26, s23, s4
	s_cmp_lg_u32 s6, 0
	v_mov_b64_e32 v[6:7], 1.0
	v_lshl_or_b32 v1, v0, 2, 0x800
	v_dual_mov_b32 v15, 0 :: v_dual_lshlrev_b32 v14, 3, v0
	s_cselect_b32 s27, -1, 0
	s_wait_xcnt 0x0
	v_cmp_ne_u32_e64 s0, 0, v0
	s_add_co_i32 s28, s16, s4
	s_cmp_eq_u32 s6, 0
	s_mov_b32 s29, s17
	s_cselect_b32 s1, -1, 0
	s_sub_co_i32 s22, s29, s17
	s_delay_alu instid0(SALU_CYCLE_1) | instskip(NEXT) | instid1(SALU_CYCLE_1)
	s_and_b32 s22, s22, 0xff
	s_cmp_lg_u32 s22, 0
	s_cbranch_scc1 .LBB17_9
.LBB17_6:
	s_sub_co_i32 s23, s26, s29
	v_mov_b64_e32 v[8:9], -1.0
	v_cmp_gt_u32_e32 vcc_lo, s23, v0
	v_mov_b32_e32 v10, -1
	s_and_saveexec_b32 s23, vcc_lo
	s_cbranch_execz .LBB17_8
; %bb.7:
	v_add_nc_u32_e32 v10, s29, v0
	s_wait_kmcnt 0x0
	s_clause 0x1
	global_load_b32 v11, v10, s[12:13] scale_offset
	global_load_b64 v[8:9], v10, s[14:15] scale_offset
	s_wait_loadcnt 0x1
	s_wait_xcnt 0x0
	v_subrev_nc_u32_e32 v10, s4, v11
.LBB17_8:
	s_or_b32 exec_lo, exec_lo, s23
	ds_store_b32 v1, v10
	s_wait_loadcnt 0x0
	ds_store_b64 v14, v[8:9]
.LBB17_9:                               ; =>This Loop Header: Depth=1
                                        ;     Child Loop BB17_33 Depth 2
	s_lshl_b32 s23, s22, 3
	s_lshl_b32 s22, s22, 2
	s_delay_alu instid0(SALU_CYCLE_1)
	v_dual_mov_b32 v8, s23 :: v_dual_mov_b32 v10, s22
	s_wait_dscnt 0x0
	s_barrier_signal -1
	s_barrier_wait -1
	ds_load_b64 v[8:9], v8
	ds_load_b32 v10, v10 offset:2048
	s_wait_dscnt 0x1
	v_cmp_neq_f64_e32 vcc_lo, 0, v[8:9]
	s_wait_dscnt 0x0
	v_readfirstlane_b32 s22, v10
	s_cmp_lg_u32 s22, s16
	s_cselect_b32 s23, -1, 0
	s_delay_alu instid0(SALU_CYCLE_1) | instskip(NEXT) | instid1(SALU_CYCLE_1)
	s_or_b32 s23, s27, s23
	s_or_b32 vcc_lo, vcc_lo, s23
	v_cndmask_b32_e32 v9, 0x3ff00000, v9, vcc_lo
	v_cndmask_b32_e32 v8, 0, v8, vcc_lo
	s_nor_b32 s24, s0, vcc_lo
	s_delay_alu instid0(SALU_CYCLE_1)
	s_and_saveexec_b32 s23, s24
	s_cbranch_execz .LBB17_13
; %bb.10:                               ;   in Loop: Header=BB17_9 Depth=1
	v_mbcnt_lo_u32_b32 v8, exec_lo, 0
	s_mov_b32 s24, exec_lo
	s_delay_alu instid0(VALU_DEP_1)
	v_cmpx_eq_u32_e32 0, v8
	s_cbranch_execz .LBB17_12
; %bb.11:                               ;   in Loop: Header=BB17_9 Depth=1
	v_mov_b32_e32 v8, s28
	s_wait_kmcnt 0x0
	global_atomic_min_i32 v15, v8, s[8:9] scope:SCOPE_DEV
.LBB17_12:                              ;   in Loop: Header=BB17_9 Depth=1
	s_wait_xcnt 0x0
	s_or_b32 exec_lo, exec_lo, s24
	v_mov_b64_e32 v[8:9], 1.0
.LBB17_13:                              ;   in Loop: Header=BB17_9 Depth=1
	s_or_b32 exec_lo, exec_lo, s23
	s_mov_b32 s25, -1
	s_mov_b32 s23, 0
	s_cmp_lt_i32 s5, 1
	s_mov_b32 s24, 0
                                        ; implicit-def: $vgpr10_vgpr11
	s_cbranch_scc0 .LBB17_20
; %bb.14:                               ;   in Loop: Header=BB17_9 Depth=1
	s_and_b32 vcc_lo, exec_lo, s25
	s_mov_b32 s25, 4
	s_cbranch_vccnz .LBB17_25
.LBB17_15:                              ;   in Loop: Header=BB17_9 Depth=1
	v_mov_b64_e32 v[12:13], v[4:5]
	s_and_b32 vcc_lo, exec_lo, s24
	s_cbranch_vccnz .LBB17_30
.LBB17_16:                              ;   in Loop: Header=BB17_9 Depth=1
	s_and_b32 vcc_lo, exec_lo, s23
	s_cbranch_vccnz .LBB17_37
.LBB17_17:                              ;   in Loop: Header=BB17_9 Depth=1
	s_mov_b32 s22, -1
	s_cmp_gt_i32 s25, 3
	s_mov_b32 s23, -1
	s_cbranch_scc0 .LBB17_38
.LBB17_18:                              ;   in Loop: Header=BB17_9 Depth=1
	s_and_not1_b32 vcc_lo, exec_lo, s23
	s_cbranch_vccz .LBB17_39
.LBB17_19:                              ;   in Loop: Header=BB17_9 Depth=1
	s_and_not1_b32 vcc_lo, exec_lo, s22
	s_cbranch_vccnz .LBB17_40
	s_branch .LBB17_42
.LBB17_20:                              ;   in Loop: Header=BB17_9 Depth=1
	s_cmp_eq_u32 s5, 1
	s_mov_b32 s24, -1
                                        ; implicit-def: $vgpr10_vgpr11
	s_cbranch_scc0 .LBB17_24
; %bb.21:                               ;   in Loop: Header=BB17_9 Depth=1
	v_mov_b64_e32 v[10:11], v[6:7]
	s_cmp_ge_i32 s22, s16
	s_mov_b32 s24, 0
	s_cbranch_scc0 .LBB17_24
; %bb.22:                               ;   in Loop: Header=BB17_9 Depth=1
	s_cmp_eq_u32 s22, s16
	s_mov_b32 s24, -1
                                        ; implicit-def: $vgpr10_vgpr11
	s_cbranch_scc0 .LBB17_24
; %bb.23:                               ;   in Loop: Header=BB17_9 Depth=1
	v_div_scale_f64 v[10:11], null, v[8:9], v[8:9], 1.0
	v_div_scale_f64 v[18:19], vcc_lo, 1.0, v[8:9], 1.0
	s_mov_b32 s24, 0
	v_rcp_f64_e32 v[12:13], v[10:11]
	v_nop
	s_delay_alu instid0(TRANS32_DEP_1) | instskip(NEXT) | instid1(VALU_DEP_1)
	v_fma_f64 v[16:17], -v[10:11], v[12:13], 1.0
	v_fmac_f64_e32 v[12:13], v[12:13], v[16:17]
	s_delay_alu instid0(VALU_DEP_1) | instskip(NEXT) | instid1(VALU_DEP_1)
	v_fma_f64 v[16:17], -v[10:11], v[12:13], 1.0
	v_fmac_f64_e32 v[12:13], v[12:13], v[16:17]
	s_delay_alu instid0(VALU_DEP_1) | instskip(NEXT) | instid1(VALU_DEP_1)
	v_mul_f64_e32 v[16:17], v[18:19], v[12:13]
	v_fma_f64 v[10:11], -v[10:11], v[16:17], v[18:19]
	s_delay_alu instid0(VALU_DEP_1) | instskip(NEXT) | instid1(VALU_DEP_1)
	v_div_fmas_f64 v[10:11], v[10:11], v[12:13], v[16:17]
	v_div_fixup_f64 v[10:11], v[10:11], v[8:9], 1.0
	s_delay_alu instid0(VALU_DEP_1)
	v_dual_cndmask_b32 v11, v7, v11, s1 :: v_dual_cndmask_b32 v10, v6, v10, s1
.LBB17_24:                              ;   in Loop: Header=BB17_9 Depth=1
	s_mov_b32 s25, 4
	s_branch .LBB17_15
.LBB17_25:                              ;   in Loop: Header=BB17_9 Depth=1
	s_cmp_eq_u32 s5, 0
	s_cbranch_scc1 .LBB17_27
; %bb.26:                               ;   in Loop: Header=BB17_9 Depth=1
	s_mov_b32 s24, -1
	s_branch .LBB17_29
.LBB17_27:                              ;   in Loop: Header=BB17_9 Depth=1
	s_cmp_le_i32 s22, s16
	s_mov_b32 s24, 0
	s_cbranch_scc0 .LBB17_29
; %bb.28:                               ;   in Loop: Header=BB17_9 Depth=1
	s_cmp_lg_u32 s22, s16
	s_mov_b32 s23, -1
	s_cselect_b32 s24, -1, 0
.LBB17_29:                              ;   in Loop: Header=BB17_9 Depth=1
	v_mov_b64_e32 v[10:11], v[6:7]
	s_mov_b32 s25, 2
	v_mov_b64_e32 v[12:13], v[4:5]
	s_and_b32 vcc_lo, exec_lo, s24
	s_cbranch_vccz .LBB17_16
.LBB17_30:                              ;   in Loop: Header=BB17_9 Depth=1
	s_and_saveexec_b32 s23, s3
	s_cbranch_execz .LBB17_34
; %bb.31:                               ;   in Loop: Header=BB17_9 Depth=1
	s_add_co_i32 s24, s22, s7
	s_delay_alu instid0(SALU_CYCLE_1)
	v_mov_b32_e32 v10, s24
	global_load_b32 v10, v10, s[18:19] scale_offset scope:SCOPE_DEV
	s_wait_loadcnt 0x0
	v_cmp_ne_u32_e32 vcc_lo, 0, v10
	s_cbranch_vccnz .LBB17_34
; %bb.32:                               ;   in Loop: Header=BB17_9 Depth=1
	s_ashr_i32 s25, s24, 31
	s_delay_alu instid0(SALU_CYCLE_1) | instskip(NEXT) | instid1(SALU_CYCLE_1)
	s_lshl_b64 s[24:25], s[24:25], 2
	s_add_nc_u64 s[24:25], s[18:19], s[24:25]
.LBB17_33:                              ;   Parent Loop BB17_9 Depth=1
                                        ; =>  This Inner Loop Header: Depth=2
	global_load_b32 v10, v15, s[24:25] scope:SCOPE_DEV
	s_wait_loadcnt 0x0
	v_cmp_eq_u32_e32 vcc_lo, 0, v10
	s_cbranch_vccnz .LBB17_33
.LBB17_34:                              ;   in Loop: Header=BB17_9 Depth=1
	s_wait_xcnt 0x0
	s_or_b32 exec_lo, exec_lo, s23
	v_mov_b64_e32 v[12:13], 0
	s_wait_storecnt 0x0
	s_barrier_signal -1
	s_barrier_wait -1
	global_inv scope:SCOPE_DEV
	s_and_saveexec_b32 s24, s2
	s_cbranch_execz .LBB17_36
; %bb.35:                               ;   in Loop: Header=BB17_9 Depth=1
	s_ashr_i32 s23, s22, 31
	s_delay_alu instid0(SALU_CYCLE_1) | instskip(NEXT) | instid1(SALU_CYCLE_1)
	s_mul_u64 s[22:23], s[10:11], s[22:23]
	v_lshl_add_u64 v[10:11], s[22:23], 3, v[2:3]
	global_load_b64 v[10:11], v[10:11], off
	s_wait_loadcnt 0x0
	v_fma_f64 v[12:13], -v[8:9], v[10:11], v[4:5]
.LBB17_36:                              ;   in Loop: Header=BB17_9 Depth=1
	s_or_b32 exec_lo, exec_lo, s24
	v_mov_b64_e32 v[10:11], v[6:7]
	s_mov_b32 s25, 0
	s_branch .LBB17_17
.LBB17_37:                              ;   in Loop: Header=BB17_9 Depth=1
	v_div_scale_f64 v[10:11], null, v[8:9], v[8:9], 1.0
	v_div_scale_f64 v[18:19], vcc_lo, 1.0, v[8:9], 1.0
	s_mov_b32 s25, 2
	v_rcp_f64_e32 v[12:13], v[10:11]
	v_nop
	s_delay_alu instid0(TRANS32_DEP_1) | instskip(NEXT) | instid1(VALU_DEP_1)
	v_fma_f64 v[16:17], -v[10:11], v[12:13], 1.0
	v_fmac_f64_e32 v[12:13], v[12:13], v[16:17]
	s_delay_alu instid0(VALU_DEP_1) | instskip(NEXT) | instid1(VALU_DEP_1)
	v_fma_f64 v[16:17], -v[10:11], v[12:13], 1.0
	v_fmac_f64_e32 v[12:13], v[12:13], v[16:17]
	s_delay_alu instid0(VALU_DEP_1) | instskip(NEXT) | instid1(VALU_DEP_1)
	v_mul_f64_e32 v[16:17], v[18:19], v[12:13]
	v_fma_f64 v[10:11], -v[10:11], v[16:17], v[18:19]
	s_delay_alu instid0(VALU_DEP_1) | instskip(SKIP_1) | instid1(VALU_DEP_2)
	v_div_fmas_f64 v[10:11], v[10:11], v[12:13], v[16:17]
	v_mov_b64_e32 v[12:13], v[4:5]
	v_div_fixup_f64 v[8:9], v[10:11], v[8:9], 1.0
	s_delay_alu instid0(VALU_DEP_1)
	v_dual_cndmask_b32 v11, v7, v9, s1 :: v_dual_cndmask_b32 v10, v6, v8, s1
	s_mov_b32 s22, -1
	s_cmp_gt_i32 s25, 3
	s_mov_b32 s23, -1
	s_cbranch_scc1 .LBB17_18
.LBB17_38:                              ;   in Loop: Header=BB17_9 Depth=1
	s_cmp_eq_u32 s25, 0
	s_cselect_b32 s23, -1, 0
	s_delay_alu instid0(SALU_CYCLE_1)
	s_and_not1_b32 vcc_lo, exec_lo, s23
	s_cbranch_vccnz .LBB17_19
.LBB17_39:                              ;   in Loop: Header=BB17_9 Depth=1
	s_add_co_i32 s29, s29, 1
	s_delay_alu instid0(SALU_CYCLE_1) | instskip(SKIP_1) | instid1(SALU_CYCLE_1)
	s_cmp_ge_i32 s29, s26
	s_cselect_b32 s22, -1, 0
	s_and_not1_b32 vcc_lo, exec_lo, s22
	s_cbranch_vccz .LBB17_42
.LBB17_40:                              ;   in Loop: Header=BB17_9 Depth=1
	s_delay_alu instid0(VALU_DEP_1) | instskip(SKIP_2) | instid1(SALU_CYCLE_1)
	v_mov_b64_e32 v[4:5], v[12:13]
	v_mov_b64_e32 v[6:7], v[10:11]
	s_sub_co_i32 s22, s29, s17
	s_and_b32 s22, s22, 0xff
	s_delay_alu instid0(SALU_CYCLE_1)
	s_cmp_lg_u32 s22, 0
	s_cbranch_scc1 .LBB17_9
	s_branch .LBB17_6
.LBB17_41:
	v_mov_b64_e32 v[12:13], v[4:5]
.LBB17_42:
	s_and_saveexec_b32 s0, s2
	s_cbranch_execz .LBB17_44
; %bb.43:
	s_delay_alu instid0(VALU_DEP_1) | instskip(SKIP_3) | instid1(VALU_DEP_2)
	v_mul_f64_e32 v[4:5], v[10:11], v[12:13]
	s_cmp_eq_u32 s6, 0
	v_lshl_add_u64 v[2:3], s[20:21], 3, v[2:3]
	s_cselect_b32 vcc_lo, -1, 0
	v_dual_cndmask_b32 v5, v13, v5 :: v_dual_cndmask_b32 v4, v12, v4
	global_store_b64 v[2:3], v[4:5], off
.LBB17_44:
	s_wait_xcnt 0x0
	s_or_b32 exec_lo, exec_lo, s0
	global_wb scope:SCOPE_DEV
	s_wait_loadcnt 0x0
	s_wait_storecnt 0x0
	global_inv scope:SCOPE_DEV
	s_wait_loadcnt 0x0
	s_barrier_signal -1
	s_barrier_wait -1
	s_mov_b32 s0, exec_lo
	v_cmpx_eq_u32_e32 0, v0
	s_cbranch_execz .LBB17_46
; %bb.45:
	s_add_co_i32 s0, s16, s7
	s_delay_alu instid0(SALU_CYCLE_1)
	v_dual_mov_b32 v0, 1 :: v_dual_mov_b32 v1, s0
	global_store_b32 v1, v0, s[18:19] scale_offset scope:SCOPE_DEV
.LBB17_46:
	s_endpgm
	.section	.rodata,"a",@progbits
	.p2align	6, 0x0
	.amdhsa_kernel _ZN9rocsparseL5csrsmILj256ELj64ELb0EiidEEv20rocsparse_operation_T3_S2_NS_24const_host_device_scalarIT4_EEPKT2_PKS2_PKS4_PS4_lPiSA_PS2_21rocsparse_index_base_20rocsparse_fill_mode_20rocsparse_diag_type_b
		.amdhsa_group_segment_fixed_size 3072
		.amdhsa_private_segment_fixed_size 0
		.amdhsa_kernarg_size 104
		.amdhsa_user_sgpr_count 2
		.amdhsa_user_sgpr_dispatch_ptr 0
		.amdhsa_user_sgpr_queue_ptr 0
		.amdhsa_user_sgpr_kernarg_segment_ptr 1
		.amdhsa_user_sgpr_dispatch_id 0
		.amdhsa_user_sgpr_kernarg_preload_length 0
		.amdhsa_user_sgpr_kernarg_preload_offset 0
		.amdhsa_user_sgpr_private_segment_size 0
		.amdhsa_wavefront_size32 1
		.amdhsa_uses_dynamic_stack 0
		.amdhsa_enable_private_segment 0
		.amdhsa_system_sgpr_workgroup_id_x 1
		.amdhsa_system_sgpr_workgroup_id_y 0
		.amdhsa_system_sgpr_workgroup_id_z 0
		.amdhsa_system_sgpr_workgroup_info 0
		.amdhsa_system_vgpr_workitem_id 0
		.amdhsa_next_free_vgpr 20
		.amdhsa_next_free_sgpr 30
		.amdhsa_named_barrier_count 0
		.amdhsa_reserve_vcc 1
		.amdhsa_float_round_mode_32 0
		.amdhsa_float_round_mode_16_64 0
		.amdhsa_float_denorm_mode_32 3
		.amdhsa_float_denorm_mode_16_64 3
		.amdhsa_fp16_overflow 0
		.amdhsa_memory_ordered 1
		.amdhsa_forward_progress 1
		.amdhsa_inst_pref_size 14
		.amdhsa_round_robin_scheduling 0
		.amdhsa_exception_fp_ieee_invalid_op 0
		.amdhsa_exception_fp_denorm_src 0
		.amdhsa_exception_fp_ieee_div_zero 0
		.amdhsa_exception_fp_ieee_overflow 0
		.amdhsa_exception_fp_ieee_underflow 0
		.amdhsa_exception_fp_ieee_inexact 0
		.amdhsa_exception_int_div_zero 0
	.end_amdhsa_kernel
	.section	.text._ZN9rocsparseL5csrsmILj256ELj64ELb0EiidEEv20rocsparse_operation_T3_S2_NS_24const_host_device_scalarIT4_EEPKT2_PKS2_PKS4_PS4_lPiSA_PS2_21rocsparse_index_base_20rocsparse_fill_mode_20rocsparse_diag_type_b,"axG",@progbits,_ZN9rocsparseL5csrsmILj256ELj64ELb0EiidEEv20rocsparse_operation_T3_S2_NS_24const_host_device_scalarIT4_EEPKT2_PKS2_PKS4_PS4_lPiSA_PS2_21rocsparse_index_base_20rocsparse_fill_mode_20rocsparse_diag_type_b,comdat
.Lfunc_end17:
	.size	_ZN9rocsparseL5csrsmILj256ELj64ELb0EiidEEv20rocsparse_operation_T3_S2_NS_24const_host_device_scalarIT4_EEPKT2_PKS2_PKS4_PS4_lPiSA_PS2_21rocsparse_index_base_20rocsparse_fill_mode_20rocsparse_diag_type_b, .Lfunc_end17-_ZN9rocsparseL5csrsmILj256ELj64ELb0EiidEEv20rocsparse_operation_T3_S2_NS_24const_host_device_scalarIT4_EEPKT2_PKS2_PKS4_PS4_lPiSA_PS2_21rocsparse_index_base_20rocsparse_fill_mode_20rocsparse_diag_type_b
                                        ; -- End function
	.set _ZN9rocsparseL5csrsmILj256ELj64ELb0EiidEEv20rocsparse_operation_T3_S2_NS_24const_host_device_scalarIT4_EEPKT2_PKS2_PKS4_PS4_lPiSA_PS2_21rocsparse_index_base_20rocsparse_fill_mode_20rocsparse_diag_type_b.num_vgpr, 20
	.set _ZN9rocsparseL5csrsmILj256ELj64ELb0EiidEEv20rocsparse_operation_T3_S2_NS_24const_host_device_scalarIT4_EEPKT2_PKS2_PKS4_PS4_lPiSA_PS2_21rocsparse_index_base_20rocsparse_fill_mode_20rocsparse_diag_type_b.num_agpr, 0
	.set _ZN9rocsparseL5csrsmILj256ELj64ELb0EiidEEv20rocsparse_operation_T3_S2_NS_24const_host_device_scalarIT4_EEPKT2_PKS2_PKS4_PS4_lPiSA_PS2_21rocsparse_index_base_20rocsparse_fill_mode_20rocsparse_diag_type_b.numbered_sgpr, 30
	.set _ZN9rocsparseL5csrsmILj256ELj64ELb0EiidEEv20rocsparse_operation_T3_S2_NS_24const_host_device_scalarIT4_EEPKT2_PKS2_PKS4_PS4_lPiSA_PS2_21rocsparse_index_base_20rocsparse_fill_mode_20rocsparse_diag_type_b.num_named_barrier, 0
	.set _ZN9rocsparseL5csrsmILj256ELj64ELb0EiidEEv20rocsparse_operation_T3_S2_NS_24const_host_device_scalarIT4_EEPKT2_PKS2_PKS4_PS4_lPiSA_PS2_21rocsparse_index_base_20rocsparse_fill_mode_20rocsparse_diag_type_b.private_seg_size, 0
	.set _ZN9rocsparseL5csrsmILj256ELj64ELb0EiidEEv20rocsparse_operation_T3_S2_NS_24const_host_device_scalarIT4_EEPKT2_PKS2_PKS4_PS4_lPiSA_PS2_21rocsparse_index_base_20rocsparse_fill_mode_20rocsparse_diag_type_b.uses_vcc, 1
	.set _ZN9rocsparseL5csrsmILj256ELj64ELb0EiidEEv20rocsparse_operation_T3_S2_NS_24const_host_device_scalarIT4_EEPKT2_PKS2_PKS4_PS4_lPiSA_PS2_21rocsparse_index_base_20rocsparse_fill_mode_20rocsparse_diag_type_b.uses_flat_scratch, 0
	.set _ZN9rocsparseL5csrsmILj256ELj64ELb0EiidEEv20rocsparse_operation_T3_S2_NS_24const_host_device_scalarIT4_EEPKT2_PKS2_PKS4_PS4_lPiSA_PS2_21rocsparse_index_base_20rocsparse_fill_mode_20rocsparse_diag_type_b.has_dyn_sized_stack, 0
	.set _ZN9rocsparseL5csrsmILj256ELj64ELb0EiidEEv20rocsparse_operation_T3_S2_NS_24const_host_device_scalarIT4_EEPKT2_PKS2_PKS4_PS4_lPiSA_PS2_21rocsparse_index_base_20rocsparse_fill_mode_20rocsparse_diag_type_b.has_recursion, 0
	.set _ZN9rocsparseL5csrsmILj256ELj64ELb0EiidEEv20rocsparse_operation_T3_S2_NS_24const_host_device_scalarIT4_EEPKT2_PKS2_PKS4_PS4_lPiSA_PS2_21rocsparse_index_base_20rocsparse_fill_mode_20rocsparse_diag_type_b.has_indirect_call, 0
	.section	.AMDGPU.csdata,"",@progbits
; Kernel info:
; codeLenInByte = 1676
; TotalNumSgprs: 32
; NumVgprs: 20
; ScratchSize: 0
; MemoryBound: 0
; FloatMode: 240
; IeeeMode: 1
; LDSByteSize: 3072 bytes/workgroup (compile time only)
; SGPRBlocks: 0
; VGPRBlocks: 1
; NumSGPRsForWavesPerEU: 32
; NumVGPRsForWavesPerEU: 20
; NamedBarCnt: 0
; Occupancy: 16
; WaveLimiterHint : 1
; COMPUTE_PGM_RSRC2:SCRATCH_EN: 0
; COMPUTE_PGM_RSRC2:USER_SGPR: 2
; COMPUTE_PGM_RSRC2:TRAP_HANDLER: 0
; COMPUTE_PGM_RSRC2:TGID_X_EN: 1
; COMPUTE_PGM_RSRC2:TGID_Y_EN: 0
; COMPUTE_PGM_RSRC2:TGID_Z_EN: 0
; COMPUTE_PGM_RSRC2:TIDIG_COMP_CNT: 0
	.section	.text._ZN9rocsparseL5csrsmILj512ELj64ELb1EiidEEv20rocsparse_operation_T3_S2_NS_24const_host_device_scalarIT4_EEPKT2_PKS2_PKS4_PS4_lPiSA_PS2_21rocsparse_index_base_20rocsparse_fill_mode_20rocsparse_diag_type_b,"axG",@progbits,_ZN9rocsparseL5csrsmILj512ELj64ELb1EiidEEv20rocsparse_operation_T3_S2_NS_24const_host_device_scalarIT4_EEPKT2_PKS2_PKS4_PS4_lPiSA_PS2_21rocsparse_index_base_20rocsparse_fill_mode_20rocsparse_diag_type_b,comdat
	.globl	_ZN9rocsparseL5csrsmILj512ELj64ELb1EiidEEv20rocsparse_operation_T3_S2_NS_24const_host_device_scalarIT4_EEPKT2_PKS2_PKS4_PS4_lPiSA_PS2_21rocsparse_index_base_20rocsparse_fill_mode_20rocsparse_diag_type_b ; -- Begin function _ZN9rocsparseL5csrsmILj512ELj64ELb1EiidEEv20rocsparse_operation_T3_S2_NS_24const_host_device_scalarIT4_EEPKT2_PKS2_PKS4_PS4_lPiSA_PS2_21rocsparse_index_base_20rocsparse_fill_mode_20rocsparse_diag_type_b
	.p2align	8
	.type	_ZN9rocsparseL5csrsmILj512ELj64ELb1EiidEEv20rocsparse_operation_T3_S2_NS_24const_host_device_scalarIT4_EEPKT2_PKS2_PKS4_PS4_lPiSA_PS2_21rocsparse_index_base_20rocsparse_fill_mode_20rocsparse_diag_type_b,@function
_ZN9rocsparseL5csrsmILj512ELj64ELb1EiidEEv20rocsparse_operation_T3_S2_NS_24const_host_device_scalarIT4_EEPKT2_PKS2_PKS4_PS4_lPiSA_PS2_21rocsparse_index_base_20rocsparse_fill_mode_20rocsparse_diag_type_b: ; @_ZN9rocsparseL5csrsmILj512ELj64ELb1EiidEEv20rocsparse_operation_T3_S2_NS_24const_host_device_scalarIT4_EEPKT2_PKS2_PKS4_PS4_lPiSA_PS2_21rocsparse_index_base_20rocsparse_fill_mode_20rocsparse_diag_type_b
; %bb.0:
	s_clause 0x2
	s_load_b128 s[4:7], s[0:1], 0x58
	s_load_b128 s[12:15], s[0:1], 0x10
	s_load_b64 s[2:3], s[0:1], 0x48
	s_wait_kmcnt 0x0
	s_bitcmp1_b32 s7, 0
	v_mov_b64_e32 v[2:3], s[12:13]
	s_cselect_b32 s7, -1, 0
	s_delay_alu instid0(SALU_CYCLE_1)
	s_and_b32 vcc_lo, exec_lo, s7
	s_cbranch_vccnz .LBB18_2
; %bb.1:
	v_mov_b32_e32 v1, 0
	flat_load_b64 v[2:3], v1, s[12:13]
.LBB18_2:
	s_wait_xcnt 0x0
	s_load_b64 s[12:13], s[0:1], 0x4
	s_bfe_u32 s9, ttmp6, 0x4000c
	s_and_b32 s8, ttmp6, 15
	s_add_co_i32 s9, s9, 1
	s_getreg_b32 s11, hwreg(HW_REG_IB_STS2, 6, 4)
	s_mul_i32 s9, ttmp9, s9
	v_mov_b64_e32 v[4:5], 0
	s_add_co_i32 s8, s8, s9
	s_wait_kmcnt 0x0
	s_cvt_f32_u32 s7, s12
	s_sub_co_i32 s10, 0, s12
	s_delay_alu instid0(SALU_CYCLE_2) | instskip(SKIP_1) | instid1(TRANS32_DEP_1)
	v_rcp_iflag_f32_e32 v1, s7
	v_nop
	v_readfirstlane_b32 s7, v1
	s_mul_f32 s7, s7, 0x4f7ffffe
	s_delay_alu instid0(SALU_CYCLE_3) | instskip(NEXT) | instid1(SALU_CYCLE_3)
	s_cvt_u32_f32 s7, s7
	s_mul_i32 s10, s10, s7
	s_delay_alu instid0(SALU_CYCLE_1) | instskip(NEXT) | instid1(SALU_CYCLE_1)
	s_mul_hi_u32 s10, s7, s10
	s_add_co_i32 s7, s7, s10
	s_cmp_eq_u32 s11, 0
	s_cselect_b32 s8, ttmp9, s8
	s_delay_alu instid0(SALU_CYCLE_1) | instskip(NEXT) | instid1(SALU_CYCLE_1)
	s_mul_hi_u32 s7, s8, s7
	s_mul_i32 s9, s7, s12
	s_add_co_i32 s10, s7, 1
	s_sub_co_i32 s9, s8, s9
	s_delay_alu instid0(SALU_CYCLE_1)
	s_sub_co_i32 s11, s9, s12
	s_cmp_ge_u32 s9, s12
	s_cselect_b32 s7, s10, s7
	s_cselect_b32 s9, s11, s9
	s_add_co_i32 s10, s7, 1
	s_cmp_ge_u32 s9, s12
	s_cselect_b32 s20, s10, s7
	s_delay_alu instid0(SALU_CYCLE_1) | instskip(SKIP_2) | instid1(SALU_CYCLE_1)
	s_mul_i32 s7, s20, s12
	v_lshl_or_b32 v6, s20, 9, v0
	s_sub_co_i32 s8, s8, s7
	s_ashr_i32 s9, s8, 31
	s_delay_alu instid0(VALU_DEP_1) | instskip(SKIP_1) | instid1(SALU_CYCLE_1)
	v_ashrrev_i32_e32 v7, 31, v6
	s_lshl_b64 s[8:9], s[8:9], 2
	s_add_nc_u64 s[2:3], s[2:3], s[8:9]
	s_load_b128 s[8:11], s[0:1], 0x30
	s_load_b32 s16, s[2:3], 0x0
	s_wait_kmcnt 0x0
	s_ashr_i32 s17, s16, 31
	s_delay_alu instid0(SALU_CYCLE_1)
	s_lshl_b64 s[2:3], s[16:17], 2
	s_mul_u64 s[20:21], s[10:11], s[16:17]
	s_add_nc_u64 s[2:3], s[14:15], s[2:3]
	s_load_b64 s[18:19], s[0:1], 0x40
	s_load_b64 s[22:23], s[2:3], 0x0
	s_wait_xcnt 0x0
	v_cmp_gt_i32_e64 s2, s13, v6
	s_and_saveexec_b32 s3, s2
	s_cbranch_execz .LBB18_4
; %bb.3:
	v_add_nc_u64_e32 v[4:5], s[20:21], v[6:7]
	s_delay_alu instid0(VALU_DEP_1)
	v_lshl_add_u64 v[4:5], v[4:5], 3, s[8:9]
	global_load_b64 v[4:5], v[4:5], off
	s_wait_loadcnt_dscnt 0x0
	v_mul_f64_e32 v[4:5], v[2:3], v[4:5]
.LBB18_4:
	s_or_b32 exec_lo, exec_lo, s3
	v_mov_b64_e32 v[10:11], 1.0
	s_wait_loadcnt_dscnt 0x0
	v_lshl_add_u64 v[2:3], v[6:7], 3, s[8:9]
	v_cmp_eq_u32_e64 s3, 0, v0
	s_wait_kmcnt 0x0
	s_cmp_ge_i32 s22, s23
	s_cbranch_scc1 .LBB18_43
; %bb.5:
	s_clause 0x1
	s_load_b64 s[8:9], s[0:1], 0x50
	s_load_b128 s[12:15], s[0:1], 0x20
	s_sub_co_i32 s17, s22, s4
	s_sub_co_i32 s26, s23, s4
	s_cmp_lg_u32 s6, 0
	v_mov_b64_e32 v[6:7], 1.0
	v_lshl_or_b32 v1, v0, 2, 0x1000
	v_dual_mov_b32 v15, 0 :: v_dual_lshlrev_b32 v14, 3, v0
	s_cselect_b32 s27, -1, 0
	s_wait_xcnt 0x0
	v_cmp_ne_u32_e64 s0, 0, v0
	s_add_co_i32 s28, s16, s4
	s_cmp_eq_u32 s6, 0
	s_mov_b32 s29, s17
	s_cselect_b32 s1, -1, 0
	s_sub_co_i32 s22, s29, s17
	s_delay_alu instid0(SALU_CYCLE_1) | instskip(NEXT) | instid1(SALU_CYCLE_1)
	s_and_b32 s22, s22, 0x1ff
	s_cmp_lg_u32 s22, 0
	s_cbranch_scc1 .LBB18_9
.LBB18_6:
	s_sub_co_i32 s23, s26, s29
	v_mov_b64_e32 v[8:9], -1.0
	v_cmp_gt_u32_e32 vcc_lo, s23, v0
	v_mov_b32_e32 v10, -1
	s_and_saveexec_b32 s23, vcc_lo
	s_cbranch_execz .LBB18_8
; %bb.7:
	v_add_nc_u32_e32 v10, s29, v0
	s_wait_kmcnt 0x0
	s_clause 0x1
	global_load_b32 v11, v10, s[12:13] scale_offset
	global_load_b64 v[8:9], v10, s[14:15] scale_offset
	s_wait_loadcnt 0x1
	s_wait_xcnt 0x0
	v_subrev_nc_u32_e32 v10, s4, v11
.LBB18_8:
	s_or_b32 exec_lo, exec_lo, s23
	ds_store_b32 v1, v10
	s_wait_loadcnt 0x0
	ds_store_b64 v14, v[8:9]
.LBB18_9:                               ; =>This Loop Header: Depth=1
                                        ;     Child Loop BB18_41 Depth 2
                                        ;       Child Loop BB18_42 Depth 3
	s_lshl_b32 s23, s22, 3
	s_lshl_b32 s22, s22, 2
	s_delay_alu instid0(SALU_CYCLE_1)
	v_dual_mov_b32 v8, s23 :: v_dual_mov_b32 v10, s22
	s_wait_dscnt 0x0
	s_barrier_signal -1
	s_barrier_wait -1
	ds_load_b64 v[8:9], v8
	ds_load_b32 v10, v10 offset:4096
	s_wait_dscnt 0x1
	v_cmp_neq_f64_e32 vcc_lo, 0, v[8:9]
	s_wait_dscnt 0x0
	v_readfirstlane_b32 s22, v10
	s_cmp_lg_u32 s22, s16
	s_cselect_b32 s23, -1, 0
	s_delay_alu instid0(SALU_CYCLE_1) | instskip(NEXT) | instid1(SALU_CYCLE_1)
	s_or_b32 s23, s27, s23
	s_or_b32 vcc_lo, vcc_lo, s23
	v_cndmask_b32_e32 v9, 0x3ff00000, v9, vcc_lo
	v_cndmask_b32_e32 v8, 0, v8, vcc_lo
	s_nor_b32 s24, s0, vcc_lo
	s_delay_alu instid0(SALU_CYCLE_1)
	s_and_saveexec_b32 s23, s24
	s_cbranch_execz .LBB18_13
; %bb.10:                               ;   in Loop: Header=BB18_9 Depth=1
	v_mbcnt_lo_u32_b32 v8, exec_lo, 0
	s_mov_b32 s24, exec_lo
	s_delay_alu instid0(VALU_DEP_1)
	v_cmpx_eq_u32_e32 0, v8
	s_cbranch_execz .LBB18_12
; %bb.11:                               ;   in Loop: Header=BB18_9 Depth=1
	v_mov_b32_e32 v8, s28
	s_wait_kmcnt 0x0
	global_atomic_min_i32 v15, v8, s[8:9] scope:SCOPE_DEV
.LBB18_12:                              ;   in Loop: Header=BB18_9 Depth=1
	s_wait_xcnt 0x0
	s_or_b32 exec_lo, exec_lo, s24
	v_mov_b64_e32 v[8:9], 1.0
.LBB18_13:                              ;   in Loop: Header=BB18_9 Depth=1
	s_or_b32 exec_lo, exec_lo, s23
	s_mov_b32 s25, -1
	s_mov_b32 s23, 0
	s_cmp_lt_i32 s5, 1
	s_mov_b32 s24, 0
                                        ; implicit-def: $vgpr10_vgpr11
	s_cbranch_scc0 .LBB18_20
; %bb.14:                               ;   in Loop: Header=BB18_9 Depth=1
	s_and_b32 vcc_lo, exec_lo, s25
	s_mov_b32 s25, 4
	s_cbranch_vccnz .LBB18_25
.LBB18_15:                              ;   in Loop: Header=BB18_9 Depth=1
	v_mov_b64_e32 v[12:13], v[4:5]
	s_and_b32 vcc_lo, exec_lo, s24
	s_cbranch_vccnz .LBB18_30
.LBB18_16:                              ;   in Loop: Header=BB18_9 Depth=1
	s_and_b32 vcc_lo, exec_lo, s23
	s_cbranch_vccnz .LBB18_35
.LBB18_17:                              ;   in Loop: Header=BB18_9 Depth=1
	s_mov_b32 s22, -1
	s_cmp_gt_i32 s25, 3
	s_mov_b32 s23, -1
	s_cbranch_scc0 .LBB18_36
.LBB18_18:                              ;   in Loop: Header=BB18_9 Depth=1
	s_and_not1_b32 vcc_lo, exec_lo, s23
	s_cbranch_vccz .LBB18_37
.LBB18_19:                              ;   in Loop: Header=BB18_9 Depth=1
	s_and_not1_b32 vcc_lo, exec_lo, s22
	s_cbranch_vccnz .LBB18_38
	s_branch .LBB18_44
.LBB18_20:                              ;   in Loop: Header=BB18_9 Depth=1
	s_cmp_eq_u32 s5, 1
	s_mov_b32 s24, -1
                                        ; implicit-def: $vgpr10_vgpr11
	s_cbranch_scc0 .LBB18_24
; %bb.21:                               ;   in Loop: Header=BB18_9 Depth=1
	v_mov_b64_e32 v[10:11], v[6:7]
	s_cmp_ge_i32 s22, s16
	s_mov_b32 s24, 0
	s_cbranch_scc0 .LBB18_24
; %bb.22:                               ;   in Loop: Header=BB18_9 Depth=1
	s_cmp_eq_u32 s22, s16
	s_mov_b32 s24, -1
                                        ; implicit-def: $vgpr10_vgpr11
	s_cbranch_scc0 .LBB18_24
; %bb.23:                               ;   in Loop: Header=BB18_9 Depth=1
	v_div_scale_f64 v[10:11], null, v[8:9], v[8:9], 1.0
	v_div_scale_f64 v[18:19], vcc_lo, 1.0, v[8:9], 1.0
	s_mov_b32 s24, 0
	v_rcp_f64_e32 v[12:13], v[10:11]
	v_nop
	s_delay_alu instid0(TRANS32_DEP_1) | instskip(NEXT) | instid1(VALU_DEP_1)
	v_fma_f64 v[16:17], -v[10:11], v[12:13], 1.0
	v_fmac_f64_e32 v[12:13], v[12:13], v[16:17]
	s_delay_alu instid0(VALU_DEP_1) | instskip(NEXT) | instid1(VALU_DEP_1)
	v_fma_f64 v[16:17], -v[10:11], v[12:13], 1.0
	v_fmac_f64_e32 v[12:13], v[12:13], v[16:17]
	s_delay_alu instid0(VALU_DEP_1) | instskip(NEXT) | instid1(VALU_DEP_1)
	v_mul_f64_e32 v[16:17], v[18:19], v[12:13]
	v_fma_f64 v[10:11], -v[10:11], v[16:17], v[18:19]
	s_delay_alu instid0(VALU_DEP_1) | instskip(NEXT) | instid1(VALU_DEP_1)
	v_div_fmas_f64 v[10:11], v[10:11], v[12:13], v[16:17]
	v_div_fixup_f64 v[10:11], v[10:11], v[8:9], 1.0
	s_delay_alu instid0(VALU_DEP_1)
	v_dual_cndmask_b32 v11, v7, v11, s1 :: v_dual_cndmask_b32 v10, v6, v10, s1
.LBB18_24:                              ;   in Loop: Header=BB18_9 Depth=1
	s_mov_b32 s25, 4
	s_branch .LBB18_15
.LBB18_25:                              ;   in Loop: Header=BB18_9 Depth=1
	s_cmp_eq_u32 s5, 0
	s_cbranch_scc1 .LBB18_27
; %bb.26:                               ;   in Loop: Header=BB18_9 Depth=1
	s_mov_b32 s24, -1
	s_branch .LBB18_29
.LBB18_27:                              ;   in Loop: Header=BB18_9 Depth=1
	s_cmp_le_i32 s22, s16
	s_mov_b32 s24, 0
	s_cbranch_scc0 .LBB18_29
; %bb.28:                               ;   in Loop: Header=BB18_9 Depth=1
	s_cmp_lg_u32 s22, s16
	s_mov_b32 s23, -1
	s_cselect_b32 s24, -1, 0
.LBB18_29:                              ;   in Loop: Header=BB18_9 Depth=1
	v_mov_b64_e32 v[10:11], v[6:7]
	s_mov_b32 s25, 2
	v_mov_b64_e32 v[12:13], v[4:5]
	s_and_b32 vcc_lo, exec_lo, s24
	s_cbranch_vccz .LBB18_16
.LBB18_30:                              ;   in Loop: Header=BB18_9 Depth=1
	s_and_saveexec_b32 s23, s3
	s_cbranch_execz .LBB18_32
; %bb.31:                               ;   in Loop: Header=BB18_9 Depth=1
	s_add_co_i32 s24, s22, s7
	s_delay_alu instid0(SALU_CYCLE_1)
	v_mov_b32_e32 v10, s24
	global_load_b32 v10, v10, s[18:19] scale_offset scope:SCOPE_DEV
	s_wait_loadcnt 0x0
	v_cmp_ne_u32_e32 vcc_lo, 0, v10
	s_cbranch_vccz .LBB18_39
.LBB18_32:                              ;   in Loop: Header=BB18_9 Depth=1
	s_wait_xcnt 0x0
	s_or_b32 exec_lo, exec_lo, s23
	v_mov_b64_e32 v[12:13], 0
	s_wait_storecnt 0x0
	s_barrier_signal -1
	s_barrier_wait -1
	global_inv scope:SCOPE_DEV
	s_and_saveexec_b32 s24, s2
	s_cbranch_execz .LBB18_34
; %bb.33:                               ;   in Loop: Header=BB18_9 Depth=1
	s_ashr_i32 s23, s22, 31
	s_delay_alu instid0(SALU_CYCLE_1) | instskip(NEXT) | instid1(SALU_CYCLE_1)
	s_mul_u64 s[22:23], s[10:11], s[22:23]
	v_lshl_add_u64 v[10:11], s[22:23], 3, v[2:3]
	global_load_b64 v[10:11], v[10:11], off
	s_wait_loadcnt 0x0
	v_fma_f64 v[12:13], -v[8:9], v[10:11], v[4:5]
.LBB18_34:                              ;   in Loop: Header=BB18_9 Depth=1
	s_or_b32 exec_lo, exec_lo, s24
	v_mov_b64_e32 v[10:11], v[6:7]
	s_mov_b32 s25, 0
	s_branch .LBB18_17
.LBB18_35:                              ;   in Loop: Header=BB18_9 Depth=1
	v_div_scale_f64 v[10:11], null, v[8:9], v[8:9], 1.0
	v_div_scale_f64 v[18:19], vcc_lo, 1.0, v[8:9], 1.0
	s_mov_b32 s25, 2
	v_rcp_f64_e32 v[12:13], v[10:11]
	v_nop
	s_delay_alu instid0(TRANS32_DEP_1) | instskip(NEXT) | instid1(VALU_DEP_1)
	v_fma_f64 v[16:17], -v[10:11], v[12:13], 1.0
	v_fmac_f64_e32 v[12:13], v[12:13], v[16:17]
	s_delay_alu instid0(VALU_DEP_1) | instskip(NEXT) | instid1(VALU_DEP_1)
	v_fma_f64 v[16:17], -v[10:11], v[12:13], 1.0
	v_fmac_f64_e32 v[12:13], v[12:13], v[16:17]
	s_delay_alu instid0(VALU_DEP_1) | instskip(NEXT) | instid1(VALU_DEP_1)
	v_mul_f64_e32 v[16:17], v[18:19], v[12:13]
	v_fma_f64 v[10:11], -v[10:11], v[16:17], v[18:19]
	s_delay_alu instid0(VALU_DEP_1) | instskip(SKIP_1) | instid1(VALU_DEP_2)
	v_div_fmas_f64 v[10:11], v[10:11], v[12:13], v[16:17]
	v_mov_b64_e32 v[12:13], v[4:5]
	v_div_fixup_f64 v[8:9], v[10:11], v[8:9], 1.0
	s_delay_alu instid0(VALU_DEP_1)
	v_dual_cndmask_b32 v11, v7, v9, s1 :: v_dual_cndmask_b32 v10, v6, v8, s1
	s_mov_b32 s22, -1
	s_cmp_gt_i32 s25, 3
	s_mov_b32 s23, -1
	s_cbranch_scc1 .LBB18_18
.LBB18_36:                              ;   in Loop: Header=BB18_9 Depth=1
	s_cmp_eq_u32 s25, 0
	s_cselect_b32 s23, -1, 0
	s_delay_alu instid0(SALU_CYCLE_1)
	s_and_not1_b32 vcc_lo, exec_lo, s23
	s_cbranch_vccnz .LBB18_19
.LBB18_37:                              ;   in Loop: Header=BB18_9 Depth=1
	s_add_co_i32 s29, s29, 1
	s_delay_alu instid0(SALU_CYCLE_1) | instskip(SKIP_1) | instid1(SALU_CYCLE_1)
	s_cmp_ge_i32 s29, s26
	s_cselect_b32 s22, -1, 0
	s_and_not1_b32 vcc_lo, exec_lo, s22
	s_cbranch_vccz .LBB18_44
.LBB18_38:                              ;   in Loop: Header=BB18_9 Depth=1
	s_delay_alu instid0(VALU_DEP_1) | instskip(SKIP_2) | instid1(SALU_CYCLE_1)
	v_mov_b64_e32 v[4:5], v[12:13]
	v_mov_b64_e32 v[6:7], v[10:11]
	s_sub_co_i32 s22, s29, s17
	s_and_b32 s22, s22, 0x1ff
	s_delay_alu instid0(SALU_CYCLE_1)
	s_cmp_lg_u32 s22, 0
	s_cbranch_scc1 .LBB18_9
	s_branch .LBB18_6
.LBB18_39:                              ;   in Loop: Header=BB18_9 Depth=1
	s_ashr_i32 s25, s24, 31
	s_mov_b32 s30, 0
	s_lshl_b64 s[24:25], s[24:25], 2
	s_delay_alu instid0(SALU_CYCLE_1)
	s_add_nc_u64 s[24:25], s[18:19], s[24:25]
	s_branch .LBB18_41
.LBB18_40:                              ;   in Loop: Header=BB18_41 Depth=2
	global_load_b32 v10, v15, s[24:25] scope:SCOPE_DEV
	s_cmp_lt_u32 s30, 0xf43
	s_cselect_b32 s31, -1, 0
	s_delay_alu instid0(SALU_CYCLE_1)
	s_cmp_lg_u32 s31, 0
	s_add_co_ci_u32 s30, s30, 0
	s_wait_loadcnt 0x0
	v_cmp_ne_u32_e32 vcc_lo, 0, v10
	s_cbranch_vccnz .LBB18_32
.LBB18_41:                              ;   Parent Loop BB18_9 Depth=1
                                        ; =>  This Loop Header: Depth=2
                                        ;       Child Loop BB18_42 Depth 3
	s_cmp_eq_u32 s30, 0
	s_mov_b32 s31, s30
	s_cbranch_scc1 .LBB18_40
.LBB18_42:                              ;   Parent Loop BB18_9 Depth=1
                                        ;     Parent Loop BB18_41 Depth=2
                                        ; =>    This Inner Loop Header: Depth=3
	s_add_co_i32 s31, s31, -1
	s_sleep 1
	s_cmp_eq_u32 s31, 0
	s_cbranch_scc0 .LBB18_42
	s_branch .LBB18_40
.LBB18_43:
	v_mov_b64_e32 v[12:13], v[4:5]
.LBB18_44:
	s_and_saveexec_b32 s0, s2
	s_cbranch_execz .LBB18_46
; %bb.45:
	s_delay_alu instid0(VALU_DEP_1) | instskip(SKIP_3) | instid1(VALU_DEP_2)
	v_mul_f64_e32 v[4:5], v[10:11], v[12:13]
	s_cmp_eq_u32 s6, 0
	v_lshl_add_u64 v[2:3], s[20:21], 3, v[2:3]
	s_cselect_b32 vcc_lo, -1, 0
	v_dual_cndmask_b32 v5, v13, v5 :: v_dual_cndmask_b32 v4, v12, v4
	global_store_b64 v[2:3], v[4:5], off
.LBB18_46:
	s_wait_xcnt 0x0
	s_or_b32 exec_lo, exec_lo, s0
	global_wb scope:SCOPE_DEV
	s_wait_loadcnt 0x0
	s_wait_storecnt 0x0
	global_inv scope:SCOPE_DEV
	s_wait_loadcnt 0x0
	s_barrier_signal -1
	s_barrier_wait -1
	s_mov_b32 s0, exec_lo
	v_cmpx_eq_u32_e32 0, v0
	s_cbranch_execz .LBB18_48
; %bb.47:
	s_add_co_i32 s0, s16, s7
	s_delay_alu instid0(SALU_CYCLE_1)
	v_dual_mov_b32 v0, 1 :: v_dual_mov_b32 v1, s0
	global_store_b32 v1, v0, s[18:19] scale_offset scope:SCOPE_DEV
.LBB18_48:
	s_endpgm
	.section	.rodata,"a",@progbits
	.p2align	6, 0x0
	.amdhsa_kernel _ZN9rocsparseL5csrsmILj512ELj64ELb1EiidEEv20rocsparse_operation_T3_S2_NS_24const_host_device_scalarIT4_EEPKT2_PKS2_PKS4_PS4_lPiSA_PS2_21rocsparse_index_base_20rocsparse_fill_mode_20rocsparse_diag_type_b
		.amdhsa_group_segment_fixed_size 6144
		.amdhsa_private_segment_fixed_size 0
		.amdhsa_kernarg_size 104
		.amdhsa_user_sgpr_count 2
		.amdhsa_user_sgpr_dispatch_ptr 0
		.amdhsa_user_sgpr_queue_ptr 0
		.amdhsa_user_sgpr_kernarg_segment_ptr 1
		.amdhsa_user_sgpr_dispatch_id 0
		.amdhsa_user_sgpr_kernarg_preload_length 0
		.amdhsa_user_sgpr_kernarg_preload_offset 0
		.amdhsa_user_sgpr_private_segment_size 0
		.amdhsa_wavefront_size32 1
		.amdhsa_uses_dynamic_stack 0
		.amdhsa_enable_private_segment 0
		.amdhsa_system_sgpr_workgroup_id_x 1
		.amdhsa_system_sgpr_workgroup_id_y 0
		.amdhsa_system_sgpr_workgroup_id_z 0
		.amdhsa_system_sgpr_workgroup_info 0
		.amdhsa_system_vgpr_workitem_id 0
		.amdhsa_next_free_vgpr 20
		.amdhsa_next_free_sgpr 32
		.amdhsa_named_barrier_count 0
		.amdhsa_reserve_vcc 1
		.amdhsa_float_round_mode_32 0
		.amdhsa_float_round_mode_16_64 0
		.amdhsa_float_denorm_mode_32 3
		.amdhsa_float_denorm_mode_16_64 3
		.amdhsa_fp16_overflow 0
		.amdhsa_memory_ordered 1
		.amdhsa_forward_progress 1
		.amdhsa_inst_pref_size 14
		.amdhsa_round_robin_scheduling 0
		.amdhsa_exception_fp_ieee_invalid_op 0
		.amdhsa_exception_fp_denorm_src 0
		.amdhsa_exception_fp_ieee_div_zero 0
		.amdhsa_exception_fp_ieee_overflow 0
		.amdhsa_exception_fp_ieee_underflow 0
		.amdhsa_exception_fp_ieee_inexact 0
		.amdhsa_exception_int_div_zero 0
	.end_amdhsa_kernel
	.section	.text._ZN9rocsparseL5csrsmILj512ELj64ELb1EiidEEv20rocsparse_operation_T3_S2_NS_24const_host_device_scalarIT4_EEPKT2_PKS2_PKS4_PS4_lPiSA_PS2_21rocsparse_index_base_20rocsparse_fill_mode_20rocsparse_diag_type_b,"axG",@progbits,_ZN9rocsparseL5csrsmILj512ELj64ELb1EiidEEv20rocsparse_operation_T3_S2_NS_24const_host_device_scalarIT4_EEPKT2_PKS2_PKS4_PS4_lPiSA_PS2_21rocsparse_index_base_20rocsparse_fill_mode_20rocsparse_diag_type_b,comdat
.Lfunc_end18:
	.size	_ZN9rocsparseL5csrsmILj512ELj64ELb1EiidEEv20rocsparse_operation_T3_S2_NS_24const_host_device_scalarIT4_EEPKT2_PKS2_PKS4_PS4_lPiSA_PS2_21rocsparse_index_base_20rocsparse_fill_mode_20rocsparse_diag_type_b, .Lfunc_end18-_ZN9rocsparseL5csrsmILj512ELj64ELb1EiidEEv20rocsparse_operation_T3_S2_NS_24const_host_device_scalarIT4_EEPKT2_PKS2_PKS4_PS4_lPiSA_PS2_21rocsparse_index_base_20rocsparse_fill_mode_20rocsparse_diag_type_b
                                        ; -- End function
	.set _ZN9rocsparseL5csrsmILj512ELj64ELb1EiidEEv20rocsparse_operation_T3_S2_NS_24const_host_device_scalarIT4_EEPKT2_PKS2_PKS4_PS4_lPiSA_PS2_21rocsparse_index_base_20rocsparse_fill_mode_20rocsparse_diag_type_b.num_vgpr, 20
	.set _ZN9rocsparseL5csrsmILj512ELj64ELb1EiidEEv20rocsparse_operation_T3_S2_NS_24const_host_device_scalarIT4_EEPKT2_PKS2_PKS4_PS4_lPiSA_PS2_21rocsparse_index_base_20rocsparse_fill_mode_20rocsparse_diag_type_b.num_agpr, 0
	.set _ZN9rocsparseL5csrsmILj512ELj64ELb1EiidEEv20rocsparse_operation_T3_S2_NS_24const_host_device_scalarIT4_EEPKT2_PKS2_PKS4_PS4_lPiSA_PS2_21rocsparse_index_base_20rocsparse_fill_mode_20rocsparse_diag_type_b.numbered_sgpr, 32
	.set _ZN9rocsparseL5csrsmILj512ELj64ELb1EiidEEv20rocsparse_operation_T3_S2_NS_24const_host_device_scalarIT4_EEPKT2_PKS2_PKS4_PS4_lPiSA_PS2_21rocsparse_index_base_20rocsparse_fill_mode_20rocsparse_diag_type_b.num_named_barrier, 0
	.set _ZN9rocsparseL5csrsmILj512ELj64ELb1EiidEEv20rocsparse_operation_T3_S2_NS_24const_host_device_scalarIT4_EEPKT2_PKS2_PKS4_PS4_lPiSA_PS2_21rocsparse_index_base_20rocsparse_fill_mode_20rocsparse_diag_type_b.private_seg_size, 0
	.set _ZN9rocsparseL5csrsmILj512ELj64ELb1EiidEEv20rocsparse_operation_T3_S2_NS_24const_host_device_scalarIT4_EEPKT2_PKS2_PKS4_PS4_lPiSA_PS2_21rocsparse_index_base_20rocsparse_fill_mode_20rocsparse_diag_type_b.uses_vcc, 1
	.set _ZN9rocsparseL5csrsmILj512ELj64ELb1EiidEEv20rocsparse_operation_T3_S2_NS_24const_host_device_scalarIT4_EEPKT2_PKS2_PKS4_PS4_lPiSA_PS2_21rocsparse_index_base_20rocsparse_fill_mode_20rocsparse_diag_type_b.uses_flat_scratch, 0
	.set _ZN9rocsparseL5csrsmILj512ELj64ELb1EiidEEv20rocsparse_operation_T3_S2_NS_24const_host_device_scalarIT4_EEPKT2_PKS2_PKS4_PS4_lPiSA_PS2_21rocsparse_index_base_20rocsparse_fill_mode_20rocsparse_diag_type_b.has_dyn_sized_stack, 0
	.set _ZN9rocsparseL5csrsmILj512ELj64ELb1EiidEEv20rocsparse_operation_T3_S2_NS_24const_host_device_scalarIT4_EEPKT2_PKS2_PKS4_PS4_lPiSA_PS2_21rocsparse_index_base_20rocsparse_fill_mode_20rocsparse_diag_type_b.has_recursion, 0
	.set _ZN9rocsparseL5csrsmILj512ELj64ELb1EiidEEv20rocsparse_operation_T3_S2_NS_24const_host_device_scalarIT4_EEPKT2_PKS2_PKS4_PS4_lPiSA_PS2_21rocsparse_index_base_20rocsparse_fill_mode_20rocsparse_diag_type_b.has_indirect_call, 0
	.section	.AMDGPU.csdata,"",@progbits
; Kernel info:
; codeLenInByte = 1740
; TotalNumSgprs: 34
; NumVgprs: 20
; ScratchSize: 0
; MemoryBound: 0
; FloatMode: 240
; IeeeMode: 1
; LDSByteSize: 6144 bytes/workgroup (compile time only)
; SGPRBlocks: 0
; VGPRBlocks: 1
; NumSGPRsForWavesPerEU: 34
; NumVGPRsForWavesPerEU: 20
; NamedBarCnt: 0
; Occupancy: 16
; WaveLimiterHint : 1
; COMPUTE_PGM_RSRC2:SCRATCH_EN: 0
; COMPUTE_PGM_RSRC2:USER_SGPR: 2
; COMPUTE_PGM_RSRC2:TRAP_HANDLER: 0
; COMPUTE_PGM_RSRC2:TGID_X_EN: 1
; COMPUTE_PGM_RSRC2:TGID_Y_EN: 0
; COMPUTE_PGM_RSRC2:TGID_Z_EN: 0
; COMPUTE_PGM_RSRC2:TIDIG_COMP_CNT: 0
	.section	.text._ZN9rocsparseL5csrsmILj512ELj64ELb0EiidEEv20rocsparse_operation_T3_S2_NS_24const_host_device_scalarIT4_EEPKT2_PKS2_PKS4_PS4_lPiSA_PS2_21rocsparse_index_base_20rocsparse_fill_mode_20rocsparse_diag_type_b,"axG",@progbits,_ZN9rocsparseL5csrsmILj512ELj64ELb0EiidEEv20rocsparse_operation_T3_S2_NS_24const_host_device_scalarIT4_EEPKT2_PKS2_PKS4_PS4_lPiSA_PS2_21rocsparse_index_base_20rocsparse_fill_mode_20rocsparse_diag_type_b,comdat
	.globl	_ZN9rocsparseL5csrsmILj512ELj64ELb0EiidEEv20rocsparse_operation_T3_S2_NS_24const_host_device_scalarIT4_EEPKT2_PKS2_PKS4_PS4_lPiSA_PS2_21rocsparse_index_base_20rocsparse_fill_mode_20rocsparse_diag_type_b ; -- Begin function _ZN9rocsparseL5csrsmILj512ELj64ELb0EiidEEv20rocsparse_operation_T3_S2_NS_24const_host_device_scalarIT4_EEPKT2_PKS2_PKS4_PS4_lPiSA_PS2_21rocsparse_index_base_20rocsparse_fill_mode_20rocsparse_diag_type_b
	.p2align	8
	.type	_ZN9rocsparseL5csrsmILj512ELj64ELb0EiidEEv20rocsparse_operation_T3_S2_NS_24const_host_device_scalarIT4_EEPKT2_PKS2_PKS4_PS4_lPiSA_PS2_21rocsparse_index_base_20rocsparse_fill_mode_20rocsparse_diag_type_b,@function
_ZN9rocsparseL5csrsmILj512ELj64ELb0EiidEEv20rocsparse_operation_T3_S2_NS_24const_host_device_scalarIT4_EEPKT2_PKS2_PKS4_PS4_lPiSA_PS2_21rocsparse_index_base_20rocsparse_fill_mode_20rocsparse_diag_type_b: ; @_ZN9rocsparseL5csrsmILj512ELj64ELb0EiidEEv20rocsparse_operation_T3_S2_NS_24const_host_device_scalarIT4_EEPKT2_PKS2_PKS4_PS4_lPiSA_PS2_21rocsparse_index_base_20rocsparse_fill_mode_20rocsparse_diag_type_b
; %bb.0:
	s_clause 0x2
	s_load_b128 s[4:7], s[0:1], 0x58
	s_load_b128 s[12:15], s[0:1], 0x10
	s_load_b64 s[2:3], s[0:1], 0x48
	s_wait_kmcnt 0x0
	s_bitcmp1_b32 s7, 0
	v_mov_b64_e32 v[2:3], s[12:13]
	s_cselect_b32 s7, -1, 0
	s_delay_alu instid0(SALU_CYCLE_1)
	s_and_b32 vcc_lo, exec_lo, s7
	s_cbranch_vccnz .LBB19_2
; %bb.1:
	v_mov_b32_e32 v1, 0
	flat_load_b64 v[2:3], v1, s[12:13]
.LBB19_2:
	s_wait_xcnt 0x0
	s_load_b64 s[12:13], s[0:1], 0x4
	s_bfe_u32 s9, ttmp6, 0x4000c
	s_and_b32 s8, ttmp6, 15
	s_add_co_i32 s9, s9, 1
	s_getreg_b32 s11, hwreg(HW_REG_IB_STS2, 6, 4)
	s_mul_i32 s9, ttmp9, s9
	v_mov_b64_e32 v[4:5], 0
	s_add_co_i32 s8, s8, s9
	s_wait_kmcnt 0x0
	s_cvt_f32_u32 s7, s12
	s_sub_co_i32 s10, 0, s12
	s_delay_alu instid0(SALU_CYCLE_2) | instskip(SKIP_1) | instid1(TRANS32_DEP_1)
	v_rcp_iflag_f32_e32 v1, s7
	v_nop
	v_readfirstlane_b32 s7, v1
	s_mul_f32 s7, s7, 0x4f7ffffe
	s_delay_alu instid0(SALU_CYCLE_3) | instskip(NEXT) | instid1(SALU_CYCLE_3)
	s_cvt_u32_f32 s7, s7
	s_mul_i32 s10, s10, s7
	s_delay_alu instid0(SALU_CYCLE_1) | instskip(NEXT) | instid1(SALU_CYCLE_1)
	s_mul_hi_u32 s10, s7, s10
	s_add_co_i32 s7, s7, s10
	s_cmp_eq_u32 s11, 0
	s_cselect_b32 s8, ttmp9, s8
	s_delay_alu instid0(SALU_CYCLE_1) | instskip(NEXT) | instid1(SALU_CYCLE_1)
	s_mul_hi_u32 s7, s8, s7
	s_mul_i32 s9, s7, s12
	s_add_co_i32 s10, s7, 1
	s_sub_co_i32 s9, s8, s9
	s_delay_alu instid0(SALU_CYCLE_1)
	s_sub_co_i32 s11, s9, s12
	s_cmp_ge_u32 s9, s12
	s_cselect_b32 s7, s10, s7
	s_cselect_b32 s9, s11, s9
	s_add_co_i32 s10, s7, 1
	s_cmp_ge_u32 s9, s12
	s_cselect_b32 s20, s10, s7
	s_delay_alu instid0(SALU_CYCLE_1) | instskip(SKIP_2) | instid1(SALU_CYCLE_1)
	s_mul_i32 s7, s20, s12
	v_lshl_or_b32 v6, s20, 9, v0
	s_sub_co_i32 s8, s8, s7
	s_ashr_i32 s9, s8, 31
	s_delay_alu instid0(VALU_DEP_1) | instskip(SKIP_1) | instid1(SALU_CYCLE_1)
	v_ashrrev_i32_e32 v7, 31, v6
	s_lshl_b64 s[8:9], s[8:9], 2
	s_add_nc_u64 s[2:3], s[2:3], s[8:9]
	s_load_b128 s[8:11], s[0:1], 0x30
	s_load_b32 s16, s[2:3], 0x0
	s_wait_kmcnt 0x0
	s_ashr_i32 s17, s16, 31
	s_delay_alu instid0(SALU_CYCLE_1)
	s_lshl_b64 s[2:3], s[16:17], 2
	s_mul_u64 s[20:21], s[10:11], s[16:17]
	s_add_nc_u64 s[2:3], s[14:15], s[2:3]
	s_load_b64 s[18:19], s[0:1], 0x40
	s_load_b64 s[22:23], s[2:3], 0x0
	s_wait_xcnt 0x0
	v_cmp_gt_i32_e64 s2, s13, v6
	s_and_saveexec_b32 s3, s2
	s_cbranch_execz .LBB19_4
; %bb.3:
	v_add_nc_u64_e32 v[4:5], s[20:21], v[6:7]
	s_delay_alu instid0(VALU_DEP_1)
	v_lshl_add_u64 v[4:5], v[4:5], 3, s[8:9]
	global_load_b64 v[4:5], v[4:5], off
	s_wait_loadcnt_dscnt 0x0
	v_mul_f64_e32 v[4:5], v[2:3], v[4:5]
.LBB19_4:
	s_or_b32 exec_lo, exec_lo, s3
	v_mov_b64_e32 v[10:11], 1.0
	s_wait_loadcnt_dscnt 0x0
	v_lshl_add_u64 v[2:3], v[6:7], 3, s[8:9]
	v_cmp_eq_u32_e64 s3, 0, v0
	s_wait_kmcnt 0x0
	s_cmp_ge_i32 s22, s23
	s_cbranch_scc1 .LBB19_41
; %bb.5:
	s_clause 0x1
	s_load_b64 s[8:9], s[0:1], 0x50
	s_load_b128 s[12:15], s[0:1], 0x20
	s_sub_co_i32 s17, s22, s4
	s_sub_co_i32 s26, s23, s4
	s_cmp_lg_u32 s6, 0
	v_mov_b64_e32 v[6:7], 1.0
	v_lshl_or_b32 v1, v0, 2, 0x1000
	v_dual_mov_b32 v15, 0 :: v_dual_lshlrev_b32 v14, 3, v0
	s_cselect_b32 s27, -1, 0
	s_wait_xcnt 0x0
	v_cmp_ne_u32_e64 s0, 0, v0
	s_add_co_i32 s28, s16, s4
	s_cmp_eq_u32 s6, 0
	s_mov_b32 s29, s17
	s_cselect_b32 s1, -1, 0
	s_sub_co_i32 s22, s29, s17
	s_delay_alu instid0(SALU_CYCLE_1) | instskip(NEXT) | instid1(SALU_CYCLE_1)
	s_and_b32 s22, s22, 0x1ff
	s_cmp_lg_u32 s22, 0
	s_cbranch_scc1 .LBB19_9
.LBB19_6:
	s_sub_co_i32 s23, s26, s29
	v_mov_b64_e32 v[8:9], -1.0
	v_cmp_gt_u32_e32 vcc_lo, s23, v0
	v_mov_b32_e32 v10, -1
	s_and_saveexec_b32 s23, vcc_lo
	s_cbranch_execz .LBB19_8
; %bb.7:
	v_add_nc_u32_e32 v10, s29, v0
	s_wait_kmcnt 0x0
	s_clause 0x1
	global_load_b32 v11, v10, s[12:13] scale_offset
	global_load_b64 v[8:9], v10, s[14:15] scale_offset
	s_wait_loadcnt 0x1
	s_wait_xcnt 0x0
	v_subrev_nc_u32_e32 v10, s4, v11
.LBB19_8:
	s_or_b32 exec_lo, exec_lo, s23
	ds_store_b32 v1, v10
	s_wait_loadcnt 0x0
	ds_store_b64 v14, v[8:9]
.LBB19_9:                               ; =>This Loop Header: Depth=1
                                        ;     Child Loop BB19_33 Depth 2
	s_lshl_b32 s23, s22, 3
	s_lshl_b32 s22, s22, 2
	s_delay_alu instid0(SALU_CYCLE_1)
	v_dual_mov_b32 v8, s23 :: v_dual_mov_b32 v10, s22
	s_wait_dscnt 0x0
	s_barrier_signal -1
	s_barrier_wait -1
	ds_load_b64 v[8:9], v8
	ds_load_b32 v10, v10 offset:4096
	s_wait_dscnt 0x1
	v_cmp_neq_f64_e32 vcc_lo, 0, v[8:9]
	s_wait_dscnt 0x0
	v_readfirstlane_b32 s22, v10
	s_cmp_lg_u32 s22, s16
	s_cselect_b32 s23, -1, 0
	s_delay_alu instid0(SALU_CYCLE_1) | instskip(NEXT) | instid1(SALU_CYCLE_1)
	s_or_b32 s23, s27, s23
	s_or_b32 vcc_lo, vcc_lo, s23
	v_cndmask_b32_e32 v9, 0x3ff00000, v9, vcc_lo
	v_cndmask_b32_e32 v8, 0, v8, vcc_lo
	s_nor_b32 s24, s0, vcc_lo
	s_delay_alu instid0(SALU_CYCLE_1)
	s_and_saveexec_b32 s23, s24
	s_cbranch_execz .LBB19_13
; %bb.10:                               ;   in Loop: Header=BB19_9 Depth=1
	v_mbcnt_lo_u32_b32 v8, exec_lo, 0
	s_mov_b32 s24, exec_lo
	s_delay_alu instid0(VALU_DEP_1)
	v_cmpx_eq_u32_e32 0, v8
	s_cbranch_execz .LBB19_12
; %bb.11:                               ;   in Loop: Header=BB19_9 Depth=1
	v_mov_b32_e32 v8, s28
	s_wait_kmcnt 0x0
	global_atomic_min_i32 v15, v8, s[8:9] scope:SCOPE_DEV
.LBB19_12:                              ;   in Loop: Header=BB19_9 Depth=1
	s_wait_xcnt 0x0
	s_or_b32 exec_lo, exec_lo, s24
	v_mov_b64_e32 v[8:9], 1.0
.LBB19_13:                              ;   in Loop: Header=BB19_9 Depth=1
	s_or_b32 exec_lo, exec_lo, s23
	s_mov_b32 s25, -1
	s_mov_b32 s23, 0
	s_cmp_lt_i32 s5, 1
	s_mov_b32 s24, 0
                                        ; implicit-def: $vgpr10_vgpr11
	s_cbranch_scc0 .LBB19_20
; %bb.14:                               ;   in Loop: Header=BB19_9 Depth=1
	s_and_b32 vcc_lo, exec_lo, s25
	s_mov_b32 s25, 4
	s_cbranch_vccnz .LBB19_25
.LBB19_15:                              ;   in Loop: Header=BB19_9 Depth=1
	v_mov_b64_e32 v[12:13], v[4:5]
	s_and_b32 vcc_lo, exec_lo, s24
	s_cbranch_vccnz .LBB19_30
.LBB19_16:                              ;   in Loop: Header=BB19_9 Depth=1
	s_and_b32 vcc_lo, exec_lo, s23
	s_cbranch_vccnz .LBB19_37
.LBB19_17:                              ;   in Loop: Header=BB19_9 Depth=1
	s_mov_b32 s22, -1
	s_cmp_gt_i32 s25, 3
	s_mov_b32 s23, -1
	s_cbranch_scc0 .LBB19_38
.LBB19_18:                              ;   in Loop: Header=BB19_9 Depth=1
	s_and_not1_b32 vcc_lo, exec_lo, s23
	s_cbranch_vccz .LBB19_39
.LBB19_19:                              ;   in Loop: Header=BB19_9 Depth=1
	s_and_not1_b32 vcc_lo, exec_lo, s22
	s_cbranch_vccnz .LBB19_40
	s_branch .LBB19_42
.LBB19_20:                              ;   in Loop: Header=BB19_9 Depth=1
	s_cmp_eq_u32 s5, 1
	s_mov_b32 s24, -1
                                        ; implicit-def: $vgpr10_vgpr11
	s_cbranch_scc0 .LBB19_24
; %bb.21:                               ;   in Loop: Header=BB19_9 Depth=1
	v_mov_b64_e32 v[10:11], v[6:7]
	s_cmp_ge_i32 s22, s16
	s_mov_b32 s24, 0
	s_cbranch_scc0 .LBB19_24
; %bb.22:                               ;   in Loop: Header=BB19_9 Depth=1
	s_cmp_eq_u32 s22, s16
	s_mov_b32 s24, -1
                                        ; implicit-def: $vgpr10_vgpr11
	s_cbranch_scc0 .LBB19_24
; %bb.23:                               ;   in Loop: Header=BB19_9 Depth=1
	v_div_scale_f64 v[10:11], null, v[8:9], v[8:9], 1.0
	v_div_scale_f64 v[18:19], vcc_lo, 1.0, v[8:9], 1.0
	s_mov_b32 s24, 0
	v_rcp_f64_e32 v[12:13], v[10:11]
	v_nop
	s_delay_alu instid0(TRANS32_DEP_1) | instskip(NEXT) | instid1(VALU_DEP_1)
	v_fma_f64 v[16:17], -v[10:11], v[12:13], 1.0
	v_fmac_f64_e32 v[12:13], v[12:13], v[16:17]
	s_delay_alu instid0(VALU_DEP_1) | instskip(NEXT) | instid1(VALU_DEP_1)
	v_fma_f64 v[16:17], -v[10:11], v[12:13], 1.0
	v_fmac_f64_e32 v[12:13], v[12:13], v[16:17]
	s_delay_alu instid0(VALU_DEP_1) | instskip(NEXT) | instid1(VALU_DEP_1)
	v_mul_f64_e32 v[16:17], v[18:19], v[12:13]
	v_fma_f64 v[10:11], -v[10:11], v[16:17], v[18:19]
	s_delay_alu instid0(VALU_DEP_1) | instskip(NEXT) | instid1(VALU_DEP_1)
	v_div_fmas_f64 v[10:11], v[10:11], v[12:13], v[16:17]
	v_div_fixup_f64 v[10:11], v[10:11], v[8:9], 1.0
	s_delay_alu instid0(VALU_DEP_1)
	v_dual_cndmask_b32 v11, v7, v11, s1 :: v_dual_cndmask_b32 v10, v6, v10, s1
.LBB19_24:                              ;   in Loop: Header=BB19_9 Depth=1
	s_mov_b32 s25, 4
	s_branch .LBB19_15
.LBB19_25:                              ;   in Loop: Header=BB19_9 Depth=1
	s_cmp_eq_u32 s5, 0
	s_cbranch_scc1 .LBB19_27
; %bb.26:                               ;   in Loop: Header=BB19_9 Depth=1
	s_mov_b32 s24, -1
	s_branch .LBB19_29
.LBB19_27:                              ;   in Loop: Header=BB19_9 Depth=1
	s_cmp_le_i32 s22, s16
	s_mov_b32 s24, 0
	s_cbranch_scc0 .LBB19_29
; %bb.28:                               ;   in Loop: Header=BB19_9 Depth=1
	s_cmp_lg_u32 s22, s16
	s_mov_b32 s23, -1
	s_cselect_b32 s24, -1, 0
.LBB19_29:                              ;   in Loop: Header=BB19_9 Depth=1
	v_mov_b64_e32 v[10:11], v[6:7]
	s_mov_b32 s25, 2
	v_mov_b64_e32 v[12:13], v[4:5]
	s_and_b32 vcc_lo, exec_lo, s24
	s_cbranch_vccz .LBB19_16
.LBB19_30:                              ;   in Loop: Header=BB19_9 Depth=1
	s_and_saveexec_b32 s23, s3
	s_cbranch_execz .LBB19_34
; %bb.31:                               ;   in Loop: Header=BB19_9 Depth=1
	s_add_co_i32 s24, s22, s7
	s_delay_alu instid0(SALU_CYCLE_1)
	v_mov_b32_e32 v10, s24
	global_load_b32 v10, v10, s[18:19] scale_offset scope:SCOPE_DEV
	s_wait_loadcnt 0x0
	v_cmp_ne_u32_e32 vcc_lo, 0, v10
	s_cbranch_vccnz .LBB19_34
; %bb.32:                               ;   in Loop: Header=BB19_9 Depth=1
	s_ashr_i32 s25, s24, 31
	s_delay_alu instid0(SALU_CYCLE_1) | instskip(NEXT) | instid1(SALU_CYCLE_1)
	s_lshl_b64 s[24:25], s[24:25], 2
	s_add_nc_u64 s[24:25], s[18:19], s[24:25]
.LBB19_33:                              ;   Parent Loop BB19_9 Depth=1
                                        ; =>  This Inner Loop Header: Depth=2
	global_load_b32 v10, v15, s[24:25] scope:SCOPE_DEV
	s_wait_loadcnt 0x0
	v_cmp_eq_u32_e32 vcc_lo, 0, v10
	s_cbranch_vccnz .LBB19_33
.LBB19_34:                              ;   in Loop: Header=BB19_9 Depth=1
	s_wait_xcnt 0x0
	s_or_b32 exec_lo, exec_lo, s23
	v_mov_b64_e32 v[12:13], 0
	s_wait_storecnt 0x0
	s_barrier_signal -1
	s_barrier_wait -1
	global_inv scope:SCOPE_DEV
	s_and_saveexec_b32 s24, s2
	s_cbranch_execz .LBB19_36
; %bb.35:                               ;   in Loop: Header=BB19_9 Depth=1
	s_ashr_i32 s23, s22, 31
	s_delay_alu instid0(SALU_CYCLE_1) | instskip(NEXT) | instid1(SALU_CYCLE_1)
	s_mul_u64 s[22:23], s[10:11], s[22:23]
	v_lshl_add_u64 v[10:11], s[22:23], 3, v[2:3]
	global_load_b64 v[10:11], v[10:11], off
	s_wait_loadcnt 0x0
	v_fma_f64 v[12:13], -v[8:9], v[10:11], v[4:5]
.LBB19_36:                              ;   in Loop: Header=BB19_9 Depth=1
	s_or_b32 exec_lo, exec_lo, s24
	v_mov_b64_e32 v[10:11], v[6:7]
	s_mov_b32 s25, 0
	s_branch .LBB19_17
.LBB19_37:                              ;   in Loop: Header=BB19_9 Depth=1
	v_div_scale_f64 v[10:11], null, v[8:9], v[8:9], 1.0
	v_div_scale_f64 v[18:19], vcc_lo, 1.0, v[8:9], 1.0
	s_mov_b32 s25, 2
	v_rcp_f64_e32 v[12:13], v[10:11]
	v_nop
	s_delay_alu instid0(TRANS32_DEP_1) | instskip(NEXT) | instid1(VALU_DEP_1)
	v_fma_f64 v[16:17], -v[10:11], v[12:13], 1.0
	v_fmac_f64_e32 v[12:13], v[12:13], v[16:17]
	s_delay_alu instid0(VALU_DEP_1) | instskip(NEXT) | instid1(VALU_DEP_1)
	v_fma_f64 v[16:17], -v[10:11], v[12:13], 1.0
	v_fmac_f64_e32 v[12:13], v[12:13], v[16:17]
	s_delay_alu instid0(VALU_DEP_1) | instskip(NEXT) | instid1(VALU_DEP_1)
	v_mul_f64_e32 v[16:17], v[18:19], v[12:13]
	v_fma_f64 v[10:11], -v[10:11], v[16:17], v[18:19]
	s_delay_alu instid0(VALU_DEP_1) | instskip(SKIP_1) | instid1(VALU_DEP_2)
	v_div_fmas_f64 v[10:11], v[10:11], v[12:13], v[16:17]
	v_mov_b64_e32 v[12:13], v[4:5]
	v_div_fixup_f64 v[8:9], v[10:11], v[8:9], 1.0
	s_delay_alu instid0(VALU_DEP_1)
	v_dual_cndmask_b32 v11, v7, v9, s1 :: v_dual_cndmask_b32 v10, v6, v8, s1
	s_mov_b32 s22, -1
	s_cmp_gt_i32 s25, 3
	s_mov_b32 s23, -1
	s_cbranch_scc1 .LBB19_18
.LBB19_38:                              ;   in Loop: Header=BB19_9 Depth=1
	s_cmp_eq_u32 s25, 0
	s_cselect_b32 s23, -1, 0
	s_delay_alu instid0(SALU_CYCLE_1)
	s_and_not1_b32 vcc_lo, exec_lo, s23
	s_cbranch_vccnz .LBB19_19
.LBB19_39:                              ;   in Loop: Header=BB19_9 Depth=1
	s_add_co_i32 s29, s29, 1
	s_delay_alu instid0(SALU_CYCLE_1) | instskip(SKIP_1) | instid1(SALU_CYCLE_1)
	s_cmp_ge_i32 s29, s26
	s_cselect_b32 s22, -1, 0
	s_and_not1_b32 vcc_lo, exec_lo, s22
	s_cbranch_vccz .LBB19_42
.LBB19_40:                              ;   in Loop: Header=BB19_9 Depth=1
	s_delay_alu instid0(VALU_DEP_1) | instskip(SKIP_2) | instid1(SALU_CYCLE_1)
	v_mov_b64_e32 v[4:5], v[12:13]
	v_mov_b64_e32 v[6:7], v[10:11]
	s_sub_co_i32 s22, s29, s17
	s_and_b32 s22, s22, 0x1ff
	s_delay_alu instid0(SALU_CYCLE_1)
	s_cmp_lg_u32 s22, 0
	s_cbranch_scc1 .LBB19_9
	s_branch .LBB19_6
.LBB19_41:
	v_mov_b64_e32 v[12:13], v[4:5]
.LBB19_42:
	s_and_saveexec_b32 s0, s2
	s_cbranch_execz .LBB19_44
; %bb.43:
	s_delay_alu instid0(VALU_DEP_1) | instskip(SKIP_3) | instid1(VALU_DEP_2)
	v_mul_f64_e32 v[4:5], v[10:11], v[12:13]
	s_cmp_eq_u32 s6, 0
	v_lshl_add_u64 v[2:3], s[20:21], 3, v[2:3]
	s_cselect_b32 vcc_lo, -1, 0
	v_dual_cndmask_b32 v5, v13, v5 :: v_dual_cndmask_b32 v4, v12, v4
	global_store_b64 v[2:3], v[4:5], off
.LBB19_44:
	s_wait_xcnt 0x0
	s_or_b32 exec_lo, exec_lo, s0
	global_wb scope:SCOPE_DEV
	s_wait_loadcnt 0x0
	s_wait_storecnt 0x0
	global_inv scope:SCOPE_DEV
	s_wait_loadcnt 0x0
	s_barrier_signal -1
	s_barrier_wait -1
	s_mov_b32 s0, exec_lo
	v_cmpx_eq_u32_e32 0, v0
	s_cbranch_execz .LBB19_46
; %bb.45:
	s_add_co_i32 s0, s16, s7
	s_delay_alu instid0(SALU_CYCLE_1)
	v_dual_mov_b32 v0, 1 :: v_dual_mov_b32 v1, s0
	global_store_b32 v1, v0, s[18:19] scale_offset scope:SCOPE_DEV
.LBB19_46:
	s_endpgm
	.section	.rodata,"a",@progbits
	.p2align	6, 0x0
	.amdhsa_kernel _ZN9rocsparseL5csrsmILj512ELj64ELb0EiidEEv20rocsparse_operation_T3_S2_NS_24const_host_device_scalarIT4_EEPKT2_PKS2_PKS4_PS4_lPiSA_PS2_21rocsparse_index_base_20rocsparse_fill_mode_20rocsparse_diag_type_b
		.amdhsa_group_segment_fixed_size 6144
		.amdhsa_private_segment_fixed_size 0
		.amdhsa_kernarg_size 104
		.amdhsa_user_sgpr_count 2
		.amdhsa_user_sgpr_dispatch_ptr 0
		.amdhsa_user_sgpr_queue_ptr 0
		.amdhsa_user_sgpr_kernarg_segment_ptr 1
		.amdhsa_user_sgpr_dispatch_id 0
		.amdhsa_user_sgpr_kernarg_preload_length 0
		.amdhsa_user_sgpr_kernarg_preload_offset 0
		.amdhsa_user_sgpr_private_segment_size 0
		.amdhsa_wavefront_size32 1
		.amdhsa_uses_dynamic_stack 0
		.amdhsa_enable_private_segment 0
		.amdhsa_system_sgpr_workgroup_id_x 1
		.amdhsa_system_sgpr_workgroup_id_y 0
		.amdhsa_system_sgpr_workgroup_id_z 0
		.amdhsa_system_sgpr_workgroup_info 0
		.amdhsa_system_vgpr_workitem_id 0
		.amdhsa_next_free_vgpr 20
		.amdhsa_next_free_sgpr 30
		.amdhsa_named_barrier_count 0
		.amdhsa_reserve_vcc 1
		.amdhsa_float_round_mode_32 0
		.amdhsa_float_round_mode_16_64 0
		.amdhsa_float_denorm_mode_32 3
		.amdhsa_float_denorm_mode_16_64 3
		.amdhsa_fp16_overflow 0
		.amdhsa_memory_ordered 1
		.amdhsa_forward_progress 1
		.amdhsa_inst_pref_size 14
		.amdhsa_round_robin_scheduling 0
		.amdhsa_exception_fp_ieee_invalid_op 0
		.amdhsa_exception_fp_denorm_src 0
		.amdhsa_exception_fp_ieee_div_zero 0
		.amdhsa_exception_fp_ieee_overflow 0
		.amdhsa_exception_fp_ieee_underflow 0
		.amdhsa_exception_fp_ieee_inexact 0
		.amdhsa_exception_int_div_zero 0
	.end_amdhsa_kernel
	.section	.text._ZN9rocsparseL5csrsmILj512ELj64ELb0EiidEEv20rocsparse_operation_T3_S2_NS_24const_host_device_scalarIT4_EEPKT2_PKS2_PKS4_PS4_lPiSA_PS2_21rocsparse_index_base_20rocsparse_fill_mode_20rocsparse_diag_type_b,"axG",@progbits,_ZN9rocsparseL5csrsmILj512ELj64ELb0EiidEEv20rocsparse_operation_T3_S2_NS_24const_host_device_scalarIT4_EEPKT2_PKS2_PKS4_PS4_lPiSA_PS2_21rocsparse_index_base_20rocsparse_fill_mode_20rocsparse_diag_type_b,comdat
.Lfunc_end19:
	.size	_ZN9rocsparseL5csrsmILj512ELj64ELb0EiidEEv20rocsparse_operation_T3_S2_NS_24const_host_device_scalarIT4_EEPKT2_PKS2_PKS4_PS4_lPiSA_PS2_21rocsparse_index_base_20rocsparse_fill_mode_20rocsparse_diag_type_b, .Lfunc_end19-_ZN9rocsparseL5csrsmILj512ELj64ELb0EiidEEv20rocsparse_operation_T3_S2_NS_24const_host_device_scalarIT4_EEPKT2_PKS2_PKS4_PS4_lPiSA_PS2_21rocsparse_index_base_20rocsparse_fill_mode_20rocsparse_diag_type_b
                                        ; -- End function
	.set _ZN9rocsparseL5csrsmILj512ELj64ELb0EiidEEv20rocsparse_operation_T3_S2_NS_24const_host_device_scalarIT4_EEPKT2_PKS2_PKS4_PS4_lPiSA_PS2_21rocsparse_index_base_20rocsparse_fill_mode_20rocsparse_diag_type_b.num_vgpr, 20
	.set _ZN9rocsparseL5csrsmILj512ELj64ELb0EiidEEv20rocsparse_operation_T3_S2_NS_24const_host_device_scalarIT4_EEPKT2_PKS2_PKS4_PS4_lPiSA_PS2_21rocsparse_index_base_20rocsparse_fill_mode_20rocsparse_diag_type_b.num_agpr, 0
	.set _ZN9rocsparseL5csrsmILj512ELj64ELb0EiidEEv20rocsparse_operation_T3_S2_NS_24const_host_device_scalarIT4_EEPKT2_PKS2_PKS4_PS4_lPiSA_PS2_21rocsparse_index_base_20rocsparse_fill_mode_20rocsparse_diag_type_b.numbered_sgpr, 30
	.set _ZN9rocsparseL5csrsmILj512ELj64ELb0EiidEEv20rocsparse_operation_T3_S2_NS_24const_host_device_scalarIT4_EEPKT2_PKS2_PKS4_PS4_lPiSA_PS2_21rocsparse_index_base_20rocsparse_fill_mode_20rocsparse_diag_type_b.num_named_barrier, 0
	.set _ZN9rocsparseL5csrsmILj512ELj64ELb0EiidEEv20rocsparse_operation_T3_S2_NS_24const_host_device_scalarIT4_EEPKT2_PKS2_PKS4_PS4_lPiSA_PS2_21rocsparse_index_base_20rocsparse_fill_mode_20rocsparse_diag_type_b.private_seg_size, 0
	.set _ZN9rocsparseL5csrsmILj512ELj64ELb0EiidEEv20rocsparse_operation_T3_S2_NS_24const_host_device_scalarIT4_EEPKT2_PKS2_PKS4_PS4_lPiSA_PS2_21rocsparse_index_base_20rocsparse_fill_mode_20rocsparse_diag_type_b.uses_vcc, 1
	.set _ZN9rocsparseL5csrsmILj512ELj64ELb0EiidEEv20rocsparse_operation_T3_S2_NS_24const_host_device_scalarIT4_EEPKT2_PKS2_PKS4_PS4_lPiSA_PS2_21rocsparse_index_base_20rocsparse_fill_mode_20rocsparse_diag_type_b.uses_flat_scratch, 0
	.set _ZN9rocsparseL5csrsmILj512ELj64ELb0EiidEEv20rocsparse_operation_T3_S2_NS_24const_host_device_scalarIT4_EEPKT2_PKS2_PKS4_PS4_lPiSA_PS2_21rocsparse_index_base_20rocsparse_fill_mode_20rocsparse_diag_type_b.has_dyn_sized_stack, 0
	.set _ZN9rocsparseL5csrsmILj512ELj64ELb0EiidEEv20rocsparse_operation_T3_S2_NS_24const_host_device_scalarIT4_EEPKT2_PKS2_PKS4_PS4_lPiSA_PS2_21rocsparse_index_base_20rocsparse_fill_mode_20rocsparse_diag_type_b.has_recursion, 0
	.set _ZN9rocsparseL5csrsmILj512ELj64ELb0EiidEEv20rocsparse_operation_T3_S2_NS_24const_host_device_scalarIT4_EEPKT2_PKS2_PKS4_PS4_lPiSA_PS2_21rocsparse_index_base_20rocsparse_fill_mode_20rocsparse_diag_type_b.has_indirect_call, 0
	.section	.AMDGPU.csdata,"",@progbits
; Kernel info:
; codeLenInByte = 1676
; TotalNumSgprs: 32
; NumVgprs: 20
; ScratchSize: 0
; MemoryBound: 0
; FloatMode: 240
; IeeeMode: 1
; LDSByteSize: 6144 bytes/workgroup (compile time only)
; SGPRBlocks: 0
; VGPRBlocks: 1
; NumSGPRsForWavesPerEU: 32
; NumVGPRsForWavesPerEU: 20
; NamedBarCnt: 0
; Occupancy: 16
; WaveLimiterHint : 1
; COMPUTE_PGM_RSRC2:SCRATCH_EN: 0
; COMPUTE_PGM_RSRC2:USER_SGPR: 2
; COMPUTE_PGM_RSRC2:TRAP_HANDLER: 0
; COMPUTE_PGM_RSRC2:TGID_X_EN: 1
; COMPUTE_PGM_RSRC2:TGID_Y_EN: 0
; COMPUTE_PGM_RSRC2:TGID_Z_EN: 0
; COMPUTE_PGM_RSRC2:TIDIG_COMP_CNT: 0
	.section	.text._ZN9rocsparseL5csrsmILj1024ELj64ELb1EiidEEv20rocsparse_operation_T3_S2_NS_24const_host_device_scalarIT4_EEPKT2_PKS2_PKS4_PS4_lPiSA_PS2_21rocsparse_index_base_20rocsparse_fill_mode_20rocsparse_diag_type_b,"axG",@progbits,_ZN9rocsparseL5csrsmILj1024ELj64ELb1EiidEEv20rocsparse_operation_T3_S2_NS_24const_host_device_scalarIT4_EEPKT2_PKS2_PKS4_PS4_lPiSA_PS2_21rocsparse_index_base_20rocsparse_fill_mode_20rocsparse_diag_type_b,comdat
	.globl	_ZN9rocsparseL5csrsmILj1024ELj64ELb1EiidEEv20rocsparse_operation_T3_S2_NS_24const_host_device_scalarIT4_EEPKT2_PKS2_PKS4_PS4_lPiSA_PS2_21rocsparse_index_base_20rocsparse_fill_mode_20rocsparse_diag_type_b ; -- Begin function _ZN9rocsparseL5csrsmILj1024ELj64ELb1EiidEEv20rocsparse_operation_T3_S2_NS_24const_host_device_scalarIT4_EEPKT2_PKS2_PKS4_PS4_lPiSA_PS2_21rocsparse_index_base_20rocsparse_fill_mode_20rocsparse_diag_type_b
	.p2align	8
	.type	_ZN9rocsparseL5csrsmILj1024ELj64ELb1EiidEEv20rocsparse_operation_T3_S2_NS_24const_host_device_scalarIT4_EEPKT2_PKS2_PKS4_PS4_lPiSA_PS2_21rocsparse_index_base_20rocsparse_fill_mode_20rocsparse_diag_type_b,@function
_ZN9rocsparseL5csrsmILj1024ELj64ELb1EiidEEv20rocsparse_operation_T3_S2_NS_24const_host_device_scalarIT4_EEPKT2_PKS2_PKS4_PS4_lPiSA_PS2_21rocsparse_index_base_20rocsparse_fill_mode_20rocsparse_diag_type_b: ; @_ZN9rocsparseL5csrsmILj1024ELj64ELb1EiidEEv20rocsparse_operation_T3_S2_NS_24const_host_device_scalarIT4_EEPKT2_PKS2_PKS4_PS4_lPiSA_PS2_21rocsparse_index_base_20rocsparse_fill_mode_20rocsparse_diag_type_b
; %bb.0:
	s_clause 0x2
	s_load_b128 s[4:7], s[0:1], 0x58
	s_load_b128 s[12:15], s[0:1], 0x10
	s_load_b64 s[2:3], s[0:1], 0x48
	s_wait_kmcnt 0x0
	s_bitcmp1_b32 s7, 0
	v_mov_b64_e32 v[2:3], s[12:13]
	s_cselect_b32 s7, -1, 0
	s_delay_alu instid0(SALU_CYCLE_1)
	s_and_b32 vcc_lo, exec_lo, s7
	s_cbranch_vccnz .LBB20_2
; %bb.1:
	v_mov_b32_e32 v1, 0
	flat_load_b64 v[2:3], v1, s[12:13]
.LBB20_2:
	s_wait_xcnt 0x0
	s_load_b64 s[12:13], s[0:1], 0x4
	s_bfe_u32 s9, ttmp6, 0x4000c
	s_and_b32 s8, ttmp6, 15
	s_add_co_i32 s9, s9, 1
	s_getreg_b32 s11, hwreg(HW_REG_IB_STS2, 6, 4)
	s_mul_i32 s9, ttmp9, s9
	v_mov_b64_e32 v[4:5], 0
	s_add_co_i32 s8, s8, s9
	s_wait_kmcnt 0x0
	s_cvt_f32_u32 s7, s12
	s_sub_co_i32 s10, 0, s12
	s_delay_alu instid0(SALU_CYCLE_2) | instskip(SKIP_1) | instid1(TRANS32_DEP_1)
	v_rcp_iflag_f32_e32 v1, s7
	v_nop
	v_readfirstlane_b32 s7, v1
	s_mul_f32 s7, s7, 0x4f7ffffe
	s_delay_alu instid0(SALU_CYCLE_3) | instskip(NEXT) | instid1(SALU_CYCLE_3)
	s_cvt_u32_f32 s7, s7
	s_mul_i32 s10, s10, s7
	s_delay_alu instid0(SALU_CYCLE_1) | instskip(NEXT) | instid1(SALU_CYCLE_1)
	s_mul_hi_u32 s10, s7, s10
	s_add_co_i32 s7, s7, s10
	s_cmp_eq_u32 s11, 0
	s_cselect_b32 s8, ttmp9, s8
	s_delay_alu instid0(SALU_CYCLE_1) | instskip(NEXT) | instid1(SALU_CYCLE_1)
	s_mul_hi_u32 s7, s8, s7
	s_mul_i32 s9, s7, s12
	s_add_co_i32 s10, s7, 1
	s_sub_co_i32 s9, s8, s9
	s_delay_alu instid0(SALU_CYCLE_1)
	s_sub_co_i32 s11, s9, s12
	s_cmp_ge_u32 s9, s12
	s_cselect_b32 s7, s10, s7
	s_cselect_b32 s9, s11, s9
	s_add_co_i32 s10, s7, 1
	s_cmp_ge_u32 s9, s12
	s_cselect_b32 s20, s10, s7
	s_delay_alu instid0(SALU_CYCLE_1) | instskip(SKIP_2) | instid1(SALU_CYCLE_1)
	s_mul_i32 s7, s20, s12
	v_lshl_or_b32 v6, s20, 10, v0
	s_sub_co_i32 s8, s8, s7
	s_ashr_i32 s9, s8, 31
	s_delay_alu instid0(VALU_DEP_1) | instskip(SKIP_1) | instid1(SALU_CYCLE_1)
	v_ashrrev_i32_e32 v7, 31, v6
	s_lshl_b64 s[8:9], s[8:9], 2
	s_add_nc_u64 s[2:3], s[2:3], s[8:9]
	s_load_b128 s[8:11], s[0:1], 0x30
	s_load_b32 s16, s[2:3], 0x0
	s_wait_kmcnt 0x0
	s_ashr_i32 s17, s16, 31
	s_delay_alu instid0(SALU_CYCLE_1)
	s_lshl_b64 s[2:3], s[16:17], 2
	s_mul_u64 s[20:21], s[10:11], s[16:17]
	s_add_nc_u64 s[2:3], s[14:15], s[2:3]
	s_load_b64 s[18:19], s[0:1], 0x40
	s_load_b64 s[22:23], s[2:3], 0x0
	s_wait_xcnt 0x0
	v_cmp_gt_i32_e64 s2, s13, v6
	s_and_saveexec_b32 s3, s2
	s_cbranch_execz .LBB20_4
; %bb.3:
	v_add_nc_u64_e32 v[4:5], s[20:21], v[6:7]
	s_delay_alu instid0(VALU_DEP_1)
	v_lshl_add_u64 v[4:5], v[4:5], 3, s[8:9]
	global_load_b64 v[4:5], v[4:5], off
	s_wait_loadcnt_dscnt 0x0
	v_mul_f64_e32 v[4:5], v[2:3], v[4:5]
.LBB20_4:
	s_or_b32 exec_lo, exec_lo, s3
	v_mov_b64_e32 v[10:11], 1.0
	s_wait_loadcnt_dscnt 0x0
	v_lshl_add_u64 v[2:3], v[6:7], 3, s[8:9]
	v_cmp_eq_u32_e64 s3, 0, v0
	s_wait_kmcnt 0x0
	s_cmp_ge_i32 s22, s23
	s_cbranch_scc1 .LBB20_43
; %bb.5:
	s_clause 0x1
	s_load_b64 s[8:9], s[0:1], 0x50
	s_load_b128 s[12:15], s[0:1], 0x20
	s_sub_co_i32 s17, s22, s4
	s_sub_co_i32 s26, s23, s4
	s_cmp_lg_u32 s6, 0
	v_mov_b64_e32 v[6:7], 1.0
	v_lshl_or_b32 v1, v0, 2, 0x2000
	v_dual_mov_b32 v15, 0 :: v_dual_lshlrev_b32 v14, 3, v0
	s_cselect_b32 s27, -1, 0
	s_wait_xcnt 0x0
	v_cmp_ne_u32_e64 s0, 0, v0
	s_add_co_i32 s28, s16, s4
	s_cmp_eq_u32 s6, 0
	s_mov_b32 s29, s17
	s_cselect_b32 s1, -1, 0
	s_sub_co_i32 s22, s29, s17
	s_delay_alu instid0(SALU_CYCLE_1) | instskip(NEXT) | instid1(SALU_CYCLE_1)
	s_and_b32 s22, s22, 0x3ff
	s_cmp_lg_u32 s22, 0
	s_cbranch_scc1 .LBB20_9
.LBB20_6:
	s_sub_co_i32 s23, s26, s29
	v_mov_b64_e32 v[8:9], -1.0
	v_cmp_gt_u32_e32 vcc_lo, s23, v0
	v_mov_b32_e32 v10, -1
	s_and_saveexec_b32 s23, vcc_lo
	s_cbranch_execz .LBB20_8
; %bb.7:
	v_add_nc_u32_e32 v10, s29, v0
	s_wait_kmcnt 0x0
	s_clause 0x1
	global_load_b32 v11, v10, s[12:13] scale_offset
	global_load_b64 v[8:9], v10, s[14:15] scale_offset
	s_wait_loadcnt 0x1
	s_wait_xcnt 0x0
	v_subrev_nc_u32_e32 v10, s4, v11
.LBB20_8:
	s_or_b32 exec_lo, exec_lo, s23
	ds_store_b32 v1, v10
	s_wait_loadcnt 0x0
	ds_store_b64 v14, v[8:9]
.LBB20_9:                               ; =>This Loop Header: Depth=1
                                        ;     Child Loop BB20_41 Depth 2
                                        ;       Child Loop BB20_42 Depth 3
	s_lshl_b32 s23, s22, 3
	s_lshl_b32 s22, s22, 2
	s_delay_alu instid0(SALU_CYCLE_1)
	v_dual_mov_b32 v8, s23 :: v_dual_mov_b32 v10, s22
	s_wait_dscnt 0x0
	s_barrier_signal -1
	s_barrier_wait -1
	ds_load_b64 v[8:9], v8
	ds_load_b32 v10, v10 offset:8192
	s_wait_dscnt 0x1
	v_cmp_neq_f64_e32 vcc_lo, 0, v[8:9]
	s_wait_dscnt 0x0
	v_readfirstlane_b32 s22, v10
	s_cmp_lg_u32 s22, s16
	s_cselect_b32 s23, -1, 0
	s_delay_alu instid0(SALU_CYCLE_1) | instskip(NEXT) | instid1(SALU_CYCLE_1)
	s_or_b32 s23, s27, s23
	s_or_b32 vcc_lo, vcc_lo, s23
	v_cndmask_b32_e32 v9, 0x3ff00000, v9, vcc_lo
	v_cndmask_b32_e32 v8, 0, v8, vcc_lo
	s_nor_b32 s24, s0, vcc_lo
	s_delay_alu instid0(SALU_CYCLE_1)
	s_and_saveexec_b32 s23, s24
	s_cbranch_execz .LBB20_13
; %bb.10:                               ;   in Loop: Header=BB20_9 Depth=1
	v_mbcnt_lo_u32_b32 v8, exec_lo, 0
	s_mov_b32 s24, exec_lo
	s_delay_alu instid0(VALU_DEP_1)
	v_cmpx_eq_u32_e32 0, v8
	s_cbranch_execz .LBB20_12
; %bb.11:                               ;   in Loop: Header=BB20_9 Depth=1
	v_mov_b32_e32 v8, s28
	s_wait_kmcnt 0x0
	global_atomic_min_i32 v15, v8, s[8:9] scope:SCOPE_DEV
.LBB20_12:                              ;   in Loop: Header=BB20_9 Depth=1
	s_wait_xcnt 0x0
	s_or_b32 exec_lo, exec_lo, s24
	v_mov_b64_e32 v[8:9], 1.0
.LBB20_13:                              ;   in Loop: Header=BB20_9 Depth=1
	s_or_b32 exec_lo, exec_lo, s23
	s_mov_b32 s25, -1
	s_mov_b32 s23, 0
	s_cmp_lt_i32 s5, 1
	s_mov_b32 s24, 0
                                        ; implicit-def: $vgpr10_vgpr11
	s_cbranch_scc0 .LBB20_20
; %bb.14:                               ;   in Loop: Header=BB20_9 Depth=1
	s_and_b32 vcc_lo, exec_lo, s25
	s_mov_b32 s25, 4
	s_cbranch_vccnz .LBB20_25
.LBB20_15:                              ;   in Loop: Header=BB20_9 Depth=1
	v_mov_b64_e32 v[12:13], v[4:5]
	s_and_b32 vcc_lo, exec_lo, s24
	s_cbranch_vccnz .LBB20_30
.LBB20_16:                              ;   in Loop: Header=BB20_9 Depth=1
	s_and_b32 vcc_lo, exec_lo, s23
	s_cbranch_vccnz .LBB20_35
.LBB20_17:                              ;   in Loop: Header=BB20_9 Depth=1
	s_mov_b32 s22, -1
	s_cmp_gt_i32 s25, 3
	s_mov_b32 s23, -1
	s_cbranch_scc0 .LBB20_36
.LBB20_18:                              ;   in Loop: Header=BB20_9 Depth=1
	s_and_not1_b32 vcc_lo, exec_lo, s23
	s_cbranch_vccz .LBB20_37
.LBB20_19:                              ;   in Loop: Header=BB20_9 Depth=1
	s_and_not1_b32 vcc_lo, exec_lo, s22
	s_cbranch_vccnz .LBB20_38
	s_branch .LBB20_44
.LBB20_20:                              ;   in Loop: Header=BB20_9 Depth=1
	s_cmp_eq_u32 s5, 1
	s_mov_b32 s24, -1
                                        ; implicit-def: $vgpr10_vgpr11
	s_cbranch_scc0 .LBB20_24
; %bb.21:                               ;   in Loop: Header=BB20_9 Depth=1
	v_mov_b64_e32 v[10:11], v[6:7]
	s_cmp_ge_i32 s22, s16
	s_mov_b32 s24, 0
	s_cbranch_scc0 .LBB20_24
; %bb.22:                               ;   in Loop: Header=BB20_9 Depth=1
	s_cmp_eq_u32 s22, s16
	s_mov_b32 s24, -1
                                        ; implicit-def: $vgpr10_vgpr11
	s_cbranch_scc0 .LBB20_24
; %bb.23:                               ;   in Loop: Header=BB20_9 Depth=1
	v_div_scale_f64 v[10:11], null, v[8:9], v[8:9], 1.0
	v_div_scale_f64 v[18:19], vcc_lo, 1.0, v[8:9], 1.0
	s_mov_b32 s24, 0
	v_rcp_f64_e32 v[12:13], v[10:11]
	v_nop
	s_delay_alu instid0(TRANS32_DEP_1) | instskip(NEXT) | instid1(VALU_DEP_1)
	v_fma_f64 v[16:17], -v[10:11], v[12:13], 1.0
	v_fmac_f64_e32 v[12:13], v[12:13], v[16:17]
	s_delay_alu instid0(VALU_DEP_1) | instskip(NEXT) | instid1(VALU_DEP_1)
	v_fma_f64 v[16:17], -v[10:11], v[12:13], 1.0
	v_fmac_f64_e32 v[12:13], v[12:13], v[16:17]
	s_delay_alu instid0(VALU_DEP_1) | instskip(NEXT) | instid1(VALU_DEP_1)
	v_mul_f64_e32 v[16:17], v[18:19], v[12:13]
	v_fma_f64 v[10:11], -v[10:11], v[16:17], v[18:19]
	s_delay_alu instid0(VALU_DEP_1) | instskip(NEXT) | instid1(VALU_DEP_1)
	v_div_fmas_f64 v[10:11], v[10:11], v[12:13], v[16:17]
	v_div_fixup_f64 v[10:11], v[10:11], v[8:9], 1.0
	s_delay_alu instid0(VALU_DEP_1)
	v_dual_cndmask_b32 v11, v7, v11, s1 :: v_dual_cndmask_b32 v10, v6, v10, s1
.LBB20_24:                              ;   in Loop: Header=BB20_9 Depth=1
	s_mov_b32 s25, 4
	s_branch .LBB20_15
.LBB20_25:                              ;   in Loop: Header=BB20_9 Depth=1
	s_cmp_eq_u32 s5, 0
	s_cbranch_scc1 .LBB20_27
; %bb.26:                               ;   in Loop: Header=BB20_9 Depth=1
	s_mov_b32 s24, -1
	s_branch .LBB20_29
.LBB20_27:                              ;   in Loop: Header=BB20_9 Depth=1
	s_cmp_le_i32 s22, s16
	s_mov_b32 s24, 0
	s_cbranch_scc0 .LBB20_29
; %bb.28:                               ;   in Loop: Header=BB20_9 Depth=1
	s_cmp_lg_u32 s22, s16
	s_mov_b32 s23, -1
	s_cselect_b32 s24, -1, 0
.LBB20_29:                              ;   in Loop: Header=BB20_9 Depth=1
	v_mov_b64_e32 v[10:11], v[6:7]
	s_mov_b32 s25, 2
	v_mov_b64_e32 v[12:13], v[4:5]
	s_and_b32 vcc_lo, exec_lo, s24
	s_cbranch_vccz .LBB20_16
.LBB20_30:                              ;   in Loop: Header=BB20_9 Depth=1
	s_and_saveexec_b32 s23, s3
	s_cbranch_execz .LBB20_32
; %bb.31:                               ;   in Loop: Header=BB20_9 Depth=1
	s_add_co_i32 s24, s22, s7
	s_delay_alu instid0(SALU_CYCLE_1)
	v_mov_b32_e32 v10, s24
	global_load_b32 v10, v10, s[18:19] scale_offset scope:SCOPE_DEV
	s_wait_loadcnt 0x0
	v_cmp_ne_u32_e32 vcc_lo, 0, v10
	s_cbranch_vccz .LBB20_39
.LBB20_32:                              ;   in Loop: Header=BB20_9 Depth=1
	s_wait_xcnt 0x0
	s_or_b32 exec_lo, exec_lo, s23
	v_mov_b64_e32 v[12:13], 0
	s_wait_storecnt 0x0
	s_barrier_signal -1
	s_barrier_wait -1
	global_inv scope:SCOPE_DEV
	s_and_saveexec_b32 s24, s2
	s_cbranch_execz .LBB20_34
; %bb.33:                               ;   in Loop: Header=BB20_9 Depth=1
	s_ashr_i32 s23, s22, 31
	s_delay_alu instid0(SALU_CYCLE_1) | instskip(NEXT) | instid1(SALU_CYCLE_1)
	s_mul_u64 s[22:23], s[10:11], s[22:23]
	v_lshl_add_u64 v[10:11], s[22:23], 3, v[2:3]
	global_load_b64 v[10:11], v[10:11], off
	s_wait_loadcnt 0x0
	v_fma_f64 v[12:13], -v[8:9], v[10:11], v[4:5]
.LBB20_34:                              ;   in Loop: Header=BB20_9 Depth=1
	s_or_b32 exec_lo, exec_lo, s24
	v_mov_b64_e32 v[10:11], v[6:7]
	s_mov_b32 s25, 0
	s_branch .LBB20_17
.LBB20_35:                              ;   in Loop: Header=BB20_9 Depth=1
	v_div_scale_f64 v[10:11], null, v[8:9], v[8:9], 1.0
	v_div_scale_f64 v[18:19], vcc_lo, 1.0, v[8:9], 1.0
	s_mov_b32 s25, 2
	v_rcp_f64_e32 v[12:13], v[10:11]
	v_nop
	s_delay_alu instid0(TRANS32_DEP_1) | instskip(NEXT) | instid1(VALU_DEP_1)
	v_fma_f64 v[16:17], -v[10:11], v[12:13], 1.0
	v_fmac_f64_e32 v[12:13], v[12:13], v[16:17]
	s_delay_alu instid0(VALU_DEP_1) | instskip(NEXT) | instid1(VALU_DEP_1)
	v_fma_f64 v[16:17], -v[10:11], v[12:13], 1.0
	v_fmac_f64_e32 v[12:13], v[12:13], v[16:17]
	s_delay_alu instid0(VALU_DEP_1) | instskip(NEXT) | instid1(VALU_DEP_1)
	v_mul_f64_e32 v[16:17], v[18:19], v[12:13]
	v_fma_f64 v[10:11], -v[10:11], v[16:17], v[18:19]
	s_delay_alu instid0(VALU_DEP_1) | instskip(SKIP_1) | instid1(VALU_DEP_2)
	v_div_fmas_f64 v[10:11], v[10:11], v[12:13], v[16:17]
	v_mov_b64_e32 v[12:13], v[4:5]
	v_div_fixup_f64 v[8:9], v[10:11], v[8:9], 1.0
	s_delay_alu instid0(VALU_DEP_1)
	v_dual_cndmask_b32 v11, v7, v9, s1 :: v_dual_cndmask_b32 v10, v6, v8, s1
	s_mov_b32 s22, -1
	s_cmp_gt_i32 s25, 3
	s_mov_b32 s23, -1
	s_cbranch_scc1 .LBB20_18
.LBB20_36:                              ;   in Loop: Header=BB20_9 Depth=1
	s_cmp_eq_u32 s25, 0
	s_cselect_b32 s23, -1, 0
	s_delay_alu instid0(SALU_CYCLE_1)
	s_and_not1_b32 vcc_lo, exec_lo, s23
	s_cbranch_vccnz .LBB20_19
.LBB20_37:                              ;   in Loop: Header=BB20_9 Depth=1
	s_add_co_i32 s29, s29, 1
	s_delay_alu instid0(SALU_CYCLE_1) | instskip(SKIP_1) | instid1(SALU_CYCLE_1)
	s_cmp_ge_i32 s29, s26
	s_cselect_b32 s22, -1, 0
	s_and_not1_b32 vcc_lo, exec_lo, s22
	s_cbranch_vccz .LBB20_44
.LBB20_38:                              ;   in Loop: Header=BB20_9 Depth=1
	s_delay_alu instid0(VALU_DEP_1) | instskip(SKIP_2) | instid1(SALU_CYCLE_1)
	v_mov_b64_e32 v[4:5], v[12:13]
	v_mov_b64_e32 v[6:7], v[10:11]
	s_sub_co_i32 s22, s29, s17
	s_and_b32 s22, s22, 0x3ff
	s_delay_alu instid0(SALU_CYCLE_1)
	s_cmp_lg_u32 s22, 0
	s_cbranch_scc1 .LBB20_9
	s_branch .LBB20_6
.LBB20_39:                              ;   in Loop: Header=BB20_9 Depth=1
	s_ashr_i32 s25, s24, 31
	s_mov_b32 s30, 0
	s_lshl_b64 s[24:25], s[24:25], 2
	s_delay_alu instid0(SALU_CYCLE_1)
	s_add_nc_u64 s[24:25], s[18:19], s[24:25]
	s_branch .LBB20_41
.LBB20_40:                              ;   in Loop: Header=BB20_41 Depth=2
	global_load_b32 v10, v15, s[24:25] scope:SCOPE_DEV
	s_cmp_lt_u32 s30, 0xf43
	s_cselect_b32 s31, -1, 0
	s_delay_alu instid0(SALU_CYCLE_1)
	s_cmp_lg_u32 s31, 0
	s_add_co_ci_u32 s30, s30, 0
	s_wait_loadcnt 0x0
	v_cmp_ne_u32_e32 vcc_lo, 0, v10
	s_cbranch_vccnz .LBB20_32
.LBB20_41:                              ;   Parent Loop BB20_9 Depth=1
                                        ; =>  This Loop Header: Depth=2
                                        ;       Child Loop BB20_42 Depth 3
	s_cmp_eq_u32 s30, 0
	s_mov_b32 s31, s30
	s_cbranch_scc1 .LBB20_40
.LBB20_42:                              ;   Parent Loop BB20_9 Depth=1
                                        ;     Parent Loop BB20_41 Depth=2
                                        ; =>    This Inner Loop Header: Depth=3
	s_add_co_i32 s31, s31, -1
	s_sleep 1
	s_cmp_eq_u32 s31, 0
	s_cbranch_scc0 .LBB20_42
	s_branch .LBB20_40
.LBB20_43:
	v_mov_b64_e32 v[12:13], v[4:5]
.LBB20_44:
	s_and_saveexec_b32 s0, s2
	s_cbranch_execz .LBB20_46
; %bb.45:
	s_delay_alu instid0(VALU_DEP_1) | instskip(SKIP_3) | instid1(VALU_DEP_2)
	v_mul_f64_e32 v[4:5], v[10:11], v[12:13]
	s_cmp_eq_u32 s6, 0
	v_lshl_add_u64 v[2:3], s[20:21], 3, v[2:3]
	s_cselect_b32 vcc_lo, -1, 0
	v_dual_cndmask_b32 v5, v13, v5 :: v_dual_cndmask_b32 v4, v12, v4
	global_store_b64 v[2:3], v[4:5], off
.LBB20_46:
	s_wait_xcnt 0x0
	s_or_b32 exec_lo, exec_lo, s0
	global_wb scope:SCOPE_DEV
	s_wait_loadcnt 0x0
	s_wait_storecnt 0x0
	global_inv scope:SCOPE_DEV
	s_wait_loadcnt 0x0
	s_barrier_signal -1
	s_barrier_wait -1
	s_mov_b32 s0, exec_lo
	v_cmpx_eq_u32_e32 0, v0
	s_cbranch_execz .LBB20_48
; %bb.47:
	s_add_co_i32 s0, s16, s7
	s_delay_alu instid0(SALU_CYCLE_1)
	v_dual_mov_b32 v0, 1 :: v_dual_mov_b32 v1, s0
	global_store_b32 v1, v0, s[18:19] scale_offset scope:SCOPE_DEV
.LBB20_48:
	s_endpgm
	.section	.rodata,"a",@progbits
	.p2align	6, 0x0
	.amdhsa_kernel _ZN9rocsparseL5csrsmILj1024ELj64ELb1EiidEEv20rocsparse_operation_T3_S2_NS_24const_host_device_scalarIT4_EEPKT2_PKS2_PKS4_PS4_lPiSA_PS2_21rocsparse_index_base_20rocsparse_fill_mode_20rocsparse_diag_type_b
		.amdhsa_group_segment_fixed_size 12288
		.amdhsa_private_segment_fixed_size 0
		.amdhsa_kernarg_size 104
		.amdhsa_user_sgpr_count 2
		.amdhsa_user_sgpr_dispatch_ptr 0
		.amdhsa_user_sgpr_queue_ptr 0
		.amdhsa_user_sgpr_kernarg_segment_ptr 1
		.amdhsa_user_sgpr_dispatch_id 0
		.amdhsa_user_sgpr_kernarg_preload_length 0
		.amdhsa_user_sgpr_kernarg_preload_offset 0
		.amdhsa_user_sgpr_private_segment_size 0
		.amdhsa_wavefront_size32 1
		.amdhsa_uses_dynamic_stack 0
		.amdhsa_enable_private_segment 0
		.amdhsa_system_sgpr_workgroup_id_x 1
		.amdhsa_system_sgpr_workgroup_id_y 0
		.amdhsa_system_sgpr_workgroup_id_z 0
		.amdhsa_system_sgpr_workgroup_info 0
		.amdhsa_system_vgpr_workitem_id 0
		.amdhsa_next_free_vgpr 20
		.amdhsa_next_free_sgpr 32
		.amdhsa_named_barrier_count 0
		.amdhsa_reserve_vcc 1
		.amdhsa_float_round_mode_32 0
		.amdhsa_float_round_mode_16_64 0
		.amdhsa_float_denorm_mode_32 3
		.amdhsa_float_denorm_mode_16_64 3
		.amdhsa_fp16_overflow 0
		.amdhsa_memory_ordered 1
		.amdhsa_forward_progress 1
		.amdhsa_inst_pref_size 14
		.amdhsa_round_robin_scheduling 0
		.amdhsa_exception_fp_ieee_invalid_op 0
		.amdhsa_exception_fp_denorm_src 0
		.amdhsa_exception_fp_ieee_div_zero 0
		.amdhsa_exception_fp_ieee_overflow 0
		.amdhsa_exception_fp_ieee_underflow 0
		.amdhsa_exception_fp_ieee_inexact 0
		.amdhsa_exception_int_div_zero 0
	.end_amdhsa_kernel
	.section	.text._ZN9rocsparseL5csrsmILj1024ELj64ELb1EiidEEv20rocsparse_operation_T3_S2_NS_24const_host_device_scalarIT4_EEPKT2_PKS2_PKS4_PS4_lPiSA_PS2_21rocsparse_index_base_20rocsparse_fill_mode_20rocsparse_diag_type_b,"axG",@progbits,_ZN9rocsparseL5csrsmILj1024ELj64ELb1EiidEEv20rocsparse_operation_T3_S2_NS_24const_host_device_scalarIT4_EEPKT2_PKS2_PKS4_PS4_lPiSA_PS2_21rocsparse_index_base_20rocsparse_fill_mode_20rocsparse_diag_type_b,comdat
.Lfunc_end20:
	.size	_ZN9rocsparseL5csrsmILj1024ELj64ELb1EiidEEv20rocsparse_operation_T3_S2_NS_24const_host_device_scalarIT4_EEPKT2_PKS2_PKS4_PS4_lPiSA_PS2_21rocsparse_index_base_20rocsparse_fill_mode_20rocsparse_diag_type_b, .Lfunc_end20-_ZN9rocsparseL5csrsmILj1024ELj64ELb1EiidEEv20rocsparse_operation_T3_S2_NS_24const_host_device_scalarIT4_EEPKT2_PKS2_PKS4_PS4_lPiSA_PS2_21rocsparse_index_base_20rocsparse_fill_mode_20rocsparse_diag_type_b
                                        ; -- End function
	.set _ZN9rocsparseL5csrsmILj1024ELj64ELb1EiidEEv20rocsparse_operation_T3_S2_NS_24const_host_device_scalarIT4_EEPKT2_PKS2_PKS4_PS4_lPiSA_PS2_21rocsparse_index_base_20rocsparse_fill_mode_20rocsparse_diag_type_b.num_vgpr, 20
	.set _ZN9rocsparseL5csrsmILj1024ELj64ELb1EiidEEv20rocsparse_operation_T3_S2_NS_24const_host_device_scalarIT4_EEPKT2_PKS2_PKS4_PS4_lPiSA_PS2_21rocsparse_index_base_20rocsparse_fill_mode_20rocsparse_diag_type_b.num_agpr, 0
	.set _ZN9rocsparseL5csrsmILj1024ELj64ELb1EiidEEv20rocsparse_operation_T3_S2_NS_24const_host_device_scalarIT4_EEPKT2_PKS2_PKS4_PS4_lPiSA_PS2_21rocsparse_index_base_20rocsparse_fill_mode_20rocsparse_diag_type_b.numbered_sgpr, 32
	.set _ZN9rocsparseL5csrsmILj1024ELj64ELb1EiidEEv20rocsparse_operation_T3_S2_NS_24const_host_device_scalarIT4_EEPKT2_PKS2_PKS4_PS4_lPiSA_PS2_21rocsparse_index_base_20rocsparse_fill_mode_20rocsparse_diag_type_b.num_named_barrier, 0
	.set _ZN9rocsparseL5csrsmILj1024ELj64ELb1EiidEEv20rocsparse_operation_T3_S2_NS_24const_host_device_scalarIT4_EEPKT2_PKS2_PKS4_PS4_lPiSA_PS2_21rocsparse_index_base_20rocsparse_fill_mode_20rocsparse_diag_type_b.private_seg_size, 0
	.set _ZN9rocsparseL5csrsmILj1024ELj64ELb1EiidEEv20rocsparse_operation_T3_S2_NS_24const_host_device_scalarIT4_EEPKT2_PKS2_PKS4_PS4_lPiSA_PS2_21rocsparse_index_base_20rocsparse_fill_mode_20rocsparse_diag_type_b.uses_vcc, 1
	.set _ZN9rocsparseL5csrsmILj1024ELj64ELb1EiidEEv20rocsparse_operation_T3_S2_NS_24const_host_device_scalarIT4_EEPKT2_PKS2_PKS4_PS4_lPiSA_PS2_21rocsparse_index_base_20rocsparse_fill_mode_20rocsparse_diag_type_b.uses_flat_scratch, 0
	.set _ZN9rocsparseL5csrsmILj1024ELj64ELb1EiidEEv20rocsparse_operation_T3_S2_NS_24const_host_device_scalarIT4_EEPKT2_PKS2_PKS4_PS4_lPiSA_PS2_21rocsparse_index_base_20rocsparse_fill_mode_20rocsparse_diag_type_b.has_dyn_sized_stack, 0
	.set _ZN9rocsparseL5csrsmILj1024ELj64ELb1EiidEEv20rocsparse_operation_T3_S2_NS_24const_host_device_scalarIT4_EEPKT2_PKS2_PKS4_PS4_lPiSA_PS2_21rocsparse_index_base_20rocsparse_fill_mode_20rocsparse_diag_type_b.has_recursion, 0
	.set _ZN9rocsparseL5csrsmILj1024ELj64ELb1EiidEEv20rocsparse_operation_T3_S2_NS_24const_host_device_scalarIT4_EEPKT2_PKS2_PKS4_PS4_lPiSA_PS2_21rocsparse_index_base_20rocsparse_fill_mode_20rocsparse_diag_type_b.has_indirect_call, 0
	.section	.AMDGPU.csdata,"",@progbits
; Kernel info:
; codeLenInByte = 1740
; TotalNumSgprs: 34
; NumVgprs: 20
; ScratchSize: 0
; MemoryBound: 0
; FloatMode: 240
; IeeeMode: 1
; LDSByteSize: 12288 bytes/workgroup (compile time only)
; SGPRBlocks: 0
; VGPRBlocks: 1
; NumSGPRsForWavesPerEU: 34
; NumVGPRsForWavesPerEU: 20
; NamedBarCnt: 0
; Occupancy: 16
; WaveLimiterHint : 1
; COMPUTE_PGM_RSRC2:SCRATCH_EN: 0
; COMPUTE_PGM_RSRC2:USER_SGPR: 2
; COMPUTE_PGM_RSRC2:TRAP_HANDLER: 0
; COMPUTE_PGM_RSRC2:TGID_X_EN: 1
; COMPUTE_PGM_RSRC2:TGID_Y_EN: 0
; COMPUTE_PGM_RSRC2:TGID_Z_EN: 0
; COMPUTE_PGM_RSRC2:TIDIG_COMP_CNT: 0
	.section	.text._ZN9rocsparseL5csrsmILj1024ELj64ELb0EiidEEv20rocsparse_operation_T3_S2_NS_24const_host_device_scalarIT4_EEPKT2_PKS2_PKS4_PS4_lPiSA_PS2_21rocsparse_index_base_20rocsparse_fill_mode_20rocsparse_diag_type_b,"axG",@progbits,_ZN9rocsparseL5csrsmILj1024ELj64ELb0EiidEEv20rocsparse_operation_T3_S2_NS_24const_host_device_scalarIT4_EEPKT2_PKS2_PKS4_PS4_lPiSA_PS2_21rocsparse_index_base_20rocsparse_fill_mode_20rocsparse_diag_type_b,comdat
	.globl	_ZN9rocsparseL5csrsmILj1024ELj64ELb0EiidEEv20rocsparse_operation_T3_S2_NS_24const_host_device_scalarIT4_EEPKT2_PKS2_PKS4_PS4_lPiSA_PS2_21rocsparse_index_base_20rocsparse_fill_mode_20rocsparse_diag_type_b ; -- Begin function _ZN9rocsparseL5csrsmILj1024ELj64ELb0EiidEEv20rocsparse_operation_T3_S2_NS_24const_host_device_scalarIT4_EEPKT2_PKS2_PKS4_PS4_lPiSA_PS2_21rocsparse_index_base_20rocsparse_fill_mode_20rocsparse_diag_type_b
	.p2align	8
	.type	_ZN9rocsparseL5csrsmILj1024ELj64ELb0EiidEEv20rocsparse_operation_T3_S2_NS_24const_host_device_scalarIT4_EEPKT2_PKS2_PKS4_PS4_lPiSA_PS2_21rocsparse_index_base_20rocsparse_fill_mode_20rocsparse_diag_type_b,@function
_ZN9rocsparseL5csrsmILj1024ELj64ELb0EiidEEv20rocsparse_operation_T3_S2_NS_24const_host_device_scalarIT4_EEPKT2_PKS2_PKS4_PS4_lPiSA_PS2_21rocsparse_index_base_20rocsparse_fill_mode_20rocsparse_diag_type_b: ; @_ZN9rocsparseL5csrsmILj1024ELj64ELb0EiidEEv20rocsparse_operation_T3_S2_NS_24const_host_device_scalarIT4_EEPKT2_PKS2_PKS4_PS4_lPiSA_PS2_21rocsparse_index_base_20rocsparse_fill_mode_20rocsparse_diag_type_b
; %bb.0:
	s_clause 0x2
	s_load_b128 s[4:7], s[0:1], 0x58
	s_load_b128 s[12:15], s[0:1], 0x10
	s_load_b64 s[2:3], s[0:1], 0x48
	s_wait_kmcnt 0x0
	s_bitcmp1_b32 s7, 0
	v_mov_b64_e32 v[2:3], s[12:13]
	s_cselect_b32 s7, -1, 0
	s_delay_alu instid0(SALU_CYCLE_1)
	s_and_b32 vcc_lo, exec_lo, s7
	s_cbranch_vccnz .LBB21_2
; %bb.1:
	v_mov_b32_e32 v1, 0
	flat_load_b64 v[2:3], v1, s[12:13]
.LBB21_2:
	s_wait_xcnt 0x0
	s_load_b64 s[12:13], s[0:1], 0x4
	s_bfe_u32 s9, ttmp6, 0x4000c
	s_and_b32 s8, ttmp6, 15
	s_add_co_i32 s9, s9, 1
	s_getreg_b32 s11, hwreg(HW_REG_IB_STS2, 6, 4)
	s_mul_i32 s9, ttmp9, s9
	v_mov_b64_e32 v[4:5], 0
	s_add_co_i32 s8, s8, s9
	s_wait_kmcnt 0x0
	s_cvt_f32_u32 s7, s12
	s_sub_co_i32 s10, 0, s12
	s_delay_alu instid0(SALU_CYCLE_2) | instskip(SKIP_1) | instid1(TRANS32_DEP_1)
	v_rcp_iflag_f32_e32 v1, s7
	v_nop
	v_readfirstlane_b32 s7, v1
	s_mul_f32 s7, s7, 0x4f7ffffe
	s_delay_alu instid0(SALU_CYCLE_3) | instskip(NEXT) | instid1(SALU_CYCLE_3)
	s_cvt_u32_f32 s7, s7
	s_mul_i32 s10, s10, s7
	s_delay_alu instid0(SALU_CYCLE_1) | instskip(NEXT) | instid1(SALU_CYCLE_1)
	s_mul_hi_u32 s10, s7, s10
	s_add_co_i32 s7, s7, s10
	s_cmp_eq_u32 s11, 0
	s_cselect_b32 s8, ttmp9, s8
	s_delay_alu instid0(SALU_CYCLE_1) | instskip(NEXT) | instid1(SALU_CYCLE_1)
	s_mul_hi_u32 s7, s8, s7
	s_mul_i32 s9, s7, s12
	s_add_co_i32 s10, s7, 1
	s_sub_co_i32 s9, s8, s9
	s_delay_alu instid0(SALU_CYCLE_1)
	s_sub_co_i32 s11, s9, s12
	s_cmp_ge_u32 s9, s12
	s_cselect_b32 s7, s10, s7
	s_cselect_b32 s9, s11, s9
	s_add_co_i32 s10, s7, 1
	s_cmp_ge_u32 s9, s12
	s_cselect_b32 s20, s10, s7
	s_delay_alu instid0(SALU_CYCLE_1) | instskip(SKIP_2) | instid1(SALU_CYCLE_1)
	s_mul_i32 s7, s20, s12
	v_lshl_or_b32 v6, s20, 10, v0
	s_sub_co_i32 s8, s8, s7
	s_ashr_i32 s9, s8, 31
	s_delay_alu instid0(VALU_DEP_1) | instskip(SKIP_1) | instid1(SALU_CYCLE_1)
	v_ashrrev_i32_e32 v7, 31, v6
	s_lshl_b64 s[8:9], s[8:9], 2
	s_add_nc_u64 s[2:3], s[2:3], s[8:9]
	s_load_b128 s[8:11], s[0:1], 0x30
	s_load_b32 s16, s[2:3], 0x0
	s_wait_kmcnt 0x0
	s_ashr_i32 s17, s16, 31
	s_delay_alu instid0(SALU_CYCLE_1)
	s_lshl_b64 s[2:3], s[16:17], 2
	s_mul_u64 s[20:21], s[10:11], s[16:17]
	s_add_nc_u64 s[2:3], s[14:15], s[2:3]
	s_load_b64 s[18:19], s[0:1], 0x40
	s_load_b64 s[22:23], s[2:3], 0x0
	s_wait_xcnt 0x0
	v_cmp_gt_i32_e64 s2, s13, v6
	s_and_saveexec_b32 s3, s2
	s_cbranch_execz .LBB21_4
; %bb.3:
	v_add_nc_u64_e32 v[4:5], s[20:21], v[6:7]
	s_delay_alu instid0(VALU_DEP_1)
	v_lshl_add_u64 v[4:5], v[4:5], 3, s[8:9]
	global_load_b64 v[4:5], v[4:5], off
	s_wait_loadcnt_dscnt 0x0
	v_mul_f64_e32 v[4:5], v[2:3], v[4:5]
.LBB21_4:
	s_or_b32 exec_lo, exec_lo, s3
	v_mov_b64_e32 v[10:11], 1.0
	s_wait_loadcnt_dscnt 0x0
	v_lshl_add_u64 v[2:3], v[6:7], 3, s[8:9]
	v_cmp_eq_u32_e64 s3, 0, v0
	s_wait_kmcnt 0x0
	s_cmp_ge_i32 s22, s23
	s_cbranch_scc1 .LBB21_41
; %bb.5:
	s_clause 0x1
	s_load_b64 s[8:9], s[0:1], 0x50
	s_load_b128 s[12:15], s[0:1], 0x20
	s_sub_co_i32 s17, s22, s4
	s_sub_co_i32 s26, s23, s4
	s_cmp_lg_u32 s6, 0
	v_mov_b64_e32 v[6:7], 1.0
	v_lshl_or_b32 v1, v0, 2, 0x2000
	v_dual_mov_b32 v15, 0 :: v_dual_lshlrev_b32 v14, 3, v0
	s_cselect_b32 s27, -1, 0
	s_wait_xcnt 0x0
	v_cmp_ne_u32_e64 s0, 0, v0
	s_add_co_i32 s28, s16, s4
	s_cmp_eq_u32 s6, 0
	s_mov_b32 s29, s17
	s_cselect_b32 s1, -1, 0
	s_sub_co_i32 s22, s29, s17
	s_delay_alu instid0(SALU_CYCLE_1) | instskip(NEXT) | instid1(SALU_CYCLE_1)
	s_and_b32 s22, s22, 0x3ff
	s_cmp_lg_u32 s22, 0
	s_cbranch_scc1 .LBB21_9
.LBB21_6:
	s_sub_co_i32 s23, s26, s29
	v_mov_b64_e32 v[8:9], -1.0
	v_cmp_gt_u32_e32 vcc_lo, s23, v0
	v_mov_b32_e32 v10, -1
	s_and_saveexec_b32 s23, vcc_lo
	s_cbranch_execz .LBB21_8
; %bb.7:
	v_add_nc_u32_e32 v10, s29, v0
	s_wait_kmcnt 0x0
	s_clause 0x1
	global_load_b32 v11, v10, s[12:13] scale_offset
	global_load_b64 v[8:9], v10, s[14:15] scale_offset
	s_wait_loadcnt 0x1
	s_wait_xcnt 0x0
	v_subrev_nc_u32_e32 v10, s4, v11
.LBB21_8:
	s_or_b32 exec_lo, exec_lo, s23
	ds_store_b32 v1, v10
	s_wait_loadcnt 0x0
	ds_store_b64 v14, v[8:9]
.LBB21_9:                               ; =>This Loop Header: Depth=1
                                        ;     Child Loop BB21_33 Depth 2
	s_lshl_b32 s23, s22, 3
	s_lshl_b32 s22, s22, 2
	s_delay_alu instid0(SALU_CYCLE_1)
	v_dual_mov_b32 v8, s23 :: v_dual_mov_b32 v10, s22
	s_wait_dscnt 0x0
	s_barrier_signal -1
	s_barrier_wait -1
	ds_load_b64 v[8:9], v8
	ds_load_b32 v10, v10 offset:8192
	s_wait_dscnt 0x1
	v_cmp_neq_f64_e32 vcc_lo, 0, v[8:9]
	s_wait_dscnt 0x0
	v_readfirstlane_b32 s22, v10
	s_cmp_lg_u32 s22, s16
	s_cselect_b32 s23, -1, 0
	s_delay_alu instid0(SALU_CYCLE_1) | instskip(NEXT) | instid1(SALU_CYCLE_1)
	s_or_b32 s23, s27, s23
	s_or_b32 vcc_lo, vcc_lo, s23
	v_cndmask_b32_e32 v9, 0x3ff00000, v9, vcc_lo
	v_cndmask_b32_e32 v8, 0, v8, vcc_lo
	s_nor_b32 s24, s0, vcc_lo
	s_delay_alu instid0(SALU_CYCLE_1)
	s_and_saveexec_b32 s23, s24
	s_cbranch_execz .LBB21_13
; %bb.10:                               ;   in Loop: Header=BB21_9 Depth=1
	v_mbcnt_lo_u32_b32 v8, exec_lo, 0
	s_mov_b32 s24, exec_lo
	s_delay_alu instid0(VALU_DEP_1)
	v_cmpx_eq_u32_e32 0, v8
	s_cbranch_execz .LBB21_12
; %bb.11:                               ;   in Loop: Header=BB21_9 Depth=1
	v_mov_b32_e32 v8, s28
	s_wait_kmcnt 0x0
	global_atomic_min_i32 v15, v8, s[8:9] scope:SCOPE_DEV
.LBB21_12:                              ;   in Loop: Header=BB21_9 Depth=1
	s_wait_xcnt 0x0
	s_or_b32 exec_lo, exec_lo, s24
	v_mov_b64_e32 v[8:9], 1.0
.LBB21_13:                              ;   in Loop: Header=BB21_9 Depth=1
	s_or_b32 exec_lo, exec_lo, s23
	s_mov_b32 s25, -1
	s_mov_b32 s23, 0
	s_cmp_lt_i32 s5, 1
	s_mov_b32 s24, 0
                                        ; implicit-def: $vgpr10_vgpr11
	s_cbranch_scc0 .LBB21_20
; %bb.14:                               ;   in Loop: Header=BB21_9 Depth=1
	s_and_b32 vcc_lo, exec_lo, s25
	s_mov_b32 s25, 4
	s_cbranch_vccnz .LBB21_25
.LBB21_15:                              ;   in Loop: Header=BB21_9 Depth=1
	v_mov_b64_e32 v[12:13], v[4:5]
	s_and_b32 vcc_lo, exec_lo, s24
	s_cbranch_vccnz .LBB21_30
.LBB21_16:                              ;   in Loop: Header=BB21_9 Depth=1
	s_and_b32 vcc_lo, exec_lo, s23
	s_cbranch_vccnz .LBB21_37
.LBB21_17:                              ;   in Loop: Header=BB21_9 Depth=1
	s_mov_b32 s22, -1
	s_cmp_gt_i32 s25, 3
	s_mov_b32 s23, -1
	s_cbranch_scc0 .LBB21_38
.LBB21_18:                              ;   in Loop: Header=BB21_9 Depth=1
	s_and_not1_b32 vcc_lo, exec_lo, s23
	s_cbranch_vccz .LBB21_39
.LBB21_19:                              ;   in Loop: Header=BB21_9 Depth=1
	s_and_not1_b32 vcc_lo, exec_lo, s22
	s_cbranch_vccnz .LBB21_40
	s_branch .LBB21_42
.LBB21_20:                              ;   in Loop: Header=BB21_9 Depth=1
	s_cmp_eq_u32 s5, 1
	s_mov_b32 s24, -1
                                        ; implicit-def: $vgpr10_vgpr11
	s_cbranch_scc0 .LBB21_24
; %bb.21:                               ;   in Loop: Header=BB21_9 Depth=1
	v_mov_b64_e32 v[10:11], v[6:7]
	s_cmp_ge_i32 s22, s16
	s_mov_b32 s24, 0
	s_cbranch_scc0 .LBB21_24
; %bb.22:                               ;   in Loop: Header=BB21_9 Depth=1
	s_cmp_eq_u32 s22, s16
	s_mov_b32 s24, -1
                                        ; implicit-def: $vgpr10_vgpr11
	s_cbranch_scc0 .LBB21_24
; %bb.23:                               ;   in Loop: Header=BB21_9 Depth=1
	v_div_scale_f64 v[10:11], null, v[8:9], v[8:9], 1.0
	v_div_scale_f64 v[18:19], vcc_lo, 1.0, v[8:9], 1.0
	s_mov_b32 s24, 0
	v_rcp_f64_e32 v[12:13], v[10:11]
	v_nop
	s_delay_alu instid0(TRANS32_DEP_1) | instskip(NEXT) | instid1(VALU_DEP_1)
	v_fma_f64 v[16:17], -v[10:11], v[12:13], 1.0
	v_fmac_f64_e32 v[12:13], v[12:13], v[16:17]
	s_delay_alu instid0(VALU_DEP_1) | instskip(NEXT) | instid1(VALU_DEP_1)
	v_fma_f64 v[16:17], -v[10:11], v[12:13], 1.0
	v_fmac_f64_e32 v[12:13], v[12:13], v[16:17]
	s_delay_alu instid0(VALU_DEP_1) | instskip(NEXT) | instid1(VALU_DEP_1)
	v_mul_f64_e32 v[16:17], v[18:19], v[12:13]
	v_fma_f64 v[10:11], -v[10:11], v[16:17], v[18:19]
	s_delay_alu instid0(VALU_DEP_1) | instskip(NEXT) | instid1(VALU_DEP_1)
	v_div_fmas_f64 v[10:11], v[10:11], v[12:13], v[16:17]
	v_div_fixup_f64 v[10:11], v[10:11], v[8:9], 1.0
	s_delay_alu instid0(VALU_DEP_1)
	v_dual_cndmask_b32 v11, v7, v11, s1 :: v_dual_cndmask_b32 v10, v6, v10, s1
.LBB21_24:                              ;   in Loop: Header=BB21_9 Depth=1
	s_mov_b32 s25, 4
	s_branch .LBB21_15
.LBB21_25:                              ;   in Loop: Header=BB21_9 Depth=1
	s_cmp_eq_u32 s5, 0
	s_cbranch_scc1 .LBB21_27
; %bb.26:                               ;   in Loop: Header=BB21_9 Depth=1
	s_mov_b32 s24, -1
	s_branch .LBB21_29
.LBB21_27:                              ;   in Loop: Header=BB21_9 Depth=1
	s_cmp_le_i32 s22, s16
	s_mov_b32 s24, 0
	s_cbranch_scc0 .LBB21_29
; %bb.28:                               ;   in Loop: Header=BB21_9 Depth=1
	s_cmp_lg_u32 s22, s16
	s_mov_b32 s23, -1
	s_cselect_b32 s24, -1, 0
.LBB21_29:                              ;   in Loop: Header=BB21_9 Depth=1
	v_mov_b64_e32 v[10:11], v[6:7]
	s_mov_b32 s25, 2
	v_mov_b64_e32 v[12:13], v[4:5]
	s_and_b32 vcc_lo, exec_lo, s24
	s_cbranch_vccz .LBB21_16
.LBB21_30:                              ;   in Loop: Header=BB21_9 Depth=1
	s_and_saveexec_b32 s23, s3
	s_cbranch_execz .LBB21_34
; %bb.31:                               ;   in Loop: Header=BB21_9 Depth=1
	s_add_co_i32 s24, s22, s7
	s_delay_alu instid0(SALU_CYCLE_1)
	v_mov_b32_e32 v10, s24
	global_load_b32 v10, v10, s[18:19] scale_offset scope:SCOPE_DEV
	s_wait_loadcnt 0x0
	v_cmp_ne_u32_e32 vcc_lo, 0, v10
	s_cbranch_vccnz .LBB21_34
; %bb.32:                               ;   in Loop: Header=BB21_9 Depth=1
	s_ashr_i32 s25, s24, 31
	s_delay_alu instid0(SALU_CYCLE_1) | instskip(NEXT) | instid1(SALU_CYCLE_1)
	s_lshl_b64 s[24:25], s[24:25], 2
	s_add_nc_u64 s[24:25], s[18:19], s[24:25]
.LBB21_33:                              ;   Parent Loop BB21_9 Depth=1
                                        ; =>  This Inner Loop Header: Depth=2
	global_load_b32 v10, v15, s[24:25] scope:SCOPE_DEV
	s_wait_loadcnt 0x0
	v_cmp_eq_u32_e32 vcc_lo, 0, v10
	s_cbranch_vccnz .LBB21_33
.LBB21_34:                              ;   in Loop: Header=BB21_9 Depth=1
	s_wait_xcnt 0x0
	s_or_b32 exec_lo, exec_lo, s23
	v_mov_b64_e32 v[12:13], 0
	s_wait_storecnt 0x0
	s_barrier_signal -1
	s_barrier_wait -1
	global_inv scope:SCOPE_DEV
	s_and_saveexec_b32 s24, s2
	s_cbranch_execz .LBB21_36
; %bb.35:                               ;   in Loop: Header=BB21_9 Depth=1
	s_ashr_i32 s23, s22, 31
	s_delay_alu instid0(SALU_CYCLE_1) | instskip(NEXT) | instid1(SALU_CYCLE_1)
	s_mul_u64 s[22:23], s[10:11], s[22:23]
	v_lshl_add_u64 v[10:11], s[22:23], 3, v[2:3]
	global_load_b64 v[10:11], v[10:11], off
	s_wait_loadcnt 0x0
	v_fma_f64 v[12:13], -v[8:9], v[10:11], v[4:5]
.LBB21_36:                              ;   in Loop: Header=BB21_9 Depth=1
	s_or_b32 exec_lo, exec_lo, s24
	v_mov_b64_e32 v[10:11], v[6:7]
	s_mov_b32 s25, 0
	s_branch .LBB21_17
.LBB21_37:                              ;   in Loop: Header=BB21_9 Depth=1
	v_div_scale_f64 v[10:11], null, v[8:9], v[8:9], 1.0
	v_div_scale_f64 v[18:19], vcc_lo, 1.0, v[8:9], 1.0
	s_mov_b32 s25, 2
	v_rcp_f64_e32 v[12:13], v[10:11]
	v_nop
	s_delay_alu instid0(TRANS32_DEP_1) | instskip(NEXT) | instid1(VALU_DEP_1)
	v_fma_f64 v[16:17], -v[10:11], v[12:13], 1.0
	v_fmac_f64_e32 v[12:13], v[12:13], v[16:17]
	s_delay_alu instid0(VALU_DEP_1) | instskip(NEXT) | instid1(VALU_DEP_1)
	v_fma_f64 v[16:17], -v[10:11], v[12:13], 1.0
	v_fmac_f64_e32 v[12:13], v[12:13], v[16:17]
	s_delay_alu instid0(VALU_DEP_1) | instskip(NEXT) | instid1(VALU_DEP_1)
	v_mul_f64_e32 v[16:17], v[18:19], v[12:13]
	v_fma_f64 v[10:11], -v[10:11], v[16:17], v[18:19]
	s_delay_alu instid0(VALU_DEP_1) | instskip(SKIP_1) | instid1(VALU_DEP_2)
	v_div_fmas_f64 v[10:11], v[10:11], v[12:13], v[16:17]
	v_mov_b64_e32 v[12:13], v[4:5]
	v_div_fixup_f64 v[8:9], v[10:11], v[8:9], 1.0
	s_delay_alu instid0(VALU_DEP_1)
	v_dual_cndmask_b32 v11, v7, v9, s1 :: v_dual_cndmask_b32 v10, v6, v8, s1
	s_mov_b32 s22, -1
	s_cmp_gt_i32 s25, 3
	s_mov_b32 s23, -1
	s_cbranch_scc1 .LBB21_18
.LBB21_38:                              ;   in Loop: Header=BB21_9 Depth=1
	s_cmp_eq_u32 s25, 0
	s_cselect_b32 s23, -1, 0
	s_delay_alu instid0(SALU_CYCLE_1)
	s_and_not1_b32 vcc_lo, exec_lo, s23
	s_cbranch_vccnz .LBB21_19
.LBB21_39:                              ;   in Loop: Header=BB21_9 Depth=1
	s_add_co_i32 s29, s29, 1
	s_delay_alu instid0(SALU_CYCLE_1) | instskip(SKIP_1) | instid1(SALU_CYCLE_1)
	s_cmp_ge_i32 s29, s26
	s_cselect_b32 s22, -1, 0
	s_and_not1_b32 vcc_lo, exec_lo, s22
	s_cbranch_vccz .LBB21_42
.LBB21_40:                              ;   in Loop: Header=BB21_9 Depth=1
	s_delay_alu instid0(VALU_DEP_1) | instskip(SKIP_2) | instid1(SALU_CYCLE_1)
	v_mov_b64_e32 v[4:5], v[12:13]
	v_mov_b64_e32 v[6:7], v[10:11]
	s_sub_co_i32 s22, s29, s17
	s_and_b32 s22, s22, 0x3ff
	s_delay_alu instid0(SALU_CYCLE_1)
	s_cmp_lg_u32 s22, 0
	s_cbranch_scc1 .LBB21_9
	s_branch .LBB21_6
.LBB21_41:
	v_mov_b64_e32 v[12:13], v[4:5]
.LBB21_42:
	s_and_saveexec_b32 s0, s2
	s_cbranch_execz .LBB21_44
; %bb.43:
	s_delay_alu instid0(VALU_DEP_1) | instskip(SKIP_3) | instid1(VALU_DEP_2)
	v_mul_f64_e32 v[4:5], v[10:11], v[12:13]
	s_cmp_eq_u32 s6, 0
	v_lshl_add_u64 v[2:3], s[20:21], 3, v[2:3]
	s_cselect_b32 vcc_lo, -1, 0
	v_dual_cndmask_b32 v5, v13, v5 :: v_dual_cndmask_b32 v4, v12, v4
	global_store_b64 v[2:3], v[4:5], off
.LBB21_44:
	s_wait_xcnt 0x0
	s_or_b32 exec_lo, exec_lo, s0
	global_wb scope:SCOPE_DEV
	s_wait_loadcnt 0x0
	s_wait_storecnt 0x0
	global_inv scope:SCOPE_DEV
	s_wait_loadcnt 0x0
	s_barrier_signal -1
	s_barrier_wait -1
	s_mov_b32 s0, exec_lo
	v_cmpx_eq_u32_e32 0, v0
	s_cbranch_execz .LBB21_46
; %bb.45:
	s_add_co_i32 s0, s16, s7
	s_delay_alu instid0(SALU_CYCLE_1)
	v_dual_mov_b32 v0, 1 :: v_dual_mov_b32 v1, s0
	global_store_b32 v1, v0, s[18:19] scale_offset scope:SCOPE_DEV
.LBB21_46:
	s_endpgm
	.section	.rodata,"a",@progbits
	.p2align	6, 0x0
	.amdhsa_kernel _ZN9rocsparseL5csrsmILj1024ELj64ELb0EiidEEv20rocsparse_operation_T3_S2_NS_24const_host_device_scalarIT4_EEPKT2_PKS2_PKS4_PS4_lPiSA_PS2_21rocsparse_index_base_20rocsparse_fill_mode_20rocsparse_diag_type_b
		.amdhsa_group_segment_fixed_size 12288
		.amdhsa_private_segment_fixed_size 0
		.amdhsa_kernarg_size 104
		.amdhsa_user_sgpr_count 2
		.amdhsa_user_sgpr_dispatch_ptr 0
		.amdhsa_user_sgpr_queue_ptr 0
		.amdhsa_user_sgpr_kernarg_segment_ptr 1
		.amdhsa_user_sgpr_dispatch_id 0
		.amdhsa_user_sgpr_kernarg_preload_length 0
		.amdhsa_user_sgpr_kernarg_preload_offset 0
		.amdhsa_user_sgpr_private_segment_size 0
		.amdhsa_wavefront_size32 1
		.amdhsa_uses_dynamic_stack 0
		.amdhsa_enable_private_segment 0
		.amdhsa_system_sgpr_workgroup_id_x 1
		.amdhsa_system_sgpr_workgroup_id_y 0
		.amdhsa_system_sgpr_workgroup_id_z 0
		.amdhsa_system_sgpr_workgroup_info 0
		.amdhsa_system_vgpr_workitem_id 0
		.amdhsa_next_free_vgpr 20
		.amdhsa_next_free_sgpr 30
		.amdhsa_named_barrier_count 0
		.amdhsa_reserve_vcc 1
		.amdhsa_float_round_mode_32 0
		.amdhsa_float_round_mode_16_64 0
		.amdhsa_float_denorm_mode_32 3
		.amdhsa_float_denorm_mode_16_64 3
		.amdhsa_fp16_overflow 0
		.amdhsa_memory_ordered 1
		.amdhsa_forward_progress 1
		.amdhsa_inst_pref_size 14
		.amdhsa_round_robin_scheduling 0
		.amdhsa_exception_fp_ieee_invalid_op 0
		.amdhsa_exception_fp_denorm_src 0
		.amdhsa_exception_fp_ieee_div_zero 0
		.amdhsa_exception_fp_ieee_overflow 0
		.amdhsa_exception_fp_ieee_underflow 0
		.amdhsa_exception_fp_ieee_inexact 0
		.amdhsa_exception_int_div_zero 0
	.end_amdhsa_kernel
	.section	.text._ZN9rocsparseL5csrsmILj1024ELj64ELb0EiidEEv20rocsparse_operation_T3_S2_NS_24const_host_device_scalarIT4_EEPKT2_PKS2_PKS4_PS4_lPiSA_PS2_21rocsparse_index_base_20rocsparse_fill_mode_20rocsparse_diag_type_b,"axG",@progbits,_ZN9rocsparseL5csrsmILj1024ELj64ELb0EiidEEv20rocsparse_operation_T3_S2_NS_24const_host_device_scalarIT4_EEPKT2_PKS2_PKS4_PS4_lPiSA_PS2_21rocsparse_index_base_20rocsparse_fill_mode_20rocsparse_diag_type_b,comdat
.Lfunc_end21:
	.size	_ZN9rocsparseL5csrsmILj1024ELj64ELb0EiidEEv20rocsparse_operation_T3_S2_NS_24const_host_device_scalarIT4_EEPKT2_PKS2_PKS4_PS4_lPiSA_PS2_21rocsparse_index_base_20rocsparse_fill_mode_20rocsparse_diag_type_b, .Lfunc_end21-_ZN9rocsparseL5csrsmILj1024ELj64ELb0EiidEEv20rocsparse_operation_T3_S2_NS_24const_host_device_scalarIT4_EEPKT2_PKS2_PKS4_PS4_lPiSA_PS2_21rocsparse_index_base_20rocsparse_fill_mode_20rocsparse_diag_type_b
                                        ; -- End function
	.set _ZN9rocsparseL5csrsmILj1024ELj64ELb0EiidEEv20rocsparse_operation_T3_S2_NS_24const_host_device_scalarIT4_EEPKT2_PKS2_PKS4_PS4_lPiSA_PS2_21rocsparse_index_base_20rocsparse_fill_mode_20rocsparse_diag_type_b.num_vgpr, 20
	.set _ZN9rocsparseL5csrsmILj1024ELj64ELb0EiidEEv20rocsparse_operation_T3_S2_NS_24const_host_device_scalarIT4_EEPKT2_PKS2_PKS4_PS4_lPiSA_PS2_21rocsparse_index_base_20rocsparse_fill_mode_20rocsparse_diag_type_b.num_agpr, 0
	.set _ZN9rocsparseL5csrsmILj1024ELj64ELb0EiidEEv20rocsparse_operation_T3_S2_NS_24const_host_device_scalarIT4_EEPKT2_PKS2_PKS4_PS4_lPiSA_PS2_21rocsparse_index_base_20rocsparse_fill_mode_20rocsparse_diag_type_b.numbered_sgpr, 30
	.set _ZN9rocsparseL5csrsmILj1024ELj64ELb0EiidEEv20rocsparse_operation_T3_S2_NS_24const_host_device_scalarIT4_EEPKT2_PKS2_PKS4_PS4_lPiSA_PS2_21rocsparse_index_base_20rocsparse_fill_mode_20rocsparse_diag_type_b.num_named_barrier, 0
	.set _ZN9rocsparseL5csrsmILj1024ELj64ELb0EiidEEv20rocsparse_operation_T3_S2_NS_24const_host_device_scalarIT4_EEPKT2_PKS2_PKS4_PS4_lPiSA_PS2_21rocsparse_index_base_20rocsparse_fill_mode_20rocsparse_diag_type_b.private_seg_size, 0
	.set _ZN9rocsparseL5csrsmILj1024ELj64ELb0EiidEEv20rocsparse_operation_T3_S2_NS_24const_host_device_scalarIT4_EEPKT2_PKS2_PKS4_PS4_lPiSA_PS2_21rocsparse_index_base_20rocsparse_fill_mode_20rocsparse_diag_type_b.uses_vcc, 1
	.set _ZN9rocsparseL5csrsmILj1024ELj64ELb0EiidEEv20rocsparse_operation_T3_S2_NS_24const_host_device_scalarIT4_EEPKT2_PKS2_PKS4_PS4_lPiSA_PS2_21rocsparse_index_base_20rocsparse_fill_mode_20rocsparse_diag_type_b.uses_flat_scratch, 0
	.set _ZN9rocsparseL5csrsmILj1024ELj64ELb0EiidEEv20rocsparse_operation_T3_S2_NS_24const_host_device_scalarIT4_EEPKT2_PKS2_PKS4_PS4_lPiSA_PS2_21rocsparse_index_base_20rocsparse_fill_mode_20rocsparse_diag_type_b.has_dyn_sized_stack, 0
	.set _ZN9rocsparseL5csrsmILj1024ELj64ELb0EiidEEv20rocsparse_operation_T3_S2_NS_24const_host_device_scalarIT4_EEPKT2_PKS2_PKS4_PS4_lPiSA_PS2_21rocsparse_index_base_20rocsparse_fill_mode_20rocsparse_diag_type_b.has_recursion, 0
	.set _ZN9rocsparseL5csrsmILj1024ELj64ELb0EiidEEv20rocsparse_operation_T3_S2_NS_24const_host_device_scalarIT4_EEPKT2_PKS2_PKS4_PS4_lPiSA_PS2_21rocsparse_index_base_20rocsparse_fill_mode_20rocsparse_diag_type_b.has_indirect_call, 0
	.section	.AMDGPU.csdata,"",@progbits
; Kernel info:
; codeLenInByte = 1676
; TotalNumSgprs: 32
; NumVgprs: 20
; ScratchSize: 0
; MemoryBound: 0
; FloatMode: 240
; IeeeMode: 1
; LDSByteSize: 12288 bytes/workgroup (compile time only)
; SGPRBlocks: 0
; VGPRBlocks: 1
; NumSGPRsForWavesPerEU: 32
; NumVGPRsForWavesPerEU: 20
; NamedBarCnt: 0
; Occupancy: 16
; WaveLimiterHint : 1
; COMPUTE_PGM_RSRC2:SCRATCH_EN: 0
; COMPUTE_PGM_RSRC2:USER_SGPR: 2
; COMPUTE_PGM_RSRC2:TRAP_HANDLER: 0
; COMPUTE_PGM_RSRC2:TGID_X_EN: 1
; COMPUTE_PGM_RSRC2:TGID_Y_EN: 0
; COMPUTE_PGM_RSRC2:TGID_Z_EN: 0
; COMPUTE_PGM_RSRC2:TIDIG_COMP_CNT: 0
	.section	.text._ZN9rocsparseL23csrsm_solve_copy_y_to_BILj1024E21rocsparse_complex_numIfEEEvlPT0_lPKS3_,"axG",@progbits,_ZN9rocsparseL23csrsm_solve_copy_y_to_BILj1024E21rocsparse_complex_numIfEEEvlPT0_lPKS3_,comdat
	.globl	_ZN9rocsparseL23csrsm_solve_copy_y_to_BILj1024E21rocsparse_complex_numIfEEEvlPT0_lPKS3_ ; -- Begin function _ZN9rocsparseL23csrsm_solve_copy_y_to_BILj1024E21rocsparse_complex_numIfEEEvlPT0_lPKS3_
	.p2align	8
	.type	_ZN9rocsparseL23csrsm_solve_copy_y_to_BILj1024E21rocsparse_complex_numIfEEEvlPT0_lPKS3_,@function
_ZN9rocsparseL23csrsm_solve_copy_y_to_BILj1024E21rocsparse_complex_numIfEEEvlPT0_lPKS3_: ; @_ZN9rocsparseL23csrsm_solve_copy_y_to_BILj1024E21rocsparse_complex_numIfEEEvlPT0_lPKS3_
; %bb.0:
	s_load_b256 s[4:11], s[0:1], 0x0
	s_wait_xcnt 0x0
	s_bfe_u32 s0, ttmp6, 0x4000c
	s_and_b32 s1, ttmp6, 15
	s_add_co_i32 s0, s0, 1
	s_getreg_b32 s2, hwreg(HW_REG_IB_STS2, 6, 4)
	s_mul_i32 s0, ttmp9, s0
	v_mov_b32_e32 v1, 0
	s_add_co_i32 s1, s1, s0
	s_cmp_eq_u32 s2, 0
	s_cselect_b32 s0, ttmp9, s1
	s_delay_alu instid0(SALU_CYCLE_1) | instskip(SKIP_2) | instid1(VALU_DEP_1)
	v_lshl_or_b32 v0, s0, 10, v0
	s_mov_b32 s0, exec_lo
	s_wait_kmcnt 0x0
	v_cmpx_gt_u64_e64 s[4:5], v[0:1]
	s_cbranch_execz .LBB22_2
; %bb.1:
	v_lshl_add_u64 v[2:3], v[0:1], 3, s[10:11]
	v_mul_u64_e32 v[0:1], s[8:9], v[0:1]
	global_load_b64 v[2:3], v[2:3], off
	v_lshl_add_u64 v[0:1], v[0:1], 3, s[6:7]
	s_wait_loadcnt 0x0
	global_store_b64 v[0:1], v[2:3], off
.LBB22_2:
	s_endpgm
	.section	.rodata,"a",@progbits
	.p2align	6, 0x0
	.amdhsa_kernel _ZN9rocsparseL23csrsm_solve_copy_y_to_BILj1024E21rocsparse_complex_numIfEEEvlPT0_lPKS3_
		.amdhsa_group_segment_fixed_size 0
		.amdhsa_private_segment_fixed_size 0
		.amdhsa_kernarg_size 32
		.amdhsa_user_sgpr_count 2
		.amdhsa_user_sgpr_dispatch_ptr 0
		.amdhsa_user_sgpr_queue_ptr 0
		.amdhsa_user_sgpr_kernarg_segment_ptr 1
		.amdhsa_user_sgpr_dispatch_id 0
		.amdhsa_user_sgpr_kernarg_preload_length 0
		.amdhsa_user_sgpr_kernarg_preload_offset 0
		.amdhsa_user_sgpr_private_segment_size 0
		.amdhsa_wavefront_size32 1
		.amdhsa_uses_dynamic_stack 0
		.amdhsa_enable_private_segment 0
		.amdhsa_system_sgpr_workgroup_id_x 1
		.amdhsa_system_sgpr_workgroup_id_y 0
		.amdhsa_system_sgpr_workgroup_id_z 0
		.amdhsa_system_sgpr_workgroup_info 0
		.amdhsa_system_vgpr_workitem_id 0
		.amdhsa_next_free_vgpr 4
		.amdhsa_next_free_sgpr 12
		.amdhsa_named_barrier_count 0
		.amdhsa_reserve_vcc 0
		.amdhsa_float_round_mode_32 0
		.amdhsa_float_round_mode_16_64 0
		.amdhsa_float_denorm_mode_32 3
		.amdhsa_float_denorm_mode_16_64 3
		.amdhsa_fp16_overflow 0
		.amdhsa_memory_ordered 1
		.amdhsa_forward_progress 1
		.amdhsa_inst_pref_size 2
		.amdhsa_round_robin_scheduling 0
		.amdhsa_exception_fp_ieee_invalid_op 0
		.amdhsa_exception_fp_denorm_src 0
		.amdhsa_exception_fp_ieee_div_zero 0
		.amdhsa_exception_fp_ieee_overflow 0
		.amdhsa_exception_fp_ieee_underflow 0
		.amdhsa_exception_fp_ieee_inexact 0
		.amdhsa_exception_int_div_zero 0
	.end_amdhsa_kernel
	.section	.text._ZN9rocsparseL23csrsm_solve_copy_y_to_BILj1024E21rocsparse_complex_numIfEEEvlPT0_lPKS3_,"axG",@progbits,_ZN9rocsparseL23csrsm_solve_copy_y_to_BILj1024E21rocsparse_complex_numIfEEEvlPT0_lPKS3_,comdat
.Lfunc_end22:
	.size	_ZN9rocsparseL23csrsm_solve_copy_y_to_BILj1024E21rocsparse_complex_numIfEEEvlPT0_lPKS3_, .Lfunc_end22-_ZN9rocsparseL23csrsm_solve_copy_y_to_BILj1024E21rocsparse_complex_numIfEEEvlPT0_lPKS3_
                                        ; -- End function
	.set _ZN9rocsparseL23csrsm_solve_copy_y_to_BILj1024E21rocsparse_complex_numIfEEEvlPT0_lPKS3_.num_vgpr, 4
	.set _ZN9rocsparseL23csrsm_solve_copy_y_to_BILj1024E21rocsparse_complex_numIfEEEvlPT0_lPKS3_.num_agpr, 0
	.set _ZN9rocsparseL23csrsm_solve_copy_y_to_BILj1024E21rocsparse_complex_numIfEEEvlPT0_lPKS3_.numbered_sgpr, 12
	.set _ZN9rocsparseL23csrsm_solve_copy_y_to_BILj1024E21rocsparse_complex_numIfEEEvlPT0_lPKS3_.num_named_barrier, 0
	.set _ZN9rocsparseL23csrsm_solve_copy_y_to_BILj1024E21rocsparse_complex_numIfEEEvlPT0_lPKS3_.private_seg_size, 0
	.set _ZN9rocsparseL23csrsm_solve_copy_y_to_BILj1024E21rocsparse_complex_numIfEEEvlPT0_lPKS3_.uses_vcc, 0
	.set _ZN9rocsparseL23csrsm_solve_copy_y_to_BILj1024E21rocsparse_complex_numIfEEEvlPT0_lPKS3_.uses_flat_scratch, 0
	.set _ZN9rocsparseL23csrsm_solve_copy_y_to_BILj1024E21rocsparse_complex_numIfEEEvlPT0_lPKS3_.has_dyn_sized_stack, 0
	.set _ZN9rocsparseL23csrsm_solve_copy_y_to_BILj1024E21rocsparse_complex_numIfEEEvlPT0_lPKS3_.has_recursion, 0
	.set _ZN9rocsparseL23csrsm_solve_copy_y_to_BILj1024E21rocsparse_complex_numIfEEEvlPT0_lPKS3_.has_indirect_call, 0
	.section	.AMDGPU.csdata,"",@progbits
; Kernel info:
; codeLenInByte = 136
; TotalNumSgprs: 12
; NumVgprs: 4
; ScratchSize: 0
; MemoryBound: 0
; FloatMode: 240
; IeeeMode: 1
; LDSByteSize: 0 bytes/workgroup (compile time only)
; SGPRBlocks: 0
; VGPRBlocks: 0
; NumSGPRsForWavesPerEU: 12
; NumVGPRsForWavesPerEU: 4
; NamedBarCnt: 0
; Occupancy: 16
; WaveLimiterHint : 0
; COMPUTE_PGM_RSRC2:SCRATCH_EN: 0
; COMPUTE_PGM_RSRC2:USER_SGPR: 2
; COMPUTE_PGM_RSRC2:TRAP_HANDLER: 0
; COMPUTE_PGM_RSRC2:TGID_X_EN: 1
; COMPUTE_PGM_RSRC2:TGID_Y_EN: 0
; COMPUTE_PGM_RSRC2:TGID_Z_EN: 0
; COMPUTE_PGM_RSRC2:TIDIG_COMP_CNT: 0
	.section	.text._ZN9rocsparseL5csrsmILj64ELj64ELb1Eii21rocsparse_complex_numIfEEEv20rocsparse_operation_T3_S4_NS_24const_host_device_scalarIT4_EEPKT2_PKS4_PKS6_PS6_lPiSC_PS4_21rocsparse_index_base_20rocsparse_fill_mode_20rocsparse_diag_type_b,"axG",@progbits,_ZN9rocsparseL5csrsmILj64ELj64ELb1Eii21rocsparse_complex_numIfEEEv20rocsparse_operation_T3_S4_NS_24const_host_device_scalarIT4_EEPKT2_PKS4_PKS6_PS6_lPiSC_PS4_21rocsparse_index_base_20rocsparse_fill_mode_20rocsparse_diag_type_b,comdat
	.globl	_ZN9rocsparseL5csrsmILj64ELj64ELb1Eii21rocsparse_complex_numIfEEEv20rocsparse_operation_T3_S4_NS_24const_host_device_scalarIT4_EEPKT2_PKS4_PKS6_PS6_lPiSC_PS4_21rocsparse_index_base_20rocsparse_fill_mode_20rocsparse_diag_type_b ; -- Begin function _ZN9rocsparseL5csrsmILj64ELj64ELb1Eii21rocsparse_complex_numIfEEEv20rocsparse_operation_T3_S4_NS_24const_host_device_scalarIT4_EEPKT2_PKS4_PKS6_PS6_lPiSC_PS4_21rocsparse_index_base_20rocsparse_fill_mode_20rocsparse_diag_type_b
	.p2align	8
	.type	_ZN9rocsparseL5csrsmILj64ELj64ELb1Eii21rocsparse_complex_numIfEEEv20rocsparse_operation_T3_S4_NS_24const_host_device_scalarIT4_EEPKT2_PKS4_PKS6_PS6_lPiSC_PS4_21rocsparse_index_base_20rocsparse_fill_mode_20rocsparse_diag_type_b,@function
_ZN9rocsparseL5csrsmILj64ELj64ELb1Eii21rocsparse_complex_numIfEEEv20rocsparse_operation_T3_S4_NS_24const_host_device_scalarIT4_EEPKT2_PKS4_PKS6_PS6_lPiSC_PS4_21rocsparse_index_base_20rocsparse_fill_mode_20rocsparse_diag_type_b: ; @_ZN9rocsparseL5csrsmILj64ELj64ELb1Eii21rocsparse_complex_numIfEEEv20rocsparse_operation_T3_S4_NS_24const_host_device_scalarIT4_EEPKT2_PKS4_PKS6_PS6_lPiSC_PS4_21rocsparse_index_base_20rocsparse_fill_mode_20rocsparse_diag_type_b
; %bb.0:
	s_clause 0x1
	s_load_b128 s[4:7], s[0:1], 0x58
	s_load_b64 s[2:3], s[0:1], 0x10
	s_wait_kmcnt 0x0
	s_bitcmp1_b32 s7, 0
	s_mov_b32 s15, s2
	s_cselect_b32 s8, -1, 0
	s_delay_alu instid0(SALU_CYCLE_1)
	s_xor_b32 s7, s8, -1
	s_and_b32 vcc_lo, exec_lo, s8
	s_cbranch_vccnz .LBB23_2
; %bb.1:
	s_load_b32 s15, s[2:3], 0x0
.LBB23_2:
	s_clause 0x1
	s_load_b64 s[18:19], s[0:1], 0x18
	s_load_b64 s[8:9], s[0:1], 0x48
	s_and_not1_b32 vcc_lo, exec_lo, s7
	s_cbranch_vccnz .LBB23_4
; %bb.3:
	s_wait_xcnt 0x0
	s_load_b32 s3, s[2:3], 0x4
.LBB23_4:
	s_nop 0
	s_load_b96 s[12:14], s[0:1], 0x0
	s_bfe_u32 s10, ttmp6, 0x4000c
	s_and_b32 s7, ttmp6, 15
	s_add_co_i32 s10, s10, 1
	s_getreg_b32 s16, hwreg(HW_REG_IB_STS2, 6, 4)
	s_mul_i32 s10, ttmp9, s10
	s_delay_alu instid0(SALU_CYCLE_1) | instskip(SKIP_3) | instid1(SALU_CYCLE_2)
	s_add_co_i32 s7, s7, s10
	s_wait_kmcnt 0x0
	s_cvt_f32_u32 s2, s13
	s_sub_co_i32 s11, 0, s13
	v_rcp_iflag_f32_e32 v1, s2
	v_nop
	s_delay_alu instid0(TRANS32_DEP_1) | instskip(SKIP_1) | instid1(SALU_CYCLE_3)
	v_readfirstlane_b32 s2, v1
	s_mul_f32 s2, s2, 0x4f7ffffe
	s_cvt_u32_f32 s2, s2
	s_delay_alu instid0(SALU_CYCLE_3) | instskip(NEXT) | instid1(SALU_CYCLE_1)
	s_mul_i32 s11, s11, s2
	s_mul_hi_u32 s11, s2, s11
	s_delay_alu instid0(SALU_CYCLE_1) | instskip(SKIP_2) | instid1(SALU_CYCLE_1)
	s_add_co_i32 s2, s2, s11
	s_cmp_eq_u32 s16, 0
	s_cselect_b32 s10, ttmp9, s7
	s_mul_hi_u32 s2, s10, s2
	s_delay_alu instid0(SALU_CYCLE_1) | instskip(SKIP_2) | instid1(SALU_CYCLE_1)
	s_mul_i32 s7, s2, s13
	s_add_co_i32 s11, s2, 1
	s_sub_co_i32 s7, s10, s7
	s_sub_co_i32 s16, s7, s13
	s_cmp_ge_u32 s7, s13
	s_cselect_b32 s2, s11, s2
	s_cselect_b32 s7, s16, s7
	s_add_co_i32 s11, s2, 1
	s_cmp_ge_u32 s7, s13
	s_cselect_b32 s2, s11, s2
	s_delay_alu instid0(SALU_CYCLE_1) | instskip(SKIP_2) | instid1(SALU_CYCLE_1)
	s_mul_i32 s7, s2, s13
	v_lshl_or_b32 v2, s2, 6, v0
	s_sub_co_i32 s10, s10, s7
	s_ashr_i32 s11, s10, 31
	s_delay_alu instid0(VALU_DEP_1)
	v_ashrrev_i32_e32 v3, 31, v2
	s_lshl_b64 s[10:11], s[10:11], 2
	v_cmp_gt_i32_e64 s2, s14, v2
	s_add_nc_u64 s[20:21], s[8:9], s[10:11]
	s_load_b32 s16, s[20:21], 0x0
	s_load_b128 s[8:11], s[0:1], 0x30
	s_wait_kmcnt 0x0
	s_ashr_i32 s17, s16, 31
	s_delay_alu instid0(SALU_CYCLE_1)
	s_lshl_b64 s[20:21], s[16:17], 2
	s_cmp_lg_u32 s12, 0x71
	s_add_nc_u64 s[18:19], s[18:19], s[20:21]
	s_load_b64 s[22:23], s[18:19], 0x0
	s_wait_xcnt 0x0
	s_mul_u64 s[18:19], s[10:11], s[16:17]
	s_delay_alu instid0(SALU_CYCLE_1)
	v_add_nc_u64_e32 v[6:7], s[18:19], v[2:3]
	s_cbranch_scc0 .LBB23_8
; %bb.5:
	v_mov_b64_e32 v[4:5], 0
	s_and_saveexec_b32 s12, s2
	s_cbranch_execz .LBB23_7
; %bb.6:
	s_delay_alu instid0(VALU_DEP_2) | instskip(SKIP_1) | instid1(SALU_CYCLE_1)
	v_lshl_add_u64 v[4:5], v[6:7], 3, s[8:9]
	s_xor_b32 s13, s3, 0x80000000
	v_dual_mov_b32 v9, s15 :: v_dual_mov_b32 v11, s13
	v_dual_mov_b32 v10, s15 :: v_dual_mov_b32 v8, s3
	global_load_b64 v[4:5], v[4:5], off
	s_wait_loadcnt 0x0
	v_pk_mul_f32 v[10:11], v[4:5], v[10:11] op_sel:[1,0]
	s_delay_alu instid0(VALU_DEP_1)
	v_pk_fma_f32 v[4:5], v[8:9], v[4:5], v[10:11] op_sel_hi:[1,0,1]
.LBB23_7:
	s_or_b32 exec_lo, exec_lo, s12
	s_load_b64 s[20:21], s[0:1], 0x40
	s_cbranch_execz .LBB23_9
	s_branch .LBB23_12
.LBB23_8:
                                        ; implicit-def: $vgpr4_vgpr5
	s_load_b64 s[20:21], s[0:1], 0x40
.LBB23_9:
	v_mov_b64_e32 v[4:5], 0
	s_and_saveexec_b32 s12, s2
	s_cbranch_execz .LBB23_11
; %bb.10:
	s_delay_alu instid0(VALU_DEP_2) | instskip(SKIP_1) | instid1(SALU_CYCLE_1)
	v_lshl_add_u64 v[4:5], v[6:7], 3, s[8:9]
	s_mov_b32 s14, s3
	v_mov_b64_e32 v[6:7], s[14:15]
	global_load_b64 v[4:5], v[4:5], off
	s_wait_loadcnt 0x0
	v_pk_mul_f32 v[8:9], v[4:5], v[6:7] op_sel:[1,0] neg_hi:[1,0]
	s_delay_alu instid0(VALU_DEP_1)
	v_pk_fma_f32 v[4:5], v[6:7], v[4:5], v[8:9] op_sel:[0,0,1] op_sel_hi:[1,0,0]
.LBB23_11:
	s_or_b32 exec_lo, exec_lo, s12
.LBB23_12:
	s_delay_alu instid0(VALU_DEP_1) | instskip(SKIP_1) | instid1(VALU_DEP_3)
	v_dual_mov_b32 v7, 1.0 :: v_dual_mov_b32 v6, v4
	v_lshl_add_u64 v[2:3], v[2:3], 3, s[8:9]
	v_dual_mov_b32 v9, v5 :: v_dual_mov_b32 v14, 0
	s_delay_alu instid0(VALU_DEP_3)
	v_mov_b32_e32 v8, v7
	v_cmp_eq_u32_e64 s3, 0, v0
	s_wait_kmcnt 0x0
	s_cmp_ge_i32 s22, s23
	s_cbranch_scc1 .LBB23_55
; %bb.13:
	s_clause 0x1
	s_load_b64 s[8:9], s[0:1], 0x50
	s_load_b128 s[12:15], s[0:1], 0x20
	s_sub_co_i32 s17, s22, s4
	s_sub_co_i32 s24, s23, s4
	v_lshl_or_b32 v1, v0, 2, 0x200
	v_dual_mov_b32 v4, 0 :: v_dual_lshlrev_b32 v15, 3, v0
	v_mov_b32_e32 v16, 0
	s_cmp_eq_u32 s6, 0
	s_mov_b32 s27, s17
	s_cselect_b32 s25, -1, 0
	s_add_co_i32 s26, s16, s4
	s_wait_xcnt 0x0
	s_sub_co_i32 s0, s27, s17
	s_delay_alu instid0(SALU_CYCLE_1) | instskip(NEXT) | instid1(SALU_CYCLE_1)
	s_and_b32 s0, s0, 63
	s_cmp_lg_u32 s0, 0
	s_cbranch_scc1 .LBB23_17
.LBB23_14:
	s_sub_co_i32 s1, s24, s27
	v_dual_mov_b32 v11, 0 :: v_dual_mov_b32 v10, -1.0
	v_cmp_gt_u32_e32 vcc_lo, s1, v0
	v_mov_b32_e32 v5, -1
	s_and_saveexec_b32 s1, vcc_lo
	s_cbranch_execz .LBB23_16
; %bb.15:
	v_add_nc_u32_e32 v5, s27, v0
	s_wait_kmcnt 0x0
	s_clause 0x1
	global_load_b32 v12, v5, s[12:13] scale_offset
	global_load_b64 v[10:11], v5, s[14:15] scale_offset
	s_wait_loadcnt 0x1
	s_wait_xcnt 0x0
	v_subrev_nc_u32_e32 v5, s4, v12
.LBB23_16:
	s_or_b32 exec_lo, exec_lo, s1
	ds_store_b32 v1, v5
	s_wait_loadcnt 0x0
	ds_store_b64 v15, v[10:11]
.LBB23_17:                              ; =>This Loop Header: Depth=1
                                        ;     Child Loop BB23_53 Depth 2
                                        ;       Child Loop BB23_54 Depth 3
	s_lshl_b32 s1, s0, 3
	s_wait_dscnt 0x0
	v_mov_b32_e32 v5, s1
	s_barrier_signal -1
	s_barrier_wait -1
	s_lshl_b32 s0, s0, 2
	ds_load_b64 v[10:11], v5
	v_mov_b32_e32 v5, s0
	ds_load_b32 v5, v5 offset:512
	s_wait_dscnt 0x1
	v_readfirstlane_b32 s1, v10
	v_readfirstlane_b32 s23, v11
	s_cmp_eq_f32 s1, 0
	s_wait_dscnt 0x0
	v_readfirstlane_b32 s0, v5
	s_cselect_b32 s22, -1, 0
	s_cmp_eq_f32 s23, 0
	s_cselect_b32 s28, -1, 0
	s_delay_alu instid0(SALU_CYCLE_1)
	s_and_b32 s29, s22, s28
	s_cmp_eq_u32 s0, s16
	s_cselect_b32 s28, -1, 0
	s_cmp_lg_u32 s0, s16
	s_cselect_b32 s22, -1, 0
	s_and_b32 s29, s29, s28
	s_delay_alu instid0(SALU_CYCLE_1) | instskip(NEXT) | instid1(SALU_CYCLE_1)
	s_and_b32 s29, s25, s29
	s_and_b32 s30, s3, s29
	s_and_b32 s29, s29, exec_lo
	s_cselect_b32 s23, 0, s23
	s_cselect_b32 s1, 1.0, s1
	s_delay_alu instid0(SALU_CYCLE_1)
	v_dual_mov_b32 v17, s23 :: v_dual_mov_b32 v18, s1
	s_and_saveexec_b32 s1, s30
	s_cbranch_execz .LBB23_21
; %bb.18:                               ;   in Loop: Header=BB23_17 Depth=1
	v_mbcnt_lo_u32_b32 v5, exec_lo, 0
	s_mov_b32 s23, exec_lo
	s_delay_alu instid0(VALU_DEP_1)
	v_cmpx_eq_u32_e32 0, v5
	s_cbranch_execz .LBB23_20
; %bb.19:                               ;   in Loop: Header=BB23_17 Depth=1
	v_mov_b32_e32 v5, s26
	s_wait_kmcnt 0x0
	global_atomic_min_i32 v4, v5, s[8:9] scope:SCOPE_DEV
.LBB23_20:                              ;   in Loop: Header=BB23_17 Depth=1
	s_wait_xcnt 0x0
	s_or_b32 exec_lo, exec_lo, s23
	v_dual_mov_b32 v18, 1.0 :: v_dual_mov_b32 v17, 0
.LBB23_21:                              ;   in Loop: Header=BB23_17 Depth=1
	s_or_b32 exec_lo, exec_lo, s1
	s_mov_b32 s29, -1
	s_mov_b32 s1, 0
	s_cmp_lt_i32 s5, 1
	s_mov_b32 s23, 0
                                        ; implicit-def: $vgpr10_vgpr11
                                        ; implicit-def: $vgpr12_vgpr13
                                        ; implicit-def: $vgpr14
	s_cbranch_scc0 .LBB23_28
; %bb.22:                               ;   in Loop: Header=BB23_17 Depth=1
	s_and_b32 vcc_lo, exec_lo, s29
	s_mov_b32 s28, 4
	s_cbranch_vccnz .LBB23_35
.LBB23_23:                              ;   in Loop: Header=BB23_17 Depth=1
	s_and_b32 vcc_lo, exec_lo, s23
	s_cbranch_vccnz .LBB23_40
.LBB23_24:                              ;   in Loop: Header=BB23_17 Depth=1
	s_and_b32 vcc_lo, exec_lo, s1
	s_cbranch_vccnz .LBB23_45
.LBB23_25:                              ;   in Loop: Header=BB23_17 Depth=1
	s_mov_b32 s0, -1
	s_cmp_gt_i32 s28, 3
	s_mov_b32 s1, -1
	s_cbranch_scc0 .LBB23_48
.LBB23_26:                              ;   in Loop: Header=BB23_17 Depth=1
	s_and_not1_b32 vcc_lo, exec_lo, s1
	s_cbranch_vccz .LBB23_49
.LBB23_27:                              ;   in Loop: Header=BB23_17 Depth=1
	s_and_not1_b32 vcc_lo, exec_lo, s0
	s_cbranch_vccnz .LBB23_50
	s_branch .LBB23_56
.LBB23_28:                              ;   in Loop: Header=BB23_17 Depth=1
	s_cmp_eq_u32 s5, 1
	s_mov_b32 s23, -1
                                        ; implicit-def: $vgpr10_vgpr11
                                        ; implicit-def: $vgpr12_vgpr13
                                        ; implicit-def: $vgpr14
	s_cbranch_scc0 .LBB23_34
; %bb.29:                               ;   in Loop: Header=BB23_17 Depth=1
	v_mov_b64_e32 v[10:11], v[8:9]
	v_mov_b64_e32 v[12:13], v[6:7]
	v_mov_b32_e32 v14, v16
	s_cmp_ge_i32 s0, s16
	s_mov_b32 s23, 0
	s_cbranch_scc0 .LBB23_34
; %bb.30:                               ;   in Loop: Header=BB23_17 Depth=1
	s_and_b32 vcc_lo, exec_lo, s28
	s_mov_b32 s23, -1
                                        ; implicit-def: $vgpr10_vgpr11
                                        ; implicit-def: $vgpr12_vgpr13
                                        ; implicit-def: $vgpr14
	s_cbranch_vccz .LBB23_34
; %bb.31:                               ;   in Loop: Header=BB23_17 Depth=1
	v_mov_b64_e32 v[10:11], v[8:9]
	v_mov_b64_e32 v[12:13], v[6:7]
	v_mov_b32_e32 v14, v16
	s_and_not1_b32 vcc_lo, exec_lo, s25
	s_cbranch_vccnz .LBB23_33
; %bb.32:                               ;   in Loop: Header=BB23_17 Depth=1
	v_mul_f32_e32 v5, v17, v17
	s_delay_alu instid0(VALU_DEP_1) | instskip(NEXT) | instid1(VALU_DEP_1)
	v_fmac_f32_e32 v5, v18, v18
	v_div_scale_f32 v10, null, v5, v5, 1.0
	v_div_scale_f32 v13, vcc_lo, 1.0, v5, 1.0
	s_delay_alu instid0(VALU_DEP_2) | instskip(SKIP_1) | instid1(TRANS32_DEP_1)
	v_rcp_f32_e32 v11, v10
	v_nop
	v_fma_f32 v12, -v10, v11, 1.0
	s_delay_alu instid0(VALU_DEP_1) | instskip(NEXT) | instid1(VALU_DEP_1)
	v_fmac_f32_e32 v11, v12, v11
	v_mul_f32_e32 v12, v13, v11
	s_delay_alu instid0(VALU_DEP_1) | instskip(NEXT) | instid1(VALU_DEP_1)
	v_fma_f32 v14, -v10, v12, v13
	v_fmac_f32_e32 v12, v14, v11
	s_delay_alu instid0(VALU_DEP_1) | instskip(NEXT) | instid1(VALU_DEP_1)
	v_fma_f32 v10, -v10, v12, v13
	v_div_fmas_f32 v10, v10, v11, v12
	v_dual_fma_f32 v11, 0, v17, v18 :: v_dual_mov_b32 v12, v6
	s_delay_alu instid0(VALU_DEP_2) | instskip(SKIP_1) | instid1(VALU_DEP_1)
	v_div_fixup_f32 v5, v10, v5, 1.0
	v_fma_f32 v10, v18, 0, -v17
	v_dual_mul_f32 v13, v11, v5 :: v_dual_mul_f32 v14, v10, v5
	s_delay_alu instid0(VALU_DEP_1)
	v_dual_mov_b32 v11, v9 :: v_dual_mov_b32 v10, v13
.LBB23_33:                              ;   in Loop: Header=BB23_17 Depth=1
	s_mov_b32 s23, 0
.LBB23_34:                              ;   in Loop: Header=BB23_17 Depth=1
	s_mov_b32 s28, 4
	s_branch .LBB23_23
.LBB23_35:                              ;   in Loop: Header=BB23_17 Depth=1
	s_cmp_eq_u32 s5, 0
	s_cbranch_scc1 .LBB23_37
; %bb.36:                               ;   in Loop: Header=BB23_17 Depth=1
	s_mov_b32 s23, -1
	s_branch .LBB23_39
.LBB23_37:                              ;   in Loop: Header=BB23_17 Depth=1
	s_cmp_le_i32 s0, s16
	s_mov_b32 s23, 0
	s_cbranch_scc0 .LBB23_39
; %bb.38:                               ;   in Loop: Header=BB23_17 Depth=1
	s_mov_b32 s1, -1
	s_mov_b32 s23, s22
.LBB23_39:                              ;   in Loop: Header=BB23_17 Depth=1
	v_mov_b64_e32 v[10:11], v[8:9]
	v_mov_b64_e32 v[12:13], v[6:7]
	v_mov_b32_e32 v14, v16
	s_mov_b32 s28, 2
	s_and_b32 vcc_lo, exec_lo, s23
	s_cbranch_vccz .LBB23_24
.LBB23_40:                              ;   in Loop: Header=BB23_17 Depth=1
	s_and_saveexec_b32 s1, s3
	s_cbranch_execz .LBB23_42
; %bb.41:                               ;   in Loop: Header=BB23_17 Depth=1
	s_add_co_i32 s22, s0, s7
	s_delay_alu instid0(SALU_CYCLE_1)
	v_mov_b32_e32 v5, s22
	global_load_b32 v5, v5, s[20:21] scale_offset scope:SCOPE_DEV
	s_wait_loadcnt 0x0
	v_cmp_ne_u32_e32 vcc_lo, 0, v5
	s_cbranch_vccz .LBB23_51
.LBB23_42:                              ;   in Loop: Header=BB23_17 Depth=1
	s_wait_xcnt 0x0
	s_or_b32 exec_lo, exec_lo, s1
	v_dual_mov_b32 v5, v7 :: v_dual_mov_b32 v10, v7
	v_mov_b32_e32 v11, v4
	s_wait_storecnt 0x0
	s_barrier_signal -1
	s_delay_alu instid0(VALU_DEP_2)
	v_mov_b64_e32 v[12:13], v[4:5]
	s_barrier_wait -1
	global_inv scope:SCOPE_DEV
	s_and_saveexec_b32 s22, s2
	s_cbranch_execz .LBB23_44
; %bb.43:                               ;   in Loop: Header=BB23_17 Depth=1
	s_ashr_i32 s1, s0, 31
	s_delay_alu instid0(SALU_CYCLE_1) | instskip(NEXT) | instid1(SALU_CYCLE_1)
	s_mul_u64 s[0:1], s[10:11], s[0:1]
	v_lshl_add_u64 v[10:11], s[0:1], 3, v[2:3]
	global_load_b64 v[20:21], v[10:11], off
	s_wait_loadcnt 0x0
	v_dual_mov_b32 v10, v7 :: v_dual_fma_f32 v11, -v18, v20, v9
	v_dual_fma_f32 v5, -v17, v20, v6 :: v_dual_mov_b32 v13, v7
	s_delay_alu instid0(VALU_DEP_1)
	v_dual_fmac_f32 v11, v17, v21 :: v_dual_fma_f32 v12, -v18, v21, v5
.LBB23_44:                              ;   in Loop: Header=BB23_17 Depth=1
	s_or_b32 exec_lo, exec_lo, s22
	v_mov_b32_e32 v14, v16
	s_mov_b32 s28, 0
	s_branch .LBB23_25
.LBB23_45:                              ;   in Loop: Header=BB23_17 Depth=1
	s_and_not1_b32 vcc_lo, exec_lo, s25
	s_cbranch_vccnz .LBB23_47
; %bb.46:                               ;   in Loop: Header=BB23_17 Depth=1
	v_mul_f32_e32 v5, v17, v17
	s_delay_alu instid0(VALU_DEP_1) | instskip(NEXT) | instid1(VALU_DEP_1)
	v_fmac_f32_e32 v5, v18, v18
	v_div_scale_f32 v7, null, v5, v5, 1.0
	v_div_scale_f32 v11, vcc_lo, 1.0, v5, 1.0
	s_delay_alu instid0(VALU_DEP_2) | instskip(SKIP_1) | instid1(TRANS32_DEP_1)
	v_rcp_f32_e32 v8, v7
	v_nop
	v_fma_f32 v10, -v7, v8, 1.0
	s_delay_alu instid0(VALU_DEP_1) | instskip(NEXT) | instid1(VALU_DEP_1)
	v_fmac_f32_e32 v8, v10, v8
	v_mul_f32_e32 v10, v11, v8
	s_delay_alu instid0(VALU_DEP_1) | instskip(NEXT) | instid1(VALU_DEP_1)
	v_fma_f32 v12, -v7, v10, v11
	v_fmac_f32_e32 v10, v12, v8
	s_delay_alu instid0(VALU_DEP_1) | instskip(NEXT) | instid1(VALU_DEP_1)
	v_fma_f32 v7, -v7, v10, v11
	v_div_fmas_f32 v7, v7, v8, v10
	v_fma_f32 v8, v18, 0, -v17
	s_delay_alu instid0(VALU_DEP_2) | instskip(SKIP_1) | instid1(VALU_DEP_1)
	v_div_fixup_f32 v5, v7, v5, 1.0
	v_fma_f32 v7, 0, v17, v18
	v_dual_mul_f32 v7, v7, v5 :: v_dual_mul_f32 v16, v8, v5
	s_delay_alu instid0(VALU_DEP_1)
	v_mov_b32_e32 v8, v7
.LBB23_47:                              ;   in Loop: Header=BB23_17 Depth=1
	v_mov_b64_e32 v[12:13], v[6:7]
	s_delay_alu instid0(VALU_DEP_2) | instskip(NEXT) | instid1(VALU_DEP_4)
	v_mov_b64_e32 v[10:11], v[8:9]
	v_mov_b32_e32 v14, v16
	s_mov_b32 s28, 2
	s_mov_b32 s0, -1
	s_cmp_gt_i32 s28, 3
	s_mov_b32 s1, -1
	s_cbranch_scc1 .LBB23_26
.LBB23_48:                              ;   in Loop: Header=BB23_17 Depth=1
	s_cmp_eq_u32 s28, 0
	s_cselect_b32 s1, -1, 0
	s_delay_alu instid0(SALU_CYCLE_1)
	s_and_not1_b32 vcc_lo, exec_lo, s1
	s_cbranch_vccnz .LBB23_27
.LBB23_49:                              ;   in Loop: Header=BB23_17 Depth=1
	s_add_co_i32 s27, s27, 1
	s_delay_alu instid0(SALU_CYCLE_1) | instskip(SKIP_1) | instid1(SALU_CYCLE_1)
	s_cmp_ge_i32 s27, s24
	s_cselect_b32 s0, -1, 0
	s_and_not1_b32 vcc_lo, exec_lo, s0
	s_cbranch_vccz .LBB23_56
.LBB23_50:                              ;   in Loop: Header=BB23_17 Depth=1
	v_mov_b32_e32 v16, v14
	v_mov_b64_e32 v[6:7], v[12:13]
	v_mov_b64_e32 v[8:9], v[10:11]
	s_sub_co_i32 s0, s27, s17
	s_delay_alu instid0(SALU_CYCLE_1) | instskip(NEXT) | instid1(SALU_CYCLE_1)
	s_and_b32 s0, s0, 63
	s_cmp_lg_u32 s0, 0
	s_cbranch_scc1 .LBB23_17
	s_branch .LBB23_14
.LBB23_51:                              ;   in Loop: Header=BB23_17 Depth=1
	s_ashr_i32 s23, s22, 31
	s_mov_b32 s28, 0
	s_lshl_b64 s[22:23], s[22:23], 2
	s_delay_alu instid0(SALU_CYCLE_1)
	s_add_nc_u64 s[22:23], s[20:21], s[22:23]
	s_branch .LBB23_53
.LBB23_52:                              ;   in Loop: Header=BB23_53 Depth=2
	global_load_b32 v5, v4, s[22:23] scope:SCOPE_DEV
	s_cmp_lt_u32 s28, 0xf43
	s_cselect_b32 s29, -1, 0
	s_delay_alu instid0(SALU_CYCLE_1)
	s_cmp_lg_u32 s29, 0
	s_add_co_ci_u32 s28, s28, 0
	s_wait_loadcnt 0x0
	v_cmp_ne_u32_e32 vcc_lo, 0, v5
	s_cbranch_vccnz .LBB23_42
.LBB23_53:                              ;   Parent Loop BB23_17 Depth=1
                                        ; =>  This Loop Header: Depth=2
                                        ;       Child Loop BB23_54 Depth 3
	s_cmp_eq_u32 s28, 0
	s_mov_b32 s29, s28
	s_cbranch_scc1 .LBB23_52
.LBB23_54:                              ;   Parent Loop BB23_17 Depth=1
                                        ;     Parent Loop BB23_53 Depth=2
                                        ; =>    This Inner Loop Header: Depth=3
	s_add_co_i32 s29, s29, -1
	s_sleep 1
	s_cmp_eq_u32 s29, 0
	s_cbranch_scc0 .LBB23_54
	s_branch .LBB23_52
.LBB23_55:
	v_mov_b64_e32 v[10:11], v[8:9]
	v_mov_b64_e32 v[12:13], v[6:7]
	s_and_saveexec_b32 s0, s2
	s_cbranch_execnz .LBB23_57
	s_branch .LBB23_58
.LBB23_56:
	v_dual_mov_b32 v4, v12 :: v_dual_mov_b32 v5, v11
	s_and_saveexec_b32 s0, s2
	s_cbranch_execz .LBB23_58
.LBB23_57:
	s_cmp_eq_u32 s6, 0
	s_delay_alu instid0(VALU_DEP_1) | instskip(SKIP_3) | instid1(VALU_DEP_2)
	v_xor_b32_e32 v7, 0x80000000, v12
	s_cselect_b32 vcc_lo, -1, 0
	v_mov_b32_e32 v6, v11
	v_lshl_add_u64 v[2:3], s[18:19], 3, v[2:3]
	v_pk_mul_f32 v[6:7], v[14:15], v[6:7] op_sel_hi:[0,1]
	s_delay_alu instid0(VALU_DEP_1) | instskip(NEXT) | instid1(VALU_DEP_1)
	v_pk_fma_f32 v[6:7], v[12:13], v[10:11], v[6:7]
	v_dual_cndmask_b32 v9, v4, v6 :: v_dual_cndmask_b32 v8, v5, v7
	global_store_b64 v[2:3], v[8:9], off
.LBB23_58:
	s_wait_xcnt 0x0
	s_or_b32 exec_lo, exec_lo, s0
	global_wb scope:SCOPE_DEV
	s_wait_loadcnt 0x0
	s_wait_storecnt 0x0
	global_inv scope:SCOPE_DEV
	s_wait_loadcnt 0x0
	s_barrier_signal -1
	s_barrier_wait -1
	s_mov_b32 s0, exec_lo
	v_cmpx_eq_u32_e32 0, v0
	s_cbranch_execz .LBB23_60
; %bb.59:
	s_add_co_i32 s0, s16, s7
	s_delay_alu instid0(SALU_CYCLE_1)
	v_dual_mov_b32 v0, 1 :: v_dual_mov_b32 v1, s0
	global_store_b32 v1, v0, s[20:21] scale_offset scope:SCOPE_DEV
.LBB23_60:
	s_endpgm
	.section	.rodata,"a",@progbits
	.p2align	6, 0x0
	.amdhsa_kernel _ZN9rocsparseL5csrsmILj64ELj64ELb1Eii21rocsparse_complex_numIfEEEv20rocsparse_operation_T3_S4_NS_24const_host_device_scalarIT4_EEPKT2_PKS4_PKS6_PS6_lPiSC_PS4_21rocsparse_index_base_20rocsparse_fill_mode_20rocsparse_diag_type_b
		.amdhsa_group_segment_fixed_size 768
		.amdhsa_private_segment_fixed_size 0
		.amdhsa_kernarg_size 104
		.amdhsa_user_sgpr_count 2
		.amdhsa_user_sgpr_dispatch_ptr 0
		.amdhsa_user_sgpr_queue_ptr 0
		.amdhsa_user_sgpr_kernarg_segment_ptr 1
		.amdhsa_user_sgpr_dispatch_id 0
		.amdhsa_user_sgpr_kernarg_preload_length 0
		.amdhsa_user_sgpr_kernarg_preload_offset 0
		.amdhsa_user_sgpr_private_segment_size 0
		.amdhsa_wavefront_size32 1
		.amdhsa_uses_dynamic_stack 0
		.amdhsa_enable_private_segment 0
		.amdhsa_system_sgpr_workgroup_id_x 1
		.amdhsa_system_sgpr_workgroup_id_y 0
		.amdhsa_system_sgpr_workgroup_id_z 0
		.amdhsa_system_sgpr_workgroup_info 0
		.amdhsa_system_vgpr_workitem_id 0
		.amdhsa_next_free_vgpr 22
		.amdhsa_next_free_sgpr 31
		.amdhsa_named_barrier_count 0
		.amdhsa_reserve_vcc 1
		.amdhsa_float_round_mode_32 0
		.amdhsa_float_round_mode_16_64 0
		.amdhsa_float_denorm_mode_32 3
		.amdhsa_float_denorm_mode_16_64 3
		.amdhsa_fp16_overflow 0
		.amdhsa_memory_ordered 1
		.amdhsa_forward_progress 1
		.amdhsa_inst_pref_size 17
		.amdhsa_round_robin_scheduling 0
		.amdhsa_exception_fp_ieee_invalid_op 0
		.amdhsa_exception_fp_denorm_src 0
		.amdhsa_exception_fp_ieee_div_zero 0
		.amdhsa_exception_fp_ieee_overflow 0
		.amdhsa_exception_fp_ieee_underflow 0
		.amdhsa_exception_fp_ieee_inexact 0
		.amdhsa_exception_int_div_zero 0
	.end_amdhsa_kernel
	.section	.text._ZN9rocsparseL5csrsmILj64ELj64ELb1Eii21rocsparse_complex_numIfEEEv20rocsparse_operation_T3_S4_NS_24const_host_device_scalarIT4_EEPKT2_PKS4_PKS6_PS6_lPiSC_PS4_21rocsparse_index_base_20rocsparse_fill_mode_20rocsparse_diag_type_b,"axG",@progbits,_ZN9rocsparseL5csrsmILj64ELj64ELb1Eii21rocsparse_complex_numIfEEEv20rocsparse_operation_T3_S4_NS_24const_host_device_scalarIT4_EEPKT2_PKS4_PKS6_PS6_lPiSC_PS4_21rocsparse_index_base_20rocsparse_fill_mode_20rocsparse_diag_type_b,comdat
.Lfunc_end23:
	.size	_ZN9rocsparseL5csrsmILj64ELj64ELb1Eii21rocsparse_complex_numIfEEEv20rocsparse_operation_T3_S4_NS_24const_host_device_scalarIT4_EEPKT2_PKS4_PKS6_PS6_lPiSC_PS4_21rocsparse_index_base_20rocsparse_fill_mode_20rocsparse_diag_type_b, .Lfunc_end23-_ZN9rocsparseL5csrsmILj64ELj64ELb1Eii21rocsparse_complex_numIfEEEv20rocsparse_operation_T3_S4_NS_24const_host_device_scalarIT4_EEPKT2_PKS4_PKS6_PS6_lPiSC_PS4_21rocsparse_index_base_20rocsparse_fill_mode_20rocsparse_diag_type_b
                                        ; -- End function
	.set _ZN9rocsparseL5csrsmILj64ELj64ELb1Eii21rocsparse_complex_numIfEEEv20rocsparse_operation_T3_S4_NS_24const_host_device_scalarIT4_EEPKT2_PKS4_PKS6_PS6_lPiSC_PS4_21rocsparse_index_base_20rocsparse_fill_mode_20rocsparse_diag_type_b.num_vgpr, 22
	.set _ZN9rocsparseL5csrsmILj64ELj64ELb1Eii21rocsparse_complex_numIfEEEv20rocsparse_operation_T3_S4_NS_24const_host_device_scalarIT4_EEPKT2_PKS4_PKS6_PS6_lPiSC_PS4_21rocsparse_index_base_20rocsparse_fill_mode_20rocsparse_diag_type_b.num_agpr, 0
	.set _ZN9rocsparseL5csrsmILj64ELj64ELb1Eii21rocsparse_complex_numIfEEEv20rocsparse_operation_T3_S4_NS_24const_host_device_scalarIT4_EEPKT2_PKS4_PKS6_PS6_lPiSC_PS4_21rocsparse_index_base_20rocsparse_fill_mode_20rocsparse_diag_type_b.numbered_sgpr, 31
	.set _ZN9rocsparseL5csrsmILj64ELj64ELb1Eii21rocsparse_complex_numIfEEEv20rocsparse_operation_T3_S4_NS_24const_host_device_scalarIT4_EEPKT2_PKS4_PKS6_PS6_lPiSC_PS4_21rocsparse_index_base_20rocsparse_fill_mode_20rocsparse_diag_type_b.num_named_barrier, 0
	.set _ZN9rocsparseL5csrsmILj64ELj64ELb1Eii21rocsparse_complex_numIfEEEv20rocsparse_operation_T3_S4_NS_24const_host_device_scalarIT4_EEPKT2_PKS4_PKS6_PS6_lPiSC_PS4_21rocsparse_index_base_20rocsparse_fill_mode_20rocsparse_diag_type_b.private_seg_size, 0
	.set _ZN9rocsparseL5csrsmILj64ELj64ELb1Eii21rocsparse_complex_numIfEEEv20rocsparse_operation_T3_S4_NS_24const_host_device_scalarIT4_EEPKT2_PKS4_PKS6_PS6_lPiSC_PS4_21rocsparse_index_base_20rocsparse_fill_mode_20rocsparse_diag_type_b.uses_vcc, 1
	.set _ZN9rocsparseL5csrsmILj64ELj64ELb1Eii21rocsparse_complex_numIfEEEv20rocsparse_operation_T3_S4_NS_24const_host_device_scalarIT4_EEPKT2_PKS4_PKS6_PS6_lPiSC_PS4_21rocsparse_index_base_20rocsparse_fill_mode_20rocsparse_diag_type_b.uses_flat_scratch, 0
	.set _ZN9rocsparseL5csrsmILj64ELj64ELb1Eii21rocsparse_complex_numIfEEEv20rocsparse_operation_T3_S4_NS_24const_host_device_scalarIT4_EEPKT2_PKS4_PKS6_PS6_lPiSC_PS4_21rocsparse_index_base_20rocsparse_fill_mode_20rocsparse_diag_type_b.has_dyn_sized_stack, 0
	.set _ZN9rocsparseL5csrsmILj64ELj64ELb1Eii21rocsparse_complex_numIfEEEv20rocsparse_operation_T3_S4_NS_24const_host_device_scalarIT4_EEPKT2_PKS4_PKS6_PS6_lPiSC_PS4_21rocsparse_index_base_20rocsparse_fill_mode_20rocsparse_diag_type_b.has_recursion, 0
	.set _ZN9rocsparseL5csrsmILj64ELj64ELb1Eii21rocsparse_complex_numIfEEEv20rocsparse_operation_T3_S4_NS_24const_host_device_scalarIT4_EEPKT2_PKS4_PKS6_PS6_lPiSC_PS4_21rocsparse_index_base_20rocsparse_fill_mode_20rocsparse_diag_type_b.has_indirect_call, 0
	.section	.AMDGPU.csdata,"",@progbits
; Kernel info:
; codeLenInByte = 2176
; TotalNumSgprs: 33
; NumVgprs: 22
; ScratchSize: 0
; MemoryBound: 0
; FloatMode: 240
; IeeeMode: 1
; LDSByteSize: 768 bytes/workgroup (compile time only)
; SGPRBlocks: 0
; VGPRBlocks: 1
; NumSGPRsForWavesPerEU: 33
; NumVGPRsForWavesPerEU: 22
; NamedBarCnt: 0
; Occupancy: 16
; WaveLimiterHint : 1
; COMPUTE_PGM_RSRC2:SCRATCH_EN: 0
; COMPUTE_PGM_RSRC2:USER_SGPR: 2
; COMPUTE_PGM_RSRC2:TRAP_HANDLER: 0
; COMPUTE_PGM_RSRC2:TGID_X_EN: 1
; COMPUTE_PGM_RSRC2:TGID_Y_EN: 0
; COMPUTE_PGM_RSRC2:TGID_Z_EN: 0
; COMPUTE_PGM_RSRC2:TIDIG_COMP_CNT: 0
	.section	.text._ZN9rocsparseL5csrsmILj64ELj64ELb0Eii21rocsparse_complex_numIfEEEv20rocsparse_operation_T3_S4_NS_24const_host_device_scalarIT4_EEPKT2_PKS4_PKS6_PS6_lPiSC_PS4_21rocsparse_index_base_20rocsparse_fill_mode_20rocsparse_diag_type_b,"axG",@progbits,_ZN9rocsparseL5csrsmILj64ELj64ELb0Eii21rocsparse_complex_numIfEEEv20rocsparse_operation_T3_S4_NS_24const_host_device_scalarIT4_EEPKT2_PKS4_PKS6_PS6_lPiSC_PS4_21rocsparse_index_base_20rocsparse_fill_mode_20rocsparse_diag_type_b,comdat
	.globl	_ZN9rocsparseL5csrsmILj64ELj64ELb0Eii21rocsparse_complex_numIfEEEv20rocsparse_operation_T3_S4_NS_24const_host_device_scalarIT4_EEPKT2_PKS4_PKS6_PS6_lPiSC_PS4_21rocsparse_index_base_20rocsparse_fill_mode_20rocsparse_diag_type_b ; -- Begin function _ZN9rocsparseL5csrsmILj64ELj64ELb0Eii21rocsparse_complex_numIfEEEv20rocsparse_operation_T3_S4_NS_24const_host_device_scalarIT4_EEPKT2_PKS4_PKS6_PS6_lPiSC_PS4_21rocsparse_index_base_20rocsparse_fill_mode_20rocsparse_diag_type_b
	.p2align	8
	.type	_ZN9rocsparseL5csrsmILj64ELj64ELb0Eii21rocsparse_complex_numIfEEEv20rocsparse_operation_T3_S4_NS_24const_host_device_scalarIT4_EEPKT2_PKS4_PKS6_PS6_lPiSC_PS4_21rocsparse_index_base_20rocsparse_fill_mode_20rocsparse_diag_type_b,@function
_ZN9rocsparseL5csrsmILj64ELj64ELb0Eii21rocsparse_complex_numIfEEEv20rocsparse_operation_T3_S4_NS_24const_host_device_scalarIT4_EEPKT2_PKS4_PKS6_PS6_lPiSC_PS4_21rocsparse_index_base_20rocsparse_fill_mode_20rocsparse_diag_type_b: ; @_ZN9rocsparseL5csrsmILj64ELj64ELb0Eii21rocsparse_complex_numIfEEEv20rocsparse_operation_T3_S4_NS_24const_host_device_scalarIT4_EEPKT2_PKS4_PKS6_PS6_lPiSC_PS4_21rocsparse_index_base_20rocsparse_fill_mode_20rocsparse_diag_type_b
; %bb.0:
	s_clause 0x1
	s_load_b128 s[4:7], s[0:1], 0x58
	s_load_b64 s[2:3], s[0:1], 0x10
	s_wait_kmcnt 0x0
	s_bitcmp1_b32 s7, 0
	s_mov_b32 s15, s2
	s_cselect_b32 s8, -1, 0
	s_delay_alu instid0(SALU_CYCLE_1)
	s_xor_b32 s7, s8, -1
	s_and_b32 vcc_lo, exec_lo, s8
	s_cbranch_vccnz .LBB24_2
; %bb.1:
	s_load_b32 s15, s[2:3], 0x0
.LBB24_2:
	s_clause 0x1
	s_load_b64 s[18:19], s[0:1], 0x18
	s_load_b64 s[8:9], s[0:1], 0x48
	s_and_not1_b32 vcc_lo, exec_lo, s7
	s_cbranch_vccnz .LBB24_4
; %bb.3:
	s_wait_xcnt 0x0
	s_load_b32 s3, s[2:3], 0x4
.LBB24_4:
	s_nop 0
	s_load_b96 s[12:14], s[0:1], 0x0
	s_bfe_u32 s10, ttmp6, 0x4000c
	s_and_b32 s7, ttmp6, 15
	s_add_co_i32 s10, s10, 1
	s_getreg_b32 s16, hwreg(HW_REG_IB_STS2, 6, 4)
	s_mul_i32 s10, ttmp9, s10
	s_delay_alu instid0(SALU_CYCLE_1) | instskip(SKIP_3) | instid1(SALU_CYCLE_2)
	s_add_co_i32 s7, s7, s10
	s_wait_kmcnt 0x0
	s_cvt_f32_u32 s2, s13
	s_sub_co_i32 s11, 0, s13
	v_rcp_iflag_f32_e32 v1, s2
	v_nop
	s_delay_alu instid0(TRANS32_DEP_1) | instskip(SKIP_1) | instid1(SALU_CYCLE_3)
	v_readfirstlane_b32 s2, v1
	s_mul_f32 s2, s2, 0x4f7ffffe
	s_cvt_u32_f32 s2, s2
	s_delay_alu instid0(SALU_CYCLE_3) | instskip(NEXT) | instid1(SALU_CYCLE_1)
	s_mul_i32 s11, s11, s2
	s_mul_hi_u32 s11, s2, s11
	s_delay_alu instid0(SALU_CYCLE_1) | instskip(SKIP_2) | instid1(SALU_CYCLE_1)
	s_add_co_i32 s2, s2, s11
	s_cmp_eq_u32 s16, 0
	s_cselect_b32 s10, ttmp9, s7
	s_mul_hi_u32 s2, s10, s2
	s_delay_alu instid0(SALU_CYCLE_1) | instskip(SKIP_2) | instid1(SALU_CYCLE_1)
	s_mul_i32 s7, s2, s13
	s_add_co_i32 s11, s2, 1
	s_sub_co_i32 s7, s10, s7
	s_sub_co_i32 s16, s7, s13
	s_cmp_ge_u32 s7, s13
	s_cselect_b32 s2, s11, s2
	s_cselect_b32 s7, s16, s7
	s_add_co_i32 s11, s2, 1
	s_cmp_ge_u32 s7, s13
	s_cselect_b32 s2, s11, s2
	s_delay_alu instid0(SALU_CYCLE_1) | instskip(SKIP_2) | instid1(SALU_CYCLE_1)
	s_mul_i32 s7, s2, s13
	v_lshl_or_b32 v2, s2, 6, v0
	s_sub_co_i32 s10, s10, s7
	s_ashr_i32 s11, s10, 31
	s_delay_alu instid0(VALU_DEP_1)
	v_ashrrev_i32_e32 v3, 31, v2
	s_lshl_b64 s[10:11], s[10:11], 2
	v_cmp_gt_i32_e64 s2, s14, v2
	s_add_nc_u64 s[20:21], s[8:9], s[10:11]
	s_load_b32 s16, s[20:21], 0x0
	s_load_b128 s[8:11], s[0:1], 0x30
	s_wait_kmcnt 0x0
	s_ashr_i32 s17, s16, 31
	s_delay_alu instid0(SALU_CYCLE_1)
	s_lshl_b64 s[20:21], s[16:17], 2
	s_cmp_lg_u32 s12, 0x71
	s_add_nc_u64 s[18:19], s[18:19], s[20:21]
	s_load_b64 s[22:23], s[18:19], 0x0
	s_wait_xcnt 0x0
	s_mul_u64 s[18:19], s[10:11], s[16:17]
	s_delay_alu instid0(SALU_CYCLE_1)
	v_add_nc_u64_e32 v[6:7], s[18:19], v[2:3]
	s_cbranch_scc0 .LBB24_8
; %bb.5:
	v_mov_b64_e32 v[4:5], 0
	s_and_saveexec_b32 s12, s2
	s_cbranch_execz .LBB24_7
; %bb.6:
	s_delay_alu instid0(VALU_DEP_2) | instskip(SKIP_1) | instid1(SALU_CYCLE_1)
	v_lshl_add_u64 v[4:5], v[6:7], 3, s[8:9]
	s_xor_b32 s13, s3, 0x80000000
	v_dual_mov_b32 v9, s15 :: v_dual_mov_b32 v11, s13
	v_dual_mov_b32 v10, s15 :: v_dual_mov_b32 v8, s3
	global_load_b64 v[4:5], v[4:5], off
	s_wait_loadcnt 0x0
	v_pk_mul_f32 v[10:11], v[4:5], v[10:11] op_sel:[1,0]
	s_delay_alu instid0(VALU_DEP_1)
	v_pk_fma_f32 v[4:5], v[8:9], v[4:5], v[10:11] op_sel_hi:[1,0,1]
.LBB24_7:
	s_or_b32 exec_lo, exec_lo, s12
	s_load_b64 s[20:21], s[0:1], 0x40
	s_cbranch_execz .LBB24_9
	s_branch .LBB24_12
.LBB24_8:
                                        ; implicit-def: $vgpr4_vgpr5
	s_load_b64 s[20:21], s[0:1], 0x40
.LBB24_9:
	v_mov_b64_e32 v[4:5], 0
	s_and_saveexec_b32 s12, s2
	s_cbranch_execz .LBB24_11
; %bb.10:
	s_delay_alu instid0(VALU_DEP_2) | instskip(SKIP_1) | instid1(SALU_CYCLE_1)
	v_lshl_add_u64 v[4:5], v[6:7], 3, s[8:9]
	s_mov_b32 s14, s3
	v_mov_b64_e32 v[6:7], s[14:15]
	global_load_b64 v[4:5], v[4:5], off
	s_wait_loadcnt 0x0
	v_pk_mul_f32 v[8:9], v[4:5], v[6:7] op_sel:[1,0] neg_hi:[1,0]
	s_delay_alu instid0(VALU_DEP_1)
	v_pk_fma_f32 v[4:5], v[6:7], v[4:5], v[8:9] op_sel:[0,0,1] op_sel_hi:[1,0,0]
.LBB24_11:
	s_or_b32 exec_lo, exec_lo, s12
.LBB24_12:
	s_delay_alu instid0(VALU_DEP_1) | instskip(SKIP_1) | instid1(VALU_DEP_3)
	v_dual_mov_b32 v7, 1.0 :: v_dual_mov_b32 v6, v4
	v_lshl_add_u64 v[2:3], v[2:3], 3, s[8:9]
	v_dual_mov_b32 v9, v5 :: v_dual_mov_b32 v14, 0
	s_delay_alu instid0(VALU_DEP_3)
	v_mov_b32_e32 v8, v7
	v_cmp_eq_u32_e64 s3, 0, v0
	s_wait_kmcnt 0x0
	s_cmp_ge_i32 s22, s23
	s_cbranch_scc1 .LBB24_53
; %bb.13:
	s_clause 0x1
	s_load_b64 s[8:9], s[0:1], 0x50
	s_load_b128 s[12:15], s[0:1], 0x20
	s_sub_co_i32 s17, s22, s4
	s_sub_co_i32 s24, s23, s4
	v_lshl_or_b32 v1, v0, 2, 0x200
	v_dual_mov_b32 v4, 0 :: v_dual_lshlrev_b32 v15, 3, v0
	v_mov_b32_e32 v16, 0
	s_cmp_eq_u32 s6, 0
	s_mov_b32 s27, s17
	s_cselect_b32 s25, -1, 0
	s_add_co_i32 s26, s16, s4
	s_wait_xcnt 0x0
	s_sub_co_i32 s0, s27, s17
	s_delay_alu instid0(SALU_CYCLE_1) | instskip(NEXT) | instid1(SALU_CYCLE_1)
	s_and_b32 s0, s0, 63
	s_cmp_lg_u32 s0, 0
	s_cbranch_scc1 .LBB24_17
.LBB24_14:
	s_sub_co_i32 s1, s24, s27
	v_dual_mov_b32 v11, 0 :: v_dual_mov_b32 v10, -1.0
	v_cmp_gt_u32_e32 vcc_lo, s1, v0
	v_mov_b32_e32 v5, -1
	s_and_saveexec_b32 s1, vcc_lo
	s_cbranch_execz .LBB24_16
; %bb.15:
	v_add_nc_u32_e32 v5, s27, v0
	s_wait_kmcnt 0x0
	s_clause 0x1
	global_load_b32 v12, v5, s[12:13] scale_offset
	global_load_b64 v[10:11], v5, s[14:15] scale_offset
	s_wait_loadcnt 0x1
	s_wait_xcnt 0x0
	v_subrev_nc_u32_e32 v5, s4, v12
.LBB24_16:
	s_or_b32 exec_lo, exec_lo, s1
	ds_store_b32 v1, v5
	s_wait_loadcnt 0x0
	ds_store_b64 v15, v[10:11]
.LBB24_17:                              ; =>This Loop Header: Depth=1
                                        ;     Child Loop BB24_43 Depth 2
	s_lshl_b32 s1, s0, 3
	s_wait_dscnt 0x0
	v_mov_b32_e32 v5, s1
	s_barrier_signal -1
	s_barrier_wait -1
	s_lshl_b32 s0, s0, 2
	ds_load_b64 v[10:11], v5
	v_mov_b32_e32 v5, s0
	ds_load_b32 v5, v5 offset:512
	s_wait_dscnt 0x1
	v_readfirstlane_b32 s1, v10
	v_readfirstlane_b32 s23, v11
	s_cmp_eq_f32 s1, 0
	s_wait_dscnt 0x0
	v_readfirstlane_b32 s0, v5
	s_cselect_b32 s22, -1, 0
	s_cmp_eq_f32 s23, 0
	s_cselect_b32 s28, -1, 0
	s_delay_alu instid0(SALU_CYCLE_1)
	s_and_b32 s29, s22, s28
	s_cmp_eq_u32 s0, s16
	s_cselect_b32 s28, -1, 0
	s_cmp_lg_u32 s0, s16
	s_cselect_b32 s22, -1, 0
	s_and_b32 s29, s29, s28
	s_delay_alu instid0(SALU_CYCLE_1) | instskip(NEXT) | instid1(SALU_CYCLE_1)
	s_and_b32 s29, s25, s29
	s_and_b32 s30, s3, s29
	s_and_b32 s29, s29, exec_lo
	s_cselect_b32 s23, 0, s23
	s_cselect_b32 s1, 1.0, s1
	s_delay_alu instid0(SALU_CYCLE_1)
	v_dual_mov_b32 v17, s23 :: v_dual_mov_b32 v18, s1
	s_and_saveexec_b32 s1, s30
	s_cbranch_execz .LBB24_21
; %bb.18:                               ;   in Loop: Header=BB24_17 Depth=1
	v_mbcnt_lo_u32_b32 v5, exec_lo, 0
	s_mov_b32 s23, exec_lo
	s_delay_alu instid0(VALU_DEP_1)
	v_cmpx_eq_u32_e32 0, v5
	s_cbranch_execz .LBB24_20
; %bb.19:                               ;   in Loop: Header=BB24_17 Depth=1
	v_mov_b32_e32 v5, s26
	s_wait_kmcnt 0x0
	global_atomic_min_i32 v4, v5, s[8:9] scope:SCOPE_DEV
.LBB24_20:                              ;   in Loop: Header=BB24_17 Depth=1
	s_wait_xcnt 0x0
	s_or_b32 exec_lo, exec_lo, s23
	v_dual_mov_b32 v18, 1.0 :: v_dual_mov_b32 v17, 0
.LBB24_21:                              ;   in Loop: Header=BB24_17 Depth=1
	s_or_b32 exec_lo, exec_lo, s1
	s_mov_b32 s29, -1
	s_mov_b32 s1, 0
	s_cmp_lt_i32 s5, 1
	s_mov_b32 s23, 0
                                        ; implicit-def: $vgpr10_vgpr11
                                        ; implicit-def: $vgpr12_vgpr13
                                        ; implicit-def: $vgpr14
	s_cbranch_scc0 .LBB24_28
; %bb.22:                               ;   in Loop: Header=BB24_17 Depth=1
	s_and_b32 vcc_lo, exec_lo, s29
	s_mov_b32 s28, 4
	s_cbranch_vccnz .LBB24_35
.LBB24_23:                              ;   in Loop: Header=BB24_17 Depth=1
	s_and_b32 vcc_lo, exec_lo, s23
	s_cbranch_vccnz .LBB24_40
.LBB24_24:                              ;   in Loop: Header=BB24_17 Depth=1
	s_and_b32 vcc_lo, exec_lo, s1
	s_cbranch_vccnz .LBB24_47
.LBB24_25:                              ;   in Loop: Header=BB24_17 Depth=1
	s_mov_b32 s0, -1
	s_cmp_gt_i32 s28, 3
	s_mov_b32 s1, -1
	s_cbranch_scc0 .LBB24_50
.LBB24_26:                              ;   in Loop: Header=BB24_17 Depth=1
	s_and_not1_b32 vcc_lo, exec_lo, s1
	s_cbranch_vccz .LBB24_51
.LBB24_27:                              ;   in Loop: Header=BB24_17 Depth=1
	s_and_not1_b32 vcc_lo, exec_lo, s0
	s_cbranch_vccnz .LBB24_52
	s_branch .LBB24_54
.LBB24_28:                              ;   in Loop: Header=BB24_17 Depth=1
	s_cmp_eq_u32 s5, 1
	s_mov_b32 s23, -1
                                        ; implicit-def: $vgpr10_vgpr11
                                        ; implicit-def: $vgpr12_vgpr13
                                        ; implicit-def: $vgpr14
	s_cbranch_scc0 .LBB24_34
; %bb.29:                               ;   in Loop: Header=BB24_17 Depth=1
	v_mov_b64_e32 v[10:11], v[8:9]
	v_mov_b64_e32 v[12:13], v[6:7]
	v_mov_b32_e32 v14, v16
	s_cmp_ge_i32 s0, s16
	s_mov_b32 s23, 0
	s_cbranch_scc0 .LBB24_34
; %bb.30:                               ;   in Loop: Header=BB24_17 Depth=1
	s_and_b32 vcc_lo, exec_lo, s28
	s_mov_b32 s23, -1
                                        ; implicit-def: $vgpr10_vgpr11
                                        ; implicit-def: $vgpr12_vgpr13
                                        ; implicit-def: $vgpr14
	s_cbranch_vccz .LBB24_34
; %bb.31:                               ;   in Loop: Header=BB24_17 Depth=1
	v_mov_b64_e32 v[10:11], v[8:9]
	v_mov_b64_e32 v[12:13], v[6:7]
	v_mov_b32_e32 v14, v16
	s_and_not1_b32 vcc_lo, exec_lo, s25
	s_cbranch_vccnz .LBB24_33
; %bb.32:                               ;   in Loop: Header=BB24_17 Depth=1
	v_mul_f32_e32 v5, v17, v17
	s_delay_alu instid0(VALU_DEP_1) | instskip(NEXT) | instid1(VALU_DEP_1)
	v_fmac_f32_e32 v5, v18, v18
	v_div_scale_f32 v10, null, v5, v5, 1.0
	v_div_scale_f32 v13, vcc_lo, 1.0, v5, 1.0
	s_delay_alu instid0(VALU_DEP_2) | instskip(SKIP_1) | instid1(TRANS32_DEP_1)
	v_rcp_f32_e32 v11, v10
	v_nop
	v_fma_f32 v12, -v10, v11, 1.0
	s_delay_alu instid0(VALU_DEP_1) | instskip(NEXT) | instid1(VALU_DEP_1)
	v_fmac_f32_e32 v11, v12, v11
	v_mul_f32_e32 v12, v13, v11
	s_delay_alu instid0(VALU_DEP_1) | instskip(NEXT) | instid1(VALU_DEP_1)
	v_fma_f32 v14, -v10, v12, v13
	v_fmac_f32_e32 v12, v14, v11
	s_delay_alu instid0(VALU_DEP_1) | instskip(NEXT) | instid1(VALU_DEP_1)
	v_fma_f32 v10, -v10, v12, v13
	v_div_fmas_f32 v10, v10, v11, v12
	v_dual_fma_f32 v11, 0, v17, v18 :: v_dual_mov_b32 v12, v6
	s_delay_alu instid0(VALU_DEP_2) | instskip(SKIP_1) | instid1(VALU_DEP_1)
	v_div_fixup_f32 v5, v10, v5, 1.0
	v_fma_f32 v10, v18, 0, -v17
	v_dual_mul_f32 v13, v11, v5 :: v_dual_mul_f32 v14, v10, v5
	s_delay_alu instid0(VALU_DEP_1)
	v_dual_mov_b32 v11, v9 :: v_dual_mov_b32 v10, v13
.LBB24_33:                              ;   in Loop: Header=BB24_17 Depth=1
	s_mov_b32 s23, 0
.LBB24_34:                              ;   in Loop: Header=BB24_17 Depth=1
	s_mov_b32 s28, 4
	s_branch .LBB24_23
.LBB24_35:                              ;   in Loop: Header=BB24_17 Depth=1
	s_cmp_eq_u32 s5, 0
	s_cbranch_scc1 .LBB24_37
; %bb.36:                               ;   in Loop: Header=BB24_17 Depth=1
	s_mov_b32 s23, -1
	s_branch .LBB24_39
.LBB24_37:                              ;   in Loop: Header=BB24_17 Depth=1
	s_cmp_le_i32 s0, s16
	s_mov_b32 s23, 0
	s_cbranch_scc0 .LBB24_39
; %bb.38:                               ;   in Loop: Header=BB24_17 Depth=1
	s_mov_b32 s1, -1
	s_mov_b32 s23, s22
.LBB24_39:                              ;   in Loop: Header=BB24_17 Depth=1
	v_mov_b64_e32 v[10:11], v[8:9]
	v_mov_b64_e32 v[12:13], v[6:7]
	v_mov_b32_e32 v14, v16
	s_mov_b32 s28, 2
	s_and_b32 vcc_lo, exec_lo, s23
	s_cbranch_vccz .LBB24_24
.LBB24_40:                              ;   in Loop: Header=BB24_17 Depth=1
	s_and_saveexec_b32 s1, s3
	s_cbranch_execz .LBB24_44
; %bb.41:                               ;   in Loop: Header=BB24_17 Depth=1
	s_add_co_i32 s22, s0, s7
	s_delay_alu instid0(SALU_CYCLE_1)
	v_mov_b32_e32 v5, s22
	global_load_b32 v5, v5, s[20:21] scale_offset scope:SCOPE_DEV
	s_wait_loadcnt 0x0
	v_cmp_ne_u32_e32 vcc_lo, 0, v5
	s_cbranch_vccnz .LBB24_44
; %bb.42:                               ;   in Loop: Header=BB24_17 Depth=1
	s_ashr_i32 s23, s22, 31
	s_delay_alu instid0(SALU_CYCLE_1) | instskip(NEXT) | instid1(SALU_CYCLE_1)
	s_lshl_b64 s[22:23], s[22:23], 2
	s_add_nc_u64 s[22:23], s[20:21], s[22:23]
.LBB24_43:                              ;   Parent Loop BB24_17 Depth=1
                                        ; =>  This Inner Loop Header: Depth=2
	global_load_b32 v5, v4, s[22:23] scope:SCOPE_DEV
	s_wait_loadcnt 0x0
	v_cmp_eq_u32_e32 vcc_lo, 0, v5
	s_cbranch_vccnz .LBB24_43
.LBB24_44:                              ;   in Loop: Header=BB24_17 Depth=1
	s_wait_xcnt 0x0
	s_or_b32 exec_lo, exec_lo, s1
	v_dual_mov_b32 v5, v7 :: v_dual_mov_b32 v10, v7
	v_mov_b32_e32 v11, v4
	s_wait_storecnt 0x0
	s_barrier_signal -1
	s_delay_alu instid0(VALU_DEP_2)
	v_mov_b64_e32 v[12:13], v[4:5]
	s_barrier_wait -1
	global_inv scope:SCOPE_DEV
	s_and_saveexec_b32 s22, s2
	s_cbranch_execz .LBB24_46
; %bb.45:                               ;   in Loop: Header=BB24_17 Depth=1
	s_ashr_i32 s1, s0, 31
	s_delay_alu instid0(SALU_CYCLE_1) | instskip(NEXT) | instid1(SALU_CYCLE_1)
	s_mul_u64 s[0:1], s[10:11], s[0:1]
	v_lshl_add_u64 v[10:11], s[0:1], 3, v[2:3]
	global_load_b64 v[20:21], v[10:11], off
	s_wait_loadcnt 0x0
	v_dual_mov_b32 v10, v7 :: v_dual_fma_f32 v11, -v18, v20, v9
	v_dual_fma_f32 v5, -v17, v20, v6 :: v_dual_mov_b32 v13, v7
	s_delay_alu instid0(VALU_DEP_1)
	v_dual_fmac_f32 v11, v17, v21 :: v_dual_fma_f32 v12, -v18, v21, v5
.LBB24_46:                              ;   in Loop: Header=BB24_17 Depth=1
	s_or_b32 exec_lo, exec_lo, s22
	v_mov_b32_e32 v14, v16
	s_mov_b32 s28, 0
	s_branch .LBB24_25
.LBB24_47:                              ;   in Loop: Header=BB24_17 Depth=1
	s_and_not1_b32 vcc_lo, exec_lo, s25
	s_cbranch_vccnz .LBB24_49
; %bb.48:                               ;   in Loop: Header=BB24_17 Depth=1
	v_mul_f32_e32 v5, v17, v17
	s_delay_alu instid0(VALU_DEP_1) | instskip(NEXT) | instid1(VALU_DEP_1)
	v_fmac_f32_e32 v5, v18, v18
	v_div_scale_f32 v7, null, v5, v5, 1.0
	v_div_scale_f32 v11, vcc_lo, 1.0, v5, 1.0
	s_delay_alu instid0(VALU_DEP_2) | instskip(SKIP_1) | instid1(TRANS32_DEP_1)
	v_rcp_f32_e32 v8, v7
	v_nop
	v_fma_f32 v10, -v7, v8, 1.0
	s_delay_alu instid0(VALU_DEP_1) | instskip(NEXT) | instid1(VALU_DEP_1)
	v_fmac_f32_e32 v8, v10, v8
	v_mul_f32_e32 v10, v11, v8
	s_delay_alu instid0(VALU_DEP_1) | instskip(NEXT) | instid1(VALU_DEP_1)
	v_fma_f32 v12, -v7, v10, v11
	v_fmac_f32_e32 v10, v12, v8
	s_delay_alu instid0(VALU_DEP_1) | instskip(NEXT) | instid1(VALU_DEP_1)
	v_fma_f32 v7, -v7, v10, v11
	v_div_fmas_f32 v7, v7, v8, v10
	v_fma_f32 v8, v18, 0, -v17
	s_delay_alu instid0(VALU_DEP_2) | instskip(SKIP_1) | instid1(VALU_DEP_1)
	v_div_fixup_f32 v5, v7, v5, 1.0
	v_fma_f32 v7, 0, v17, v18
	v_dual_mul_f32 v7, v7, v5 :: v_dual_mul_f32 v16, v8, v5
	s_delay_alu instid0(VALU_DEP_1)
	v_mov_b32_e32 v8, v7
.LBB24_49:                              ;   in Loop: Header=BB24_17 Depth=1
	v_mov_b64_e32 v[12:13], v[6:7]
	s_delay_alu instid0(VALU_DEP_2) | instskip(NEXT) | instid1(VALU_DEP_4)
	v_mov_b64_e32 v[10:11], v[8:9]
	v_mov_b32_e32 v14, v16
	s_mov_b32 s28, 2
	s_mov_b32 s0, -1
	s_cmp_gt_i32 s28, 3
	s_mov_b32 s1, -1
	s_cbranch_scc1 .LBB24_26
.LBB24_50:                              ;   in Loop: Header=BB24_17 Depth=1
	s_cmp_eq_u32 s28, 0
	s_cselect_b32 s1, -1, 0
	s_delay_alu instid0(SALU_CYCLE_1)
	s_and_not1_b32 vcc_lo, exec_lo, s1
	s_cbranch_vccnz .LBB24_27
.LBB24_51:                              ;   in Loop: Header=BB24_17 Depth=1
	s_add_co_i32 s27, s27, 1
	s_delay_alu instid0(SALU_CYCLE_1) | instskip(SKIP_1) | instid1(SALU_CYCLE_1)
	s_cmp_ge_i32 s27, s24
	s_cselect_b32 s0, -1, 0
	s_and_not1_b32 vcc_lo, exec_lo, s0
	s_cbranch_vccz .LBB24_54
.LBB24_52:                              ;   in Loop: Header=BB24_17 Depth=1
	v_mov_b32_e32 v16, v14
	v_mov_b64_e32 v[6:7], v[12:13]
	v_mov_b64_e32 v[8:9], v[10:11]
	s_sub_co_i32 s0, s27, s17
	s_delay_alu instid0(SALU_CYCLE_1) | instskip(NEXT) | instid1(SALU_CYCLE_1)
	s_and_b32 s0, s0, 63
	s_cmp_lg_u32 s0, 0
	s_cbranch_scc1 .LBB24_17
	s_branch .LBB24_14
.LBB24_53:
	v_mov_b64_e32 v[10:11], v[8:9]
	v_mov_b64_e32 v[12:13], v[6:7]
	s_and_saveexec_b32 s0, s2
	s_cbranch_execnz .LBB24_55
	s_branch .LBB24_56
.LBB24_54:
	v_dual_mov_b32 v4, v12 :: v_dual_mov_b32 v5, v11
	s_and_saveexec_b32 s0, s2
	s_cbranch_execz .LBB24_56
.LBB24_55:
	s_cmp_eq_u32 s6, 0
	s_delay_alu instid0(VALU_DEP_1) | instskip(SKIP_3) | instid1(VALU_DEP_2)
	v_xor_b32_e32 v7, 0x80000000, v12
	s_cselect_b32 vcc_lo, -1, 0
	v_mov_b32_e32 v6, v11
	v_lshl_add_u64 v[2:3], s[18:19], 3, v[2:3]
	v_pk_mul_f32 v[6:7], v[14:15], v[6:7] op_sel_hi:[0,1]
	s_delay_alu instid0(VALU_DEP_1) | instskip(NEXT) | instid1(VALU_DEP_1)
	v_pk_fma_f32 v[6:7], v[12:13], v[10:11], v[6:7]
	v_dual_cndmask_b32 v9, v4, v6 :: v_dual_cndmask_b32 v8, v5, v7
	global_store_b64 v[2:3], v[8:9], off
.LBB24_56:
	s_wait_xcnt 0x0
	s_or_b32 exec_lo, exec_lo, s0
	global_wb scope:SCOPE_DEV
	s_wait_loadcnt 0x0
	s_wait_storecnt 0x0
	global_inv scope:SCOPE_DEV
	s_wait_loadcnt 0x0
	s_barrier_signal -1
	s_barrier_wait -1
	s_mov_b32 s0, exec_lo
	v_cmpx_eq_u32_e32 0, v0
	s_cbranch_execz .LBB24_58
; %bb.57:
	s_add_co_i32 s0, s16, s7
	s_delay_alu instid0(SALU_CYCLE_1)
	v_dual_mov_b32 v0, 1 :: v_dual_mov_b32 v1, s0
	global_store_b32 v1, v0, s[20:21] scale_offset scope:SCOPE_DEV
.LBB24_58:
	s_endpgm
	.section	.rodata,"a",@progbits
	.p2align	6, 0x0
	.amdhsa_kernel _ZN9rocsparseL5csrsmILj64ELj64ELb0Eii21rocsparse_complex_numIfEEEv20rocsparse_operation_T3_S4_NS_24const_host_device_scalarIT4_EEPKT2_PKS4_PKS6_PS6_lPiSC_PS4_21rocsparse_index_base_20rocsparse_fill_mode_20rocsparse_diag_type_b
		.amdhsa_group_segment_fixed_size 768
		.amdhsa_private_segment_fixed_size 0
		.amdhsa_kernarg_size 104
		.amdhsa_user_sgpr_count 2
		.amdhsa_user_sgpr_dispatch_ptr 0
		.amdhsa_user_sgpr_queue_ptr 0
		.amdhsa_user_sgpr_kernarg_segment_ptr 1
		.amdhsa_user_sgpr_dispatch_id 0
		.amdhsa_user_sgpr_kernarg_preload_length 0
		.amdhsa_user_sgpr_kernarg_preload_offset 0
		.amdhsa_user_sgpr_private_segment_size 0
		.amdhsa_wavefront_size32 1
		.amdhsa_uses_dynamic_stack 0
		.amdhsa_enable_private_segment 0
		.amdhsa_system_sgpr_workgroup_id_x 1
		.amdhsa_system_sgpr_workgroup_id_y 0
		.amdhsa_system_sgpr_workgroup_id_z 0
		.amdhsa_system_sgpr_workgroup_info 0
		.amdhsa_system_vgpr_workitem_id 0
		.amdhsa_next_free_vgpr 22
		.amdhsa_next_free_sgpr 31
		.amdhsa_named_barrier_count 0
		.amdhsa_reserve_vcc 1
		.amdhsa_float_round_mode_32 0
		.amdhsa_float_round_mode_16_64 0
		.amdhsa_float_denorm_mode_32 3
		.amdhsa_float_denorm_mode_16_64 3
		.amdhsa_fp16_overflow 0
		.amdhsa_memory_ordered 1
		.amdhsa_forward_progress 1
		.amdhsa_inst_pref_size 17
		.amdhsa_round_robin_scheduling 0
		.amdhsa_exception_fp_ieee_invalid_op 0
		.amdhsa_exception_fp_denorm_src 0
		.amdhsa_exception_fp_ieee_div_zero 0
		.amdhsa_exception_fp_ieee_overflow 0
		.amdhsa_exception_fp_ieee_underflow 0
		.amdhsa_exception_fp_ieee_inexact 0
		.amdhsa_exception_int_div_zero 0
	.end_amdhsa_kernel
	.section	.text._ZN9rocsparseL5csrsmILj64ELj64ELb0Eii21rocsparse_complex_numIfEEEv20rocsparse_operation_T3_S4_NS_24const_host_device_scalarIT4_EEPKT2_PKS4_PKS6_PS6_lPiSC_PS4_21rocsparse_index_base_20rocsparse_fill_mode_20rocsparse_diag_type_b,"axG",@progbits,_ZN9rocsparseL5csrsmILj64ELj64ELb0Eii21rocsparse_complex_numIfEEEv20rocsparse_operation_T3_S4_NS_24const_host_device_scalarIT4_EEPKT2_PKS4_PKS6_PS6_lPiSC_PS4_21rocsparse_index_base_20rocsparse_fill_mode_20rocsparse_diag_type_b,comdat
.Lfunc_end24:
	.size	_ZN9rocsparseL5csrsmILj64ELj64ELb0Eii21rocsparse_complex_numIfEEEv20rocsparse_operation_T3_S4_NS_24const_host_device_scalarIT4_EEPKT2_PKS4_PKS6_PS6_lPiSC_PS4_21rocsparse_index_base_20rocsparse_fill_mode_20rocsparse_diag_type_b, .Lfunc_end24-_ZN9rocsparseL5csrsmILj64ELj64ELb0Eii21rocsparse_complex_numIfEEEv20rocsparse_operation_T3_S4_NS_24const_host_device_scalarIT4_EEPKT2_PKS4_PKS6_PS6_lPiSC_PS4_21rocsparse_index_base_20rocsparse_fill_mode_20rocsparse_diag_type_b
                                        ; -- End function
	.set _ZN9rocsparseL5csrsmILj64ELj64ELb0Eii21rocsparse_complex_numIfEEEv20rocsparse_operation_T3_S4_NS_24const_host_device_scalarIT4_EEPKT2_PKS4_PKS6_PS6_lPiSC_PS4_21rocsparse_index_base_20rocsparse_fill_mode_20rocsparse_diag_type_b.num_vgpr, 22
	.set _ZN9rocsparseL5csrsmILj64ELj64ELb0Eii21rocsparse_complex_numIfEEEv20rocsparse_operation_T3_S4_NS_24const_host_device_scalarIT4_EEPKT2_PKS4_PKS6_PS6_lPiSC_PS4_21rocsparse_index_base_20rocsparse_fill_mode_20rocsparse_diag_type_b.num_agpr, 0
	.set _ZN9rocsparseL5csrsmILj64ELj64ELb0Eii21rocsparse_complex_numIfEEEv20rocsparse_operation_T3_S4_NS_24const_host_device_scalarIT4_EEPKT2_PKS4_PKS6_PS6_lPiSC_PS4_21rocsparse_index_base_20rocsparse_fill_mode_20rocsparse_diag_type_b.numbered_sgpr, 31
	.set _ZN9rocsparseL5csrsmILj64ELj64ELb0Eii21rocsparse_complex_numIfEEEv20rocsparse_operation_T3_S4_NS_24const_host_device_scalarIT4_EEPKT2_PKS4_PKS6_PS6_lPiSC_PS4_21rocsparse_index_base_20rocsparse_fill_mode_20rocsparse_diag_type_b.num_named_barrier, 0
	.set _ZN9rocsparseL5csrsmILj64ELj64ELb0Eii21rocsparse_complex_numIfEEEv20rocsparse_operation_T3_S4_NS_24const_host_device_scalarIT4_EEPKT2_PKS4_PKS6_PS6_lPiSC_PS4_21rocsparse_index_base_20rocsparse_fill_mode_20rocsparse_diag_type_b.private_seg_size, 0
	.set _ZN9rocsparseL5csrsmILj64ELj64ELb0Eii21rocsparse_complex_numIfEEEv20rocsparse_operation_T3_S4_NS_24const_host_device_scalarIT4_EEPKT2_PKS4_PKS6_PS6_lPiSC_PS4_21rocsparse_index_base_20rocsparse_fill_mode_20rocsparse_diag_type_b.uses_vcc, 1
	.set _ZN9rocsparseL5csrsmILj64ELj64ELb0Eii21rocsparse_complex_numIfEEEv20rocsparse_operation_T3_S4_NS_24const_host_device_scalarIT4_EEPKT2_PKS4_PKS6_PS6_lPiSC_PS4_21rocsparse_index_base_20rocsparse_fill_mode_20rocsparse_diag_type_b.uses_flat_scratch, 0
	.set _ZN9rocsparseL5csrsmILj64ELj64ELb0Eii21rocsparse_complex_numIfEEEv20rocsparse_operation_T3_S4_NS_24const_host_device_scalarIT4_EEPKT2_PKS4_PKS6_PS6_lPiSC_PS4_21rocsparse_index_base_20rocsparse_fill_mode_20rocsparse_diag_type_b.has_dyn_sized_stack, 0
	.set _ZN9rocsparseL5csrsmILj64ELj64ELb0Eii21rocsparse_complex_numIfEEEv20rocsparse_operation_T3_S4_NS_24const_host_device_scalarIT4_EEPKT2_PKS4_PKS6_PS6_lPiSC_PS4_21rocsparse_index_base_20rocsparse_fill_mode_20rocsparse_diag_type_b.has_recursion, 0
	.set _ZN9rocsparseL5csrsmILj64ELj64ELb0Eii21rocsparse_complex_numIfEEEv20rocsparse_operation_T3_S4_NS_24const_host_device_scalarIT4_EEPKT2_PKS4_PKS6_PS6_lPiSC_PS4_21rocsparse_index_base_20rocsparse_fill_mode_20rocsparse_diag_type_b.has_indirect_call, 0
	.section	.AMDGPU.csdata,"",@progbits
; Kernel info:
; codeLenInByte = 2112
; TotalNumSgprs: 33
; NumVgprs: 22
; ScratchSize: 0
; MemoryBound: 0
; FloatMode: 240
; IeeeMode: 1
; LDSByteSize: 768 bytes/workgroup (compile time only)
; SGPRBlocks: 0
; VGPRBlocks: 1
; NumSGPRsForWavesPerEU: 33
; NumVGPRsForWavesPerEU: 22
; NamedBarCnt: 0
; Occupancy: 16
; WaveLimiterHint : 1
; COMPUTE_PGM_RSRC2:SCRATCH_EN: 0
; COMPUTE_PGM_RSRC2:USER_SGPR: 2
; COMPUTE_PGM_RSRC2:TRAP_HANDLER: 0
; COMPUTE_PGM_RSRC2:TGID_X_EN: 1
; COMPUTE_PGM_RSRC2:TGID_Y_EN: 0
; COMPUTE_PGM_RSRC2:TGID_Z_EN: 0
; COMPUTE_PGM_RSRC2:TIDIG_COMP_CNT: 0
	.section	.text._ZN9rocsparseL5csrsmILj128ELj64ELb1Eii21rocsparse_complex_numIfEEEv20rocsparse_operation_T3_S4_NS_24const_host_device_scalarIT4_EEPKT2_PKS4_PKS6_PS6_lPiSC_PS4_21rocsparse_index_base_20rocsparse_fill_mode_20rocsparse_diag_type_b,"axG",@progbits,_ZN9rocsparseL5csrsmILj128ELj64ELb1Eii21rocsparse_complex_numIfEEEv20rocsparse_operation_T3_S4_NS_24const_host_device_scalarIT4_EEPKT2_PKS4_PKS6_PS6_lPiSC_PS4_21rocsparse_index_base_20rocsparse_fill_mode_20rocsparse_diag_type_b,comdat
	.globl	_ZN9rocsparseL5csrsmILj128ELj64ELb1Eii21rocsparse_complex_numIfEEEv20rocsparse_operation_T3_S4_NS_24const_host_device_scalarIT4_EEPKT2_PKS4_PKS6_PS6_lPiSC_PS4_21rocsparse_index_base_20rocsparse_fill_mode_20rocsparse_diag_type_b ; -- Begin function _ZN9rocsparseL5csrsmILj128ELj64ELb1Eii21rocsparse_complex_numIfEEEv20rocsparse_operation_T3_S4_NS_24const_host_device_scalarIT4_EEPKT2_PKS4_PKS6_PS6_lPiSC_PS4_21rocsparse_index_base_20rocsparse_fill_mode_20rocsparse_diag_type_b
	.p2align	8
	.type	_ZN9rocsparseL5csrsmILj128ELj64ELb1Eii21rocsparse_complex_numIfEEEv20rocsparse_operation_T3_S4_NS_24const_host_device_scalarIT4_EEPKT2_PKS4_PKS6_PS6_lPiSC_PS4_21rocsparse_index_base_20rocsparse_fill_mode_20rocsparse_diag_type_b,@function
_ZN9rocsparseL5csrsmILj128ELj64ELb1Eii21rocsparse_complex_numIfEEEv20rocsparse_operation_T3_S4_NS_24const_host_device_scalarIT4_EEPKT2_PKS4_PKS6_PS6_lPiSC_PS4_21rocsparse_index_base_20rocsparse_fill_mode_20rocsparse_diag_type_b: ; @_ZN9rocsparseL5csrsmILj128ELj64ELb1Eii21rocsparse_complex_numIfEEEv20rocsparse_operation_T3_S4_NS_24const_host_device_scalarIT4_EEPKT2_PKS4_PKS6_PS6_lPiSC_PS4_21rocsparse_index_base_20rocsparse_fill_mode_20rocsparse_diag_type_b
; %bb.0:
	s_clause 0x1
	s_load_b128 s[4:7], s[0:1], 0x58
	s_load_b64 s[2:3], s[0:1], 0x10
	s_wait_kmcnt 0x0
	s_bitcmp1_b32 s7, 0
	s_mov_b32 s15, s2
	s_cselect_b32 s8, -1, 0
	s_delay_alu instid0(SALU_CYCLE_1)
	s_xor_b32 s7, s8, -1
	s_and_b32 vcc_lo, exec_lo, s8
	s_cbranch_vccnz .LBB25_2
; %bb.1:
	s_load_b32 s15, s[2:3], 0x0
.LBB25_2:
	s_clause 0x1
	s_load_b64 s[18:19], s[0:1], 0x18
	s_load_b64 s[8:9], s[0:1], 0x48
	s_and_not1_b32 vcc_lo, exec_lo, s7
	s_cbranch_vccnz .LBB25_4
; %bb.3:
	s_wait_xcnt 0x0
	s_load_b32 s3, s[2:3], 0x4
.LBB25_4:
	s_nop 0
	s_load_b96 s[12:14], s[0:1], 0x0
	s_bfe_u32 s10, ttmp6, 0x4000c
	s_and_b32 s7, ttmp6, 15
	s_add_co_i32 s10, s10, 1
	s_getreg_b32 s16, hwreg(HW_REG_IB_STS2, 6, 4)
	s_mul_i32 s10, ttmp9, s10
	s_delay_alu instid0(SALU_CYCLE_1) | instskip(SKIP_3) | instid1(SALU_CYCLE_2)
	s_add_co_i32 s7, s7, s10
	s_wait_kmcnt 0x0
	s_cvt_f32_u32 s2, s13
	s_sub_co_i32 s11, 0, s13
	v_rcp_iflag_f32_e32 v1, s2
	v_nop
	s_delay_alu instid0(TRANS32_DEP_1) | instskip(SKIP_1) | instid1(SALU_CYCLE_3)
	v_readfirstlane_b32 s2, v1
	s_mul_f32 s2, s2, 0x4f7ffffe
	s_cvt_u32_f32 s2, s2
	s_delay_alu instid0(SALU_CYCLE_3) | instskip(NEXT) | instid1(SALU_CYCLE_1)
	s_mul_i32 s11, s11, s2
	s_mul_hi_u32 s11, s2, s11
	s_delay_alu instid0(SALU_CYCLE_1) | instskip(SKIP_2) | instid1(SALU_CYCLE_1)
	s_add_co_i32 s2, s2, s11
	s_cmp_eq_u32 s16, 0
	s_cselect_b32 s10, ttmp9, s7
	s_mul_hi_u32 s2, s10, s2
	s_delay_alu instid0(SALU_CYCLE_1) | instskip(SKIP_2) | instid1(SALU_CYCLE_1)
	s_mul_i32 s7, s2, s13
	s_add_co_i32 s11, s2, 1
	s_sub_co_i32 s7, s10, s7
	s_sub_co_i32 s16, s7, s13
	s_cmp_ge_u32 s7, s13
	s_cselect_b32 s2, s11, s2
	s_cselect_b32 s7, s16, s7
	s_add_co_i32 s11, s2, 1
	s_cmp_ge_u32 s7, s13
	s_cselect_b32 s2, s11, s2
	s_delay_alu instid0(SALU_CYCLE_1) | instskip(SKIP_2) | instid1(SALU_CYCLE_1)
	s_mul_i32 s7, s2, s13
	v_lshl_or_b32 v2, s2, 7, v0
	s_sub_co_i32 s10, s10, s7
	s_ashr_i32 s11, s10, 31
	s_delay_alu instid0(VALU_DEP_1)
	v_ashrrev_i32_e32 v3, 31, v2
	s_lshl_b64 s[10:11], s[10:11], 2
	v_cmp_gt_i32_e64 s2, s14, v2
	s_add_nc_u64 s[20:21], s[8:9], s[10:11]
	s_load_b32 s16, s[20:21], 0x0
	s_load_b128 s[8:11], s[0:1], 0x30
	s_wait_kmcnt 0x0
	s_ashr_i32 s17, s16, 31
	s_delay_alu instid0(SALU_CYCLE_1)
	s_lshl_b64 s[20:21], s[16:17], 2
	s_cmp_lg_u32 s12, 0x71
	s_add_nc_u64 s[18:19], s[18:19], s[20:21]
	s_load_b64 s[22:23], s[18:19], 0x0
	s_wait_xcnt 0x0
	s_mul_u64 s[18:19], s[10:11], s[16:17]
	s_delay_alu instid0(SALU_CYCLE_1)
	v_add_nc_u64_e32 v[6:7], s[18:19], v[2:3]
	s_cbranch_scc0 .LBB25_8
; %bb.5:
	v_mov_b64_e32 v[4:5], 0
	s_and_saveexec_b32 s12, s2
	s_cbranch_execz .LBB25_7
; %bb.6:
	s_delay_alu instid0(VALU_DEP_2) | instskip(SKIP_1) | instid1(SALU_CYCLE_1)
	v_lshl_add_u64 v[4:5], v[6:7], 3, s[8:9]
	s_xor_b32 s13, s3, 0x80000000
	v_dual_mov_b32 v9, s15 :: v_dual_mov_b32 v11, s13
	v_dual_mov_b32 v10, s15 :: v_dual_mov_b32 v8, s3
	global_load_b64 v[4:5], v[4:5], off
	s_wait_loadcnt 0x0
	v_pk_mul_f32 v[10:11], v[4:5], v[10:11] op_sel:[1,0]
	s_delay_alu instid0(VALU_DEP_1)
	v_pk_fma_f32 v[4:5], v[8:9], v[4:5], v[10:11] op_sel_hi:[1,0,1]
.LBB25_7:
	s_or_b32 exec_lo, exec_lo, s12
	s_load_b64 s[20:21], s[0:1], 0x40
	s_cbranch_execz .LBB25_9
	s_branch .LBB25_12
.LBB25_8:
                                        ; implicit-def: $vgpr4_vgpr5
	s_load_b64 s[20:21], s[0:1], 0x40
.LBB25_9:
	v_mov_b64_e32 v[4:5], 0
	s_and_saveexec_b32 s12, s2
	s_cbranch_execz .LBB25_11
; %bb.10:
	s_delay_alu instid0(VALU_DEP_2) | instskip(SKIP_1) | instid1(SALU_CYCLE_1)
	v_lshl_add_u64 v[4:5], v[6:7], 3, s[8:9]
	s_mov_b32 s14, s3
	v_mov_b64_e32 v[6:7], s[14:15]
	global_load_b64 v[4:5], v[4:5], off
	s_wait_loadcnt 0x0
	v_pk_mul_f32 v[8:9], v[4:5], v[6:7] op_sel:[1,0] neg_hi:[1,0]
	s_delay_alu instid0(VALU_DEP_1)
	v_pk_fma_f32 v[4:5], v[6:7], v[4:5], v[8:9] op_sel:[0,0,1] op_sel_hi:[1,0,0]
.LBB25_11:
	s_or_b32 exec_lo, exec_lo, s12
.LBB25_12:
	s_delay_alu instid0(VALU_DEP_1) | instskip(SKIP_1) | instid1(VALU_DEP_3)
	v_dual_mov_b32 v7, 1.0 :: v_dual_mov_b32 v6, v4
	v_lshl_add_u64 v[2:3], v[2:3], 3, s[8:9]
	v_dual_mov_b32 v9, v5 :: v_dual_mov_b32 v14, 0
	s_delay_alu instid0(VALU_DEP_3)
	v_mov_b32_e32 v8, v7
	v_cmp_eq_u32_e64 s3, 0, v0
	s_wait_kmcnt 0x0
	s_cmp_ge_i32 s22, s23
	s_cbranch_scc1 .LBB25_55
; %bb.13:
	s_clause 0x1
	s_load_b64 s[8:9], s[0:1], 0x50
	s_load_b128 s[12:15], s[0:1], 0x20
	s_sub_co_i32 s17, s22, s4
	s_sub_co_i32 s24, s23, s4
	v_lshl_or_b32 v1, v0, 2, 0x400
	v_dual_mov_b32 v4, 0 :: v_dual_lshlrev_b32 v15, 3, v0
	v_mov_b32_e32 v16, 0
	s_cmp_eq_u32 s6, 0
	s_mov_b32 s27, s17
	s_cselect_b32 s25, -1, 0
	s_add_co_i32 s26, s16, s4
	s_wait_xcnt 0x0
	s_sub_co_i32 s0, s27, s17
	s_delay_alu instid0(SALU_CYCLE_1) | instskip(NEXT) | instid1(SALU_CYCLE_1)
	s_and_b32 s0, s0, 0x7f
	s_cmp_lg_u32 s0, 0
	s_cbranch_scc1 .LBB25_17
.LBB25_14:
	s_sub_co_i32 s1, s24, s27
	v_dual_mov_b32 v11, 0 :: v_dual_mov_b32 v10, -1.0
	v_cmp_gt_u32_e32 vcc_lo, s1, v0
	v_mov_b32_e32 v5, -1
	s_and_saveexec_b32 s1, vcc_lo
	s_cbranch_execz .LBB25_16
; %bb.15:
	v_add_nc_u32_e32 v5, s27, v0
	s_wait_kmcnt 0x0
	s_clause 0x1
	global_load_b32 v12, v5, s[12:13] scale_offset
	global_load_b64 v[10:11], v5, s[14:15] scale_offset
	s_wait_loadcnt 0x1
	s_wait_xcnt 0x0
	v_subrev_nc_u32_e32 v5, s4, v12
.LBB25_16:
	s_or_b32 exec_lo, exec_lo, s1
	ds_store_b32 v1, v5
	s_wait_loadcnt 0x0
	ds_store_b64 v15, v[10:11]
.LBB25_17:                              ; =>This Loop Header: Depth=1
                                        ;     Child Loop BB25_53 Depth 2
                                        ;       Child Loop BB25_54 Depth 3
	s_lshl_b32 s1, s0, 3
	s_wait_dscnt 0x0
	v_mov_b32_e32 v5, s1
	s_barrier_signal -1
	s_barrier_wait -1
	s_lshl_b32 s0, s0, 2
	ds_load_b64 v[10:11], v5
	v_mov_b32_e32 v5, s0
	ds_load_b32 v5, v5 offset:1024
	s_wait_dscnt 0x1
	v_readfirstlane_b32 s1, v10
	v_readfirstlane_b32 s23, v11
	s_cmp_eq_f32 s1, 0
	s_wait_dscnt 0x0
	v_readfirstlane_b32 s0, v5
	s_cselect_b32 s22, -1, 0
	s_cmp_eq_f32 s23, 0
	s_cselect_b32 s28, -1, 0
	s_delay_alu instid0(SALU_CYCLE_1)
	s_and_b32 s29, s22, s28
	s_cmp_eq_u32 s0, s16
	s_cselect_b32 s28, -1, 0
	s_cmp_lg_u32 s0, s16
	s_cselect_b32 s22, -1, 0
	s_and_b32 s29, s29, s28
	s_delay_alu instid0(SALU_CYCLE_1) | instskip(NEXT) | instid1(SALU_CYCLE_1)
	s_and_b32 s29, s25, s29
	s_and_b32 s30, s3, s29
	s_and_b32 s29, s29, exec_lo
	s_cselect_b32 s23, 0, s23
	s_cselect_b32 s1, 1.0, s1
	s_delay_alu instid0(SALU_CYCLE_1)
	v_dual_mov_b32 v17, s23 :: v_dual_mov_b32 v18, s1
	s_and_saveexec_b32 s1, s30
	s_cbranch_execz .LBB25_21
; %bb.18:                               ;   in Loop: Header=BB25_17 Depth=1
	v_mbcnt_lo_u32_b32 v5, exec_lo, 0
	s_mov_b32 s23, exec_lo
	s_delay_alu instid0(VALU_DEP_1)
	v_cmpx_eq_u32_e32 0, v5
	s_cbranch_execz .LBB25_20
; %bb.19:                               ;   in Loop: Header=BB25_17 Depth=1
	v_mov_b32_e32 v5, s26
	s_wait_kmcnt 0x0
	global_atomic_min_i32 v4, v5, s[8:9] scope:SCOPE_DEV
.LBB25_20:                              ;   in Loop: Header=BB25_17 Depth=1
	s_wait_xcnt 0x0
	s_or_b32 exec_lo, exec_lo, s23
	v_dual_mov_b32 v18, 1.0 :: v_dual_mov_b32 v17, 0
.LBB25_21:                              ;   in Loop: Header=BB25_17 Depth=1
	s_or_b32 exec_lo, exec_lo, s1
	s_mov_b32 s29, -1
	s_mov_b32 s1, 0
	s_cmp_lt_i32 s5, 1
	s_mov_b32 s23, 0
                                        ; implicit-def: $vgpr10_vgpr11
                                        ; implicit-def: $vgpr12_vgpr13
                                        ; implicit-def: $vgpr14
	s_cbranch_scc0 .LBB25_28
; %bb.22:                               ;   in Loop: Header=BB25_17 Depth=1
	s_and_b32 vcc_lo, exec_lo, s29
	s_mov_b32 s28, 4
	s_cbranch_vccnz .LBB25_35
.LBB25_23:                              ;   in Loop: Header=BB25_17 Depth=1
	s_and_b32 vcc_lo, exec_lo, s23
	s_cbranch_vccnz .LBB25_40
.LBB25_24:                              ;   in Loop: Header=BB25_17 Depth=1
	s_and_b32 vcc_lo, exec_lo, s1
	s_cbranch_vccnz .LBB25_45
.LBB25_25:                              ;   in Loop: Header=BB25_17 Depth=1
	s_mov_b32 s0, -1
	s_cmp_gt_i32 s28, 3
	s_mov_b32 s1, -1
	s_cbranch_scc0 .LBB25_48
.LBB25_26:                              ;   in Loop: Header=BB25_17 Depth=1
	s_and_not1_b32 vcc_lo, exec_lo, s1
	s_cbranch_vccz .LBB25_49
.LBB25_27:                              ;   in Loop: Header=BB25_17 Depth=1
	s_and_not1_b32 vcc_lo, exec_lo, s0
	s_cbranch_vccnz .LBB25_50
	s_branch .LBB25_56
.LBB25_28:                              ;   in Loop: Header=BB25_17 Depth=1
	s_cmp_eq_u32 s5, 1
	s_mov_b32 s23, -1
                                        ; implicit-def: $vgpr10_vgpr11
                                        ; implicit-def: $vgpr12_vgpr13
                                        ; implicit-def: $vgpr14
	s_cbranch_scc0 .LBB25_34
; %bb.29:                               ;   in Loop: Header=BB25_17 Depth=1
	v_mov_b64_e32 v[10:11], v[8:9]
	v_mov_b64_e32 v[12:13], v[6:7]
	v_mov_b32_e32 v14, v16
	s_cmp_ge_i32 s0, s16
	s_mov_b32 s23, 0
	s_cbranch_scc0 .LBB25_34
; %bb.30:                               ;   in Loop: Header=BB25_17 Depth=1
	s_and_b32 vcc_lo, exec_lo, s28
	s_mov_b32 s23, -1
                                        ; implicit-def: $vgpr10_vgpr11
                                        ; implicit-def: $vgpr12_vgpr13
                                        ; implicit-def: $vgpr14
	s_cbranch_vccz .LBB25_34
; %bb.31:                               ;   in Loop: Header=BB25_17 Depth=1
	v_mov_b64_e32 v[10:11], v[8:9]
	v_mov_b64_e32 v[12:13], v[6:7]
	v_mov_b32_e32 v14, v16
	s_and_not1_b32 vcc_lo, exec_lo, s25
	s_cbranch_vccnz .LBB25_33
; %bb.32:                               ;   in Loop: Header=BB25_17 Depth=1
	v_mul_f32_e32 v5, v17, v17
	s_delay_alu instid0(VALU_DEP_1) | instskip(NEXT) | instid1(VALU_DEP_1)
	v_fmac_f32_e32 v5, v18, v18
	v_div_scale_f32 v10, null, v5, v5, 1.0
	v_div_scale_f32 v13, vcc_lo, 1.0, v5, 1.0
	s_delay_alu instid0(VALU_DEP_2) | instskip(SKIP_1) | instid1(TRANS32_DEP_1)
	v_rcp_f32_e32 v11, v10
	v_nop
	v_fma_f32 v12, -v10, v11, 1.0
	s_delay_alu instid0(VALU_DEP_1) | instskip(NEXT) | instid1(VALU_DEP_1)
	v_fmac_f32_e32 v11, v12, v11
	v_mul_f32_e32 v12, v13, v11
	s_delay_alu instid0(VALU_DEP_1) | instskip(NEXT) | instid1(VALU_DEP_1)
	v_fma_f32 v14, -v10, v12, v13
	v_fmac_f32_e32 v12, v14, v11
	s_delay_alu instid0(VALU_DEP_1) | instskip(NEXT) | instid1(VALU_DEP_1)
	v_fma_f32 v10, -v10, v12, v13
	v_div_fmas_f32 v10, v10, v11, v12
	v_dual_fma_f32 v11, 0, v17, v18 :: v_dual_mov_b32 v12, v6
	s_delay_alu instid0(VALU_DEP_2) | instskip(SKIP_1) | instid1(VALU_DEP_1)
	v_div_fixup_f32 v5, v10, v5, 1.0
	v_fma_f32 v10, v18, 0, -v17
	v_dual_mul_f32 v13, v11, v5 :: v_dual_mul_f32 v14, v10, v5
	s_delay_alu instid0(VALU_DEP_1)
	v_dual_mov_b32 v11, v9 :: v_dual_mov_b32 v10, v13
.LBB25_33:                              ;   in Loop: Header=BB25_17 Depth=1
	s_mov_b32 s23, 0
.LBB25_34:                              ;   in Loop: Header=BB25_17 Depth=1
	s_mov_b32 s28, 4
	s_branch .LBB25_23
.LBB25_35:                              ;   in Loop: Header=BB25_17 Depth=1
	s_cmp_eq_u32 s5, 0
	s_cbranch_scc1 .LBB25_37
; %bb.36:                               ;   in Loop: Header=BB25_17 Depth=1
	s_mov_b32 s23, -1
	s_branch .LBB25_39
.LBB25_37:                              ;   in Loop: Header=BB25_17 Depth=1
	s_cmp_le_i32 s0, s16
	s_mov_b32 s23, 0
	s_cbranch_scc0 .LBB25_39
; %bb.38:                               ;   in Loop: Header=BB25_17 Depth=1
	s_mov_b32 s1, -1
	s_mov_b32 s23, s22
.LBB25_39:                              ;   in Loop: Header=BB25_17 Depth=1
	v_mov_b64_e32 v[10:11], v[8:9]
	v_mov_b64_e32 v[12:13], v[6:7]
	v_mov_b32_e32 v14, v16
	s_mov_b32 s28, 2
	s_and_b32 vcc_lo, exec_lo, s23
	s_cbranch_vccz .LBB25_24
.LBB25_40:                              ;   in Loop: Header=BB25_17 Depth=1
	s_and_saveexec_b32 s1, s3
	s_cbranch_execz .LBB25_42
; %bb.41:                               ;   in Loop: Header=BB25_17 Depth=1
	s_add_co_i32 s22, s0, s7
	s_delay_alu instid0(SALU_CYCLE_1)
	v_mov_b32_e32 v5, s22
	global_load_b32 v5, v5, s[20:21] scale_offset scope:SCOPE_DEV
	s_wait_loadcnt 0x0
	v_cmp_ne_u32_e32 vcc_lo, 0, v5
	s_cbranch_vccz .LBB25_51
.LBB25_42:                              ;   in Loop: Header=BB25_17 Depth=1
	s_wait_xcnt 0x0
	s_or_b32 exec_lo, exec_lo, s1
	v_dual_mov_b32 v5, v7 :: v_dual_mov_b32 v10, v7
	v_mov_b32_e32 v11, v4
	s_wait_storecnt 0x0
	s_barrier_signal -1
	s_delay_alu instid0(VALU_DEP_2)
	v_mov_b64_e32 v[12:13], v[4:5]
	s_barrier_wait -1
	global_inv scope:SCOPE_DEV
	s_and_saveexec_b32 s22, s2
	s_cbranch_execz .LBB25_44
; %bb.43:                               ;   in Loop: Header=BB25_17 Depth=1
	s_ashr_i32 s1, s0, 31
	s_delay_alu instid0(SALU_CYCLE_1) | instskip(NEXT) | instid1(SALU_CYCLE_1)
	s_mul_u64 s[0:1], s[10:11], s[0:1]
	v_lshl_add_u64 v[10:11], s[0:1], 3, v[2:3]
	global_load_b64 v[20:21], v[10:11], off
	s_wait_loadcnt 0x0
	v_dual_mov_b32 v10, v7 :: v_dual_fma_f32 v11, -v18, v20, v9
	v_dual_fma_f32 v5, -v17, v20, v6 :: v_dual_mov_b32 v13, v7
	s_delay_alu instid0(VALU_DEP_1)
	v_dual_fmac_f32 v11, v17, v21 :: v_dual_fma_f32 v12, -v18, v21, v5
.LBB25_44:                              ;   in Loop: Header=BB25_17 Depth=1
	s_or_b32 exec_lo, exec_lo, s22
	v_mov_b32_e32 v14, v16
	s_mov_b32 s28, 0
	s_branch .LBB25_25
.LBB25_45:                              ;   in Loop: Header=BB25_17 Depth=1
	s_and_not1_b32 vcc_lo, exec_lo, s25
	s_cbranch_vccnz .LBB25_47
; %bb.46:                               ;   in Loop: Header=BB25_17 Depth=1
	v_mul_f32_e32 v5, v17, v17
	s_delay_alu instid0(VALU_DEP_1) | instskip(NEXT) | instid1(VALU_DEP_1)
	v_fmac_f32_e32 v5, v18, v18
	v_div_scale_f32 v7, null, v5, v5, 1.0
	v_div_scale_f32 v11, vcc_lo, 1.0, v5, 1.0
	s_delay_alu instid0(VALU_DEP_2) | instskip(SKIP_1) | instid1(TRANS32_DEP_1)
	v_rcp_f32_e32 v8, v7
	v_nop
	v_fma_f32 v10, -v7, v8, 1.0
	s_delay_alu instid0(VALU_DEP_1) | instskip(NEXT) | instid1(VALU_DEP_1)
	v_fmac_f32_e32 v8, v10, v8
	v_mul_f32_e32 v10, v11, v8
	s_delay_alu instid0(VALU_DEP_1) | instskip(NEXT) | instid1(VALU_DEP_1)
	v_fma_f32 v12, -v7, v10, v11
	v_fmac_f32_e32 v10, v12, v8
	s_delay_alu instid0(VALU_DEP_1) | instskip(NEXT) | instid1(VALU_DEP_1)
	v_fma_f32 v7, -v7, v10, v11
	v_div_fmas_f32 v7, v7, v8, v10
	v_fma_f32 v8, v18, 0, -v17
	s_delay_alu instid0(VALU_DEP_2) | instskip(SKIP_1) | instid1(VALU_DEP_1)
	v_div_fixup_f32 v5, v7, v5, 1.0
	v_fma_f32 v7, 0, v17, v18
	v_dual_mul_f32 v7, v7, v5 :: v_dual_mul_f32 v16, v8, v5
	s_delay_alu instid0(VALU_DEP_1)
	v_mov_b32_e32 v8, v7
.LBB25_47:                              ;   in Loop: Header=BB25_17 Depth=1
	v_mov_b64_e32 v[12:13], v[6:7]
	s_delay_alu instid0(VALU_DEP_2) | instskip(NEXT) | instid1(VALU_DEP_4)
	v_mov_b64_e32 v[10:11], v[8:9]
	v_mov_b32_e32 v14, v16
	s_mov_b32 s28, 2
	s_mov_b32 s0, -1
	s_cmp_gt_i32 s28, 3
	s_mov_b32 s1, -1
	s_cbranch_scc1 .LBB25_26
.LBB25_48:                              ;   in Loop: Header=BB25_17 Depth=1
	s_cmp_eq_u32 s28, 0
	s_cselect_b32 s1, -1, 0
	s_delay_alu instid0(SALU_CYCLE_1)
	s_and_not1_b32 vcc_lo, exec_lo, s1
	s_cbranch_vccnz .LBB25_27
.LBB25_49:                              ;   in Loop: Header=BB25_17 Depth=1
	s_add_co_i32 s27, s27, 1
	s_delay_alu instid0(SALU_CYCLE_1) | instskip(SKIP_1) | instid1(SALU_CYCLE_1)
	s_cmp_ge_i32 s27, s24
	s_cselect_b32 s0, -1, 0
	s_and_not1_b32 vcc_lo, exec_lo, s0
	s_cbranch_vccz .LBB25_56
.LBB25_50:                              ;   in Loop: Header=BB25_17 Depth=1
	v_mov_b32_e32 v16, v14
	v_mov_b64_e32 v[6:7], v[12:13]
	v_mov_b64_e32 v[8:9], v[10:11]
	s_sub_co_i32 s0, s27, s17
	s_delay_alu instid0(SALU_CYCLE_1) | instskip(NEXT) | instid1(SALU_CYCLE_1)
	s_and_b32 s0, s0, 0x7f
	s_cmp_lg_u32 s0, 0
	s_cbranch_scc1 .LBB25_17
	s_branch .LBB25_14
.LBB25_51:                              ;   in Loop: Header=BB25_17 Depth=1
	s_ashr_i32 s23, s22, 31
	s_mov_b32 s28, 0
	s_lshl_b64 s[22:23], s[22:23], 2
	s_delay_alu instid0(SALU_CYCLE_1)
	s_add_nc_u64 s[22:23], s[20:21], s[22:23]
	s_branch .LBB25_53
.LBB25_52:                              ;   in Loop: Header=BB25_53 Depth=2
	global_load_b32 v5, v4, s[22:23] scope:SCOPE_DEV
	s_cmp_lt_u32 s28, 0xf43
	s_cselect_b32 s29, -1, 0
	s_delay_alu instid0(SALU_CYCLE_1)
	s_cmp_lg_u32 s29, 0
	s_add_co_ci_u32 s28, s28, 0
	s_wait_loadcnt 0x0
	v_cmp_ne_u32_e32 vcc_lo, 0, v5
	s_cbranch_vccnz .LBB25_42
.LBB25_53:                              ;   Parent Loop BB25_17 Depth=1
                                        ; =>  This Loop Header: Depth=2
                                        ;       Child Loop BB25_54 Depth 3
	s_cmp_eq_u32 s28, 0
	s_mov_b32 s29, s28
	s_cbranch_scc1 .LBB25_52
.LBB25_54:                              ;   Parent Loop BB25_17 Depth=1
                                        ;     Parent Loop BB25_53 Depth=2
                                        ; =>    This Inner Loop Header: Depth=3
	s_add_co_i32 s29, s29, -1
	s_sleep 1
	s_cmp_eq_u32 s29, 0
	s_cbranch_scc0 .LBB25_54
	s_branch .LBB25_52
.LBB25_55:
	v_mov_b64_e32 v[10:11], v[8:9]
	v_mov_b64_e32 v[12:13], v[6:7]
	s_and_saveexec_b32 s0, s2
	s_cbranch_execnz .LBB25_57
	s_branch .LBB25_58
.LBB25_56:
	v_dual_mov_b32 v4, v12 :: v_dual_mov_b32 v5, v11
	s_and_saveexec_b32 s0, s2
	s_cbranch_execz .LBB25_58
.LBB25_57:
	s_cmp_eq_u32 s6, 0
	s_delay_alu instid0(VALU_DEP_1) | instskip(SKIP_3) | instid1(VALU_DEP_2)
	v_xor_b32_e32 v7, 0x80000000, v12
	s_cselect_b32 vcc_lo, -1, 0
	v_mov_b32_e32 v6, v11
	v_lshl_add_u64 v[2:3], s[18:19], 3, v[2:3]
	v_pk_mul_f32 v[6:7], v[14:15], v[6:7] op_sel_hi:[0,1]
	s_delay_alu instid0(VALU_DEP_1) | instskip(NEXT) | instid1(VALU_DEP_1)
	v_pk_fma_f32 v[6:7], v[12:13], v[10:11], v[6:7]
	v_dual_cndmask_b32 v9, v4, v6 :: v_dual_cndmask_b32 v8, v5, v7
	global_store_b64 v[2:3], v[8:9], off
.LBB25_58:
	s_wait_xcnt 0x0
	s_or_b32 exec_lo, exec_lo, s0
	global_wb scope:SCOPE_DEV
	s_wait_loadcnt 0x0
	s_wait_storecnt 0x0
	global_inv scope:SCOPE_DEV
	s_wait_loadcnt 0x0
	s_barrier_signal -1
	s_barrier_wait -1
	s_mov_b32 s0, exec_lo
	v_cmpx_eq_u32_e32 0, v0
	s_cbranch_execz .LBB25_60
; %bb.59:
	s_add_co_i32 s0, s16, s7
	s_delay_alu instid0(SALU_CYCLE_1)
	v_dual_mov_b32 v0, 1 :: v_dual_mov_b32 v1, s0
	global_store_b32 v1, v0, s[20:21] scale_offset scope:SCOPE_DEV
.LBB25_60:
	s_endpgm
	.section	.rodata,"a",@progbits
	.p2align	6, 0x0
	.amdhsa_kernel _ZN9rocsparseL5csrsmILj128ELj64ELb1Eii21rocsparse_complex_numIfEEEv20rocsparse_operation_T3_S4_NS_24const_host_device_scalarIT4_EEPKT2_PKS4_PKS6_PS6_lPiSC_PS4_21rocsparse_index_base_20rocsparse_fill_mode_20rocsparse_diag_type_b
		.amdhsa_group_segment_fixed_size 1536
		.amdhsa_private_segment_fixed_size 0
		.amdhsa_kernarg_size 104
		.amdhsa_user_sgpr_count 2
		.amdhsa_user_sgpr_dispatch_ptr 0
		.amdhsa_user_sgpr_queue_ptr 0
		.amdhsa_user_sgpr_kernarg_segment_ptr 1
		.amdhsa_user_sgpr_dispatch_id 0
		.amdhsa_user_sgpr_kernarg_preload_length 0
		.amdhsa_user_sgpr_kernarg_preload_offset 0
		.amdhsa_user_sgpr_private_segment_size 0
		.amdhsa_wavefront_size32 1
		.amdhsa_uses_dynamic_stack 0
		.amdhsa_enable_private_segment 0
		.amdhsa_system_sgpr_workgroup_id_x 1
		.amdhsa_system_sgpr_workgroup_id_y 0
		.amdhsa_system_sgpr_workgroup_id_z 0
		.amdhsa_system_sgpr_workgroup_info 0
		.amdhsa_system_vgpr_workitem_id 0
		.amdhsa_next_free_vgpr 22
		.amdhsa_next_free_sgpr 31
		.amdhsa_named_barrier_count 0
		.amdhsa_reserve_vcc 1
		.amdhsa_float_round_mode_32 0
		.amdhsa_float_round_mode_16_64 0
		.amdhsa_float_denorm_mode_32 3
		.amdhsa_float_denorm_mode_16_64 3
		.amdhsa_fp16_overflow 0
		.amdhsa_memory_ordered 1
		.amdhsa_forward_progress 1
		.amdhsa_inst_pref_size 18
		.amdhsa_round_robin_scheduling 0
		.amdhsa_exception_fp_ieee_invalid_op 0
		.amdhsa_exception_fp_denorm_src 0
		.amdhsa_exception_fp_ieee_div_zero 0
		.amdhsa_exception_fp_ieee_overflow 0
		.amdhsa_exception_fp_ieee_underflow 0
		.amdhsa_exception_fp_ieee_inexact 0
		.amdhsa_exception_int_div_zero 0
	.end_amdhsa_kernel
	.section	.text._ZN9rocsparseL5csrsmILj128ELj64ELb1Eii21rocsparse_complex_numIfEEEv20rocsparse_operation_T3_S4_NS_24const_host_device_scalarIT4_EEPKT2_PKS4_PKS6_PS6_lPiSC_PS4_21rocsparse_index_base_20rocsparse_fill_mode_20rocsparse_diag_type_b,"axG",@progbits,_ZN9rocsparseL5csrsmILj128ELj64ELb1Eii21rocsparse_complex_numIfEEEv20rocsparse_operation_T3_S4_NS_24const_host_device_scalarIT4_EEPKT2_PKS4_PKS6_PS6_lPiSC_PS4_21rocsparse_index_base_20rocsparse_fill_mode_20rocsparse_diag_type_b,comdat
.Lfunc_end25:
	.size	_ZN9rocsparseL5csrsmILj128ELj64ELb1Eii21rocsparse_complex_numIfEEEv20rocsparse_operation_T3_S4_NS_24const_host_device_scalarIT4_EEPKT2_PKS4_PKS6_PS6_lPiSC_PS4_21rocsparse_index_base_20rocsparse_fill_mode_20rocsparse_diag_type_b, .Lfunc_end25-_ZN9rocsparseL5csrsmILj128ELj64ELb1Eii21rocsparse_complex_numIfEEEv20rocsparse_operation_T3_S4_NS_24const_host_device_scalarIT4_EEPKT2_PKS4_PKS6_PS6_lPiSC_PS4_21rocsparse_index_base_20rocsparse_fill_mode_20rocsparse_diag_type_b
                                        ; -- End function
	.set _ZN9rocsparseL5csrsmILj128ELj64ELb1Eii21rocsparse_complex_numIfEEEv20rocsparse_operation_T3_S4_NS_24const_host_device_scalarIT4_EEPKT2_PKS4_PKS6_PS6_lPiSC_PS4_21rocsparse_index_base_20rocsparse_fill_mode_20rocsparse_diag_type_b.num_vgpr, 22
	.set _ZN9rocsparseL5csrsmILj128ELj64ELb1Eii21rocsparse_complex_numIfEEEv20rocsparse_operation_T3_S4_NS_24const_host_device_scalarIT4_EEPKT2_PKS4_PKS6_PS6_lPiSC_PS4_21rocsparse_index_base_20rocsparse_fill_mode_20rocsparse_diag_type_b.num_agpr, 0
	.set _ZN9rocsparseL5csrsmILj128ELj64ELb1Eii21rocsparse_complex_numIfEEEv20rocsparse_operation_T3_S4_NS_24const_host_device_scalarIT4_EEPKT2_PKS4_PKS6_PS6_lPiSC_PS4_21rocsparse_index_base_20rocsparse_fill_mode_20rocsparse_diag_type_b.numbered_sgpr, 31
	.set _ZN9rocsparseL5csrsmILj128ELj64ELb1Eii21rocsparse_complex_numIfEEEv20rocsparse_operation_T3_S4_NS_24const_host_device_scalarIT4_EEPKT2_PKS4_PKS6_PS6_lPiSC_PS4_21rocsparse_index_base_20rocsparse_fill_mode_20rocsparse_diag_type_b.num_named_barrier, 0
	.set _ZN9rocsparseL5csrsmILj128ELj64ELb1Eii21rocsparse_complex_numIfEEEv20rocsparse_operation_T3_S4_NS_24const_host_device_scalarIT4_EEPKT2_PKS4_PKS6_PS6_lPiSC_PS4_21rocsparse_index_base_20rocsparse_fill_mode_20rocsparse_diag_type_b.private_seg_size, 0
	.set _ZN9rocsparseL5csrsmILj128ELj64ELb1Eii21rocsparse_complex_numIfEEEv20rocsparse_operation_T3_S4_NS_24const_host_device_scalarIT4_EEPKT2_PKS4_PKS6_PS6_lPiSC_PS4_21rocsparse_index_base_20rocsparse_fill_mode_20rocsparse_diag_type_b.uses_vcc, 1
	.set _ZN9rocsparseL5csrsmILj128ELj64ELb1Eii21rocsparse_complex_numIfEEEv20rocsparse_operation_T3_S4_NS_24const_host_device_scalarIT4_EEPKT2_PKS4_PKS6_PS6_lPiSC_PS4_21rocsparse_index_base_20rocsparse_fill_mode_20rocsparse_diag_type_b.uses_flat_scratch, 0
	.set _ZN9rocsparseL5csrsmILj128ELj64ELb1Eii21rocsparse_complex_numIfEEEv20rocsparse_operation_T3_S4_NS_24const_host_device_scalarIT4_EEPKT2_PKS4_PKS6_PS6_lPiSC_PS4_21rocsparse_index_base_20rocsparse_fill_mode_20rocsparse_diag_type_b.has_dyn_sized_stack, 0
	.set _ZN9rocsparseL5csrsmILj128ELj64ELb1Eii21rocsparse_complex_numIfEEEv20rocsparse_operation_T3_S4_NS_24const_host_device_scalarIT4_EEPKT2_PKS4_PKS6_PS6_lPiSC_PS4_21rocsparse_index_base_20rocsparse_fill_mode_20rocsparse_diag_type_b.has_recursion, 0
	.set _ZN9rocsparseL5csrsmILj128ELj64ELb1Eii21rocsparse_complex_numIfEEEv20rocsparse_operation_T3_S4_NS_24const_host_device_scalarIT4_EEPKT2_PKS4_PKS6_PS6_lPiSC_PS4_21rocsparse_index_base_20rocsparse_fill_mode_20rocsparse_diag_type_b.has_indirect_call, 0
	.section	.AMDGPU.csdata,"",@progbits
; Kernel info:
; codeLenInByte = 2184
; TotalNumSgprs: 33
; NumVgprs: 22
; ScratchSize: 0
; MemoryBound: 0
; FloatMode: 240
; IeeeMode: 1
; LDSByteSize: 1536 bytes/workgroup (compile time only)
; SGPRBlocks: 0
; VGPRBlocks: 1
; NumSGPRsForWavesPerEU: 33
; NumVGPRsForWavesPerEU: 22
; NamedBarCnt: 0
; Occupancy: 16
; WaveLimiterHint : 1
; COMPUTE_PGM_RSRC2:SCRATCH_EN: 0
; COMPUTE_PGM_RSRC2:USER_SGPR: 2
; COMPUTE_PGM_RSRC2:TRAP_HANDLER: 0
; COMPUTE_PGM_RSRC2:TGID_X_EN: 1
; COMPUTE_PGM_RSRC2:TGID_Y_EN: 0
; COMPUTE_PGM_RSRC2:TGID_Z_EN: 0
; COMPUTE_PGM_RSRC2:TIDIG_COMP_CNT: 0
	.section	.text._ZN9rocsparseL5csrsmILj128ELj64ELb0Eii21rocsparse_complex_numIfEEEv20rocsparse_operation_T3_S4_NS_24const_host_device_scalarIT4_EEPKT2_PKS4_PKS6_PS6_lPiSC_PS4_21rocsparse_index_base_20rocsparse_fill_mode_20rocsparse_diag_type_b,"axG",@progbits,_ZN9rocsparseL5csrsmILj128ELj64ELb0Eii21rocsparse_complex_numIfEEEv20rocsparse_operation_T3_S4_NS_24const_host_device_scalarIT4_EEPKT2_PKS4_PKS6_PS6_lPiSC_PS4_21rocsparse_index_base_20rocsparse_fill_mode_20rocsparse_diag_type_b,comdat
	.globl	_ZN9rocsparseL5csrsmILj128ELj64ELb0Eii21rocsparse_complex_numIfEEEv20rocsparse_operation_T3_S4_NS_24const_host_device_scalarIT4_EEPKT2_PKS4_PKS6_PS6_lPiSC_PS4_21rocsparse_index_base_20rocsparse_fill_mode_20rocsparse_diag_type_b ; -- Begin function _ZN9rocsparseL5csrsmILj128ELj64ELb0Eii21rocsparse_complex_numIfEEEv20rocsparse_operation_T3_S4_NS_24const_host_device_scalarIT4_EEPKT2_PKS4_PKS6_PS6_lPiSC_PS4_21rocsparse_index_base_20rocsparse_fill_mode_20rocsparse_diag_type_b
	.p2align	8
	.type	_ZN9rocsparseL5csrsmILj128ELj64ELb0Eii21rocsparse_complex_numIfEEEv20rocsparse_operation_T3_S4_NS_24const_host_device_scalarIT4_EEPKT2_PKS4_PKS6_PS6_lPiSC_PS4_21rocsparse_index_base_20rocsparse_fill_mode_20rocsparse_diag_type_b,@function
_ZN9rocsparseL5csrsmILj128ELj64ELb0Eii21rocsparse_complex_numIfEEEv20rocsparse_operation_T3_S4_NS_24const_host_device_scalarIT4_EEPKT2_PKS4_PKS6_PS6_lPiSC_PS4_21rocsparse_index_base_20rocsparse_fill_mode_20rocsparse_diag_type_b: ; @_ZN9rocsparseL5csrsmILj128ELj64ELb0Eii21rocsparse_complex_numIfEEEv20rocsparse_operation_T3_S4_NS_24const_host_device_scalarIT4_EEPKT2_PKS4_PKS6_PS6_lPiSC_PS4_21rocsparse_index_base_20rocsparse_fill_mode_20rocsparse_diag_type_b
; %bb.0:
	s_clause 0x1
	s_load_b128 s[4:7], s[0:1], 0x58
	s_load_b64 s[2:3], s[0:1], 0x10
	s_wait_kmcnt 0x0
	s_bitcmp1_b32 s7, 0
	s_mov_b32 s15, s2
	s_cselect_b32 s8, -1, 0
	s_delay_alu instid0(SALU_CYCLE_1)
	s_xor_b32 s7, s8, -1
	s_and_b32 vcc_lo, exec_lo, s8
	s_cbranch_vccnz .LBB26_2
; %bb.1:
	s_load_b32 s15, s[2:3], 0x0
.LBB26_2:
	s_clause 0x1
	s_load_b64 s[18:19], s[0:1], 0x18
	s_load_b64 s[8:9], s[0:1], 0x48
	s_and_not1_b32 vcc_lo, exec_lo, s7
	s_cbranch_vccnz .LBB26_4
; %bb.3:
	s_wait_xcnt 0x0
	s_load_b32 s3, s[2:3], 0x4
.LBB26_4:
	s_nop 0
	s_load_b96 s[12:14], s[0:1], 0x0
	s_bfe_u32 s10, ttmp6, 0x4000c
	s_and_b32 s7, ttmp6, 15
	s_add_co_i32 s10, s10, 1
	s_getreg_b32 s16, hwreg(HW_REG_IB_STS2, 6, 4)
	s_mul_i32 s10, ttmp9, s10
	s_delay_alu instid0(SALU_CYCLE_1) | instskip(SKIP_3) | instid1(SALU_CYCLE_2)
	s_add_co_i32 s7, s7, s10
	s_wait_kmcnt 0x0
	s_cvt_f32_u32 s2, s13
	s_sub_co_i32 s11, 0, s13
	v_rcp_iflag_f32_e32 v1, s2
	v_nop
	s_delay_alu instid0(TRANS32_DEP_1) | instskip(SKIP_1) | instid1(SALU_CYCLE_3)
	v_readfirstlane_b32 s2, v1
	s_mul_f32 s2, s2, 0x4f7ffffe
	s_cvt_u32_f32 s2, s2
	s_delay_alu instid0(SALU_CYCLE_3) | instskip(NEXT) | instid1(SALU_CYCLE_1)
	s_mul_i32 s11, s11, s2
	s_mul_hi_u32 s11, s2, s11
	s_delay_alu instid0(SALU_CYCLE_1) | instskip(SKIP_2) | instid1(SALU_CYCLE_1)
	s_add_co_i32 s2, s2, s11
	s_cmp_eq_u32 s16, 0
	s_cselect_b32 s10, ttmp9, s7
	s_mul_hi_u32 s2, s10, s2
	s_delay_alu instid0(SALU_CYCLE_1) | instskip(SKIP_2) | instid1(SALU_CYCLE_1)
	s_mul_i32 s7, s2, s13
	s_add_co_i32 s11, s2, 1
	s_sub_co_i32 s7, s10, s7
	s_sub_co_i32 s16, s7, s13
	s_cmp_ge_u32 s7, s13
	s_cselect_b32 s2, s11, s2
	s_cselect_b32 s7, s16, s7
	s_add_co_i32 s11, s2, 1
	s_cmp_ge_u32 s7, s13
	s_cselect_b32 s2, s11, s2
	s_delay_alu instid0(SALU_CYCLE_1) | instskip(SKIP_2) | instid1(SALU_CYCLE_1)
	s_mul_i32 s7, s2, s13
	v_lshl_or_b32 v2, s2, 7, v0
	s_sub_co_i32 s10, s10, s7
	s_ashr_i32 s11, s10, 31
	s_delay_alu instid0(VALU_DEP_1)
	v_ashrrev_i32_e32 v3, 31, v2
	s_lshl_b64 s[10:11], s[10:11], 2
	v_cmp_gt_i32_e64 s2, s14, v2
	s_add_nc_u64 s[20:21], s[8:9], s[10:11]
	s_load_b32 s16, s[20:21], 0x0
	s_load_b128 s[8:11], s[0:1], 0x30
	s_wait_kmcnt 0x0
	s_ashr_i32 s17, s16, 31
	s_delay_alu instid0(SALU_CYCLE_1)
	s_lshl_b64 s[20:21], s[16:17], 2
	s_cmp_lg_u32 s12, 0x71
	s_add_nc_u64 s[18:19], s[18:19], s[20:21]
	s_load_b64 s[22:23], s[18:19], 0x0
	s_wait_xcnt 0x0
	s_mul_u64 s[18:19], s[10:11], s[16:17]
	s_delay_alu instid0(SALU_CYCLE_1)
	v_add_nc_u64_e32 v[6:7], s[18:19], v[2:3]
	s_cbranch_scc0 .LBB26_8
; %bb.5:
	v_mov_b64_e32 v[4:5], 0
	s_and_saveexec_b32 s12, s2
	s_cbranch_execz .LBB26_7
; %bb.6:
	s_delay_alu instid0(VALU_DEP_2) | instskip(SKIP_1) | instid1(SALU_CYCLE_1)
	v_lshl_add_u64 v[4:5], v[6:7], 3, s[8:9]
	s_xor_b32 s13, s3, 0x80000000
	v_dual_mov_b32 v9, s15 :: v_dual_mov_b32 v11, s13
	v_dual_mov_b32 v10, s15 :: v_dual_mov_b32 v8, s3
	global_load_b64 v[4:5], v[4:5], off
	s_wait_loadcnt 0x0
	v_pk_mul_f32 v[10:11], v[4:5], v[10:11] op_sel:[1,0]
	s_delay_alu instid0(VALU_DEP_1)
	v_pk_fma_f32 v[4:5], v[8:9], v[4:5], v[10:11] op_sel_hi:[1,0,1]
.LBB26_7:
	s_or_b32 exec_lo, exec_lo, s12
	s_load_b64 s[20:21], s[0:1], 0x40
	s_cbranch_execz .LBB26_9
	s_branch .LBB26_12
.LBB26_8:
                                        ; implicit-def: $vgpr4_vgpr5
	s_load_b64 s[20:21], s[0:1], 0x40
.LBB26_9:
	v_mov_b64_e32 v[4:5], 0
	s_and_saveexec_b32 s12, s2
	s_cbranch_execz .LBB26_11
; %bb.10:
	s_delay_alu instid0(VALU_DEP_2) | instskip(SKIP_1) | instid1(SALU_CYCLE_1)
	v_lshl_add_u64 v[4:5], v[6:7], 3, s[8:9]
	s_mov_b32 s14, s3
	v_mov_b64_e32 v[6:7], s[14:15]
	global_load_b64 v[4:5], v[4:5], off
	s_wait_loadcnt 0x0
	v_pk_mul_f32 v[8:9], v[4:5], v[6:7] op_sel:[1,0] neg_hi:[1,0]
	s_delay_alu instid0(VALU_DEP_1)
	v_pk_fma_f32 v[4:5], v[6:7], v[4:5], v[8:9] op_sel:[0,0,1] op_sel_hi:[1,0,0]
.LBB26_11:
	s_or_b32 exec_lo, exec_lo, s12
.LBB26_12:
	s_delay_alu instid0(VALU_DEP_1) | instskip(SKIP_1) | instid1(VALU_DEP_3)
	v_dual_mov_b32 v7, 1.0 :: v_dual_mov_b32 v6, v4
	v_lshl_add_u64 v[2:3], v[2:3], 3, s[8:9]
	v_dual_mov_b32 v9, v5 :: v_dual_mov_b32 v14, 0
	s_delay_alu instid0(VALU_DEP_3)
	v_mov_b32_e32 v8, v7
	v_cmp_eq_u32_e64 s3, 0, v0
	s_wait_kmcnt 0x0
	s_cmp_ge_i32 s22, s23
	s_cbranch_scc1 .LBB26_53
; %bb.13:
	s_clause 0x1
	s_load_b64 s[8:9], s[0:1], 0x50
	s_load_b128 s[12:15], s[0:1], 0x20
	s_sub_co_i32 s17, s22, s4
	s_sub_co_i32 s24, s23, s4
	v_lshl_or_b32 v1, v0, 2, 0x400
	v_dual_mov_b32 v4, 0 :: v_dual_lshlrev_b32 v15, 3, v0
	v_mov_b32_e32 v16, 0
	s_cmp_eq_u32 s6, 0
	s_mov_b32 s27, s17
	s_cselect_b32 s25, -1, 0
	s_add_co_i32 s26, s16, s4
	s_wait_xcnt 0x0
	s_sub_co_i32 s0, s27, s17
	s_delay_alu instid0(SALU_CYCLE_1) | instskip(NEXT) | instid1(SALU_CYCLE_1)
	s_and_b32 s0, s0, 0x7f
	s_cmp_lg_u32 s0, 0
	s_cbranch_scc1 .LBB26_17
.LBB26_14:
	s_sub_co_i32 s1, s24, s27
	v_dual_mov_b32 v11, 0 :: v_dual_mov_b32 v10, -1.0
	v_cmp_gt_u32_e32 vcc_lo, s1, v0
	v_mov_b32_e32 v5, -1
	s_and_saveexec_b32 s1, vcc_lo
	s_cbranch_execz .LBB26_16
; %bb.15:
	v_add_nc_u32_e32 v5, s27, v0
	s_wait_kmcnt 0x0
	s_clause 0x1
	global_load_b32 v12, v5, s[12:13] scale_offset
	global_load_b64 v[10:11], v5, s[14:15] scale_offset
	s_wait_loadcnt 0x1
	s_wait_xcnt 0x0
	v_subrev_nc_u32_e32 v5, s4, v12
.LBB26_16:
	s_or_b32 exec_lo, exec_lo, s1
	ds_store_b32 v1, v5
	s_wait_loadcnt 0x0
	ds_store_b64 v15, v[10:11]
.LBB26_17:                              ; =>This Loop Header: Depth=1
                                        ;     Child Loop BB26_43 Depth 2
	s_lshl_b32 s1, s0, 3
	s_wait_dscnt 0x0
	v_mov_b32_e32 v5, s1
	s_barrier_signal -1
	s_barrier_wait -1
	s_lshl_b32 s0, s0, 2
	ds_load_b64 v[10:11], v5
	v_mov_b32_e32 v5, s0
	ds_load_b32 v5, v5 offset:1024
	s_wait_dscnt 0x1
	v_readfirstlane_b32 s1, v10
	v_readfirstlane_b32 s23, v11
	s_cmp_eq_f32 s1, 0
	s_wait_dscnt 0x0
	v_readfirstlane_b32 s0, v5
	s_cselect_b32 s22, -1, 0
	s_cmp_eq_f32 s23, 0
	s_cselect_b32 s28, -1, 0
	s_delay_alu instid0(SALU_CYCLE_1)
	s_and_b32 s29, s22, s28
	s_cmp_eq_u32 s0, s16
	s_cselect_b32 s28, -1, 0
	s_cmp_lg_u32 s0, s16
	s_cselect_b32 s22, -1, 0
	s_and_b32 s29, s29, s28
	s_delay_alu instid0(SALU_CYCLE_1) | instskip(NEXT) | instid1(SALU_CYCLE_1)
	s_and_b32 s29, s25, s29
	s_and_b32 s30, s3, s29
	s_and_b32 s29, s29, exec_lo
	s_cselect_b32 s23, 0, s23
	s_cselect_b32 s1, 1.0, s1
	s_delay_alu instid0(SALU_CYCLE_1)
	v_dual_mov_b32 v17, s23 :: v_dual_mov_b32 v18, s1
	s_and_saveexec_b32 s1, s30
	s_cbranch_execz .LBB26_21
; %bb.18:                               ;   in Loop: Header=BB26_17 Depth=1
	v_mbcnt_lo_u32_b32 v5, exec_lo, 0
	s_mov_b32 s23, exec_lo
	s_delay_alu instid0(VALU_DEP_1)
	v_cmpx_eq_u32_e32 0, v5
	s_cbranch_execz .LBB26_20
; %bb.19:                               ;   in Loop: Header=BB26_17 Depth=1
	v_mov_b32_e32 v5, s26
	s_wait_kmcnt 0x0
	global_atomic_min_i32 v4, v5, s[8:9] scope:SCOPE_DEV
.LBB26_20:                              ;   in Loop: Header=BB26_17 Depth=1
	s_wait_xcnt 0x0
	s_or_b32 exec_lo, exec_lo, s23
	v_dual_mov_b32 v18, 1.0 :: v_dual_mov_b32 v17, 0
.LBB26_21:                              ;   in Loop: Header=BB26_17 Depth=1
	s_or_b32 exec_lo, exec_lo, s1
	s_mov_b32 s29, -1
	s_mov_b32 s1, 0
	s_cmp_lt_i32 s5, 1
	s_mov_b32 s23, 0
                                        ; implicit-def: $vgpr10_vgpr11
                                        ; implicit-def: $vgpr12_vgpr13
                                        ; implicit-def: $vgpr14
	s_cbranch_scc0 .LBB26_28
; %bb.22:                               ;   in Loop: Header=BB26_17 Depth=1
	s_and_b32 vcc_lo, exec_lo, s29
	s_mov_b32 s28, 4
	s_cbranch_vccnz .LBB26_35
.LBB26_23:                              ;   in Loop: Header=BB26_17 Depth=1
	s_and_b32 vcc_lo, exec_lo, s23
	s_cbranch_vccnz .LBB26_40
.LBB26_24:                              ;   in Loop: Header=BB26_17 Depth=1
	s_and_b32 vcc_lo, exec_lo, s1
	s_cbranch_vccnz .LBB26_47
.LBB26_25:                              ;   in Loop: Header=BB26_17 Depth=1
	s_mov_b32 s0, -1
	s_cmp_gt_i32 s28, 3
	s_mov_b32 s1, -1
	s_cbranch_scc0 .LBB26_50
.LBB26_26:                              ;   in Loop: Header=BB26_17 Depth=1
	s_and_not1_b32 vcc_lo, exec_lo, s1
	s_cbranch_vccz .LBB26_51
.LBB26_27:                              ;   in Loop: Header=BB26_17 Depth=1
	s_and_not1_b32 vcc_lo, exec_lo, s0
	s_cbranch_vccnz .LBB26_52
	s_branch .LBB26_54
.LBB26_28:                              ;   in Loop: Header=BB26_17 Depth=1
	s_cmp_eq_u32 s5, 1
	s_mov_b32 s23, -1
                                        ; implicit-def: $vgpr10_vgpr11
                                        ; implicit-def: $vgpr12_vgpr13
                                        ; implicit-def: $vgpr14
	s_cbranch_scc0 .LBB26_34
; %bb.29:                               ;   in Loop: Header=BB26_17 Depth=1
	v_mov_b64_e32 v[10:11], v[8:9]
	v_mov_b64_e32 v[12:13], v[6:7]
	v_mov_b32_e32 v14, v16
	s_cmp_ge_i32 s0, s16
	s_mov_b32 s23, 0
	s_cbranch_scc0 .LBB26_34
; %bb.30:                               ;   in Loop: Header=BB26_17 Depth=1
	s_and_b32 vcc_lo, exec_lo, s28
	s_mov_b32 s23, -1
                                        ; implicit-def: $vgpr10_vgpr11
                                        ; implicit-def: $vgpr12_vgpr13
                                        ; implicit-def: $vgpr14
	s_cbranch_vccz .LBB26_34
; %bb.31:                               ;   in Loop: Header=BB26_17 Depth=1
	v_mov_b64_e32 v[10:11], v[8:9]
	v_mov_b64_e32 v[12:13], v[6:7]
	v_mov_b32_e32 v14, v16
	s_and_not1_b32 vcc_lo, exec_lo, s25
	s_cbranch_vccnz .LBB26_33
; %bb.32:                               ;   in Loop: Header=BB26_17 Depth=1
	v_mul_f32_e32 v5, v17, v17
	s_delay_alu instid0(VALU_DEP_1) | instskip(NEXT) | instid1(VALU_DEP_1)
	v_fmac_f32_e32 v5, v18, v18
	v_div_scale_f32 v10, null, v5, v5, 1.0
	v_div_scale_f32 v13, vcc_lo, 1.0, v5, 1.0
	s_delay_alu instid0(VALU_DEP_2) | instskip(SKIP_1) | instid1(TRANS32_DEP_1)
	v_rcp_f32_e32 v11, v10
	v_nop
	v_fma_f32 v12, -v10, v11, 1.0
	s_delay_alu instid0(VALU_DEP_1) | instskip(NEXT) | instid1(VALU_DEP_1)
	v_fmac_f32_e32 v11, v12, v11
	v_mul_f32_e32 v12, v13, v11
	s_delay_alu instid0(VALU_DEP_1) | instskip(NEXT) | instid1(VALU_DEP_1)
	v_fma_f32 v14, -v10, v12, v13
	v_fmac_f32_e32 v12, v14, v11
	s_delay_alu instid0(VALU_DEP_1) | instskip(NEXT) | instid1(VALU_DEP_1)
	v_fma_f32 v10, -v10, v12, v13
	v_div_fmas_f32 v10, v10, v11, v12
	v_dual_fma_f32 v11, 0, v17, v18 :: v_dual_mov_b32 v12, v6
	s_delay_alu instid0(VALU_DEP_2) | instskip(SKIP_1) | instid1(VALU_DEP_1)
	v_div_fixup_f32 v5, v10, v5, 1.0
	v_fma_f32 v10, v18, 0, -v17
	v_dual_mul_f32 v13, v11, v5 :: v_dual_mul_f32 v14, v10, v5
	s_delay_alu instid0(VALU_DEP_1)
	v_dual_mov_b32 v11, v9 :: v_dual_mov_b32 v10, v13
.LBB26_33:                              ;   in Loop: Header=BB26_17 Depth=1
	s_mov_b32 s23, 0
.LBB26_34:                              ;   in Loop: Header=BB26_17 Depth=1
	s_mov_b32 s28, 4
	s_branch .LBB26_23
.LBB26_35:                              ;   in Loop: Header=BB26_17 Depth=1
	s_cmp_eq_u32 s5, 0
	s_cbranch_scc1 .LBB26_37
; %bb.36:                               ;   in Loop: Header=BB26_17 Depth=1
	s_mov_b32 s23, -1
	s_branch .LBB26_39
.LBB26_37:                              ;   in Loop: Header=BB26_17 Depth=1
	s_cmp_le_i32 s0, s16
	s_mov_b32 s23, 0
	s_cbranch_scc0 .LBB26_39
; %bb.38:                               ;   in Loop: Header=BB26_17 Depth=1
	s_mov_b32 s1, -1
	s_mov_b32 s23, s22
.LBB26_39:                              ;   in Loop: Header=BB26_17 Depth=1
	v_mov_b64_e32 v[10:11], v[8:9]
	v_mov_b64_e32 v[12:13], v[6:7]
	v_mov_b32_e32 v14, v16
	s_mov_b32 s28, 2
	s_and_b32 vcc_lo, exec_lo, s23
	s_cbranch_vccz .LBB26_24
.LBB26_40:                              ;   in Loop: Header=BB26_17 Depth=1
	s_and_saveexec_b32 s1, s3
	s_cbranch_execz .LBB26_44
; %bb.41:                               ;   in Loop: Header=BB26_17 Depth=1
	s_add_co_i32 s22, s0, s7
	s_delay_alu instid0(SALU_CYCLE_1)
	v_mov_b32_e32 v5, s22
	global_load_b32 v5, v5, s[20:21] scale_offset scope:SCOPE_DEV
	s_wait_loadcnt 0x0
	v_cmp_ne_u32_e32 vcc_lo, 0, v5
	s_cbranch_vccnz .LBB26_44
; %bb.42:                               ;   in Loop: Header=BB26_17 Depth=1
	s_ashr_i32 s23, s22, 31
	s_delay_alu instid0(SALU_CYCLE_1) | instskip(NEXT) | instid1(SALU_CYCLE_1)
	s_lshl_b64 s[22:23], s[22:23], 2
	s_add_nc_u64 s[22:23], s[20:21], s[22:23]
.LBB26_43:                              ;   Parent Loop BB26_17 Depth=1
                                        ; =>  This Inner Loop Header: Depth=2
	global_load_b32 v5, v4, s[22:23] scope:SCOPE_DEV
	s_wait_loadcnt 0x0
	v_cmp_eq_u32_e32 vcc_lo, 0, v5
	s_cbranch_vccnz .LBB26_43
.LBB26_44:                              ;   in Loop: Header=BB26_17 Depth=1
	s_wait_xcnt 0x0
	s_or_b32 exec_lo, exec_lo, s1
	v_dual_mov_b32 v5, v7 :: v_dual_mov_b32 v10, v7
	v_mov_b32_e32 v11, v4
	s_wait_storecnt 0x0
	s_barrier_signal -1
	s_delay_alu instid0(VALU_DEP_2)
	v_mov_b64_e32 v[12:13], v[4:5]
	s_barrier_wait -1
	global_inv scope:SCOPE_DEV
	s_and_saveexec_b32 s22, s2
	s_cbranch_execz .LBB26_46
; %bb.45:                               ;   in Loop: Header=BB26_17 Depth=1
	s_ashr_i32 s1, s0, 31
	s_delay_alu instid0(SALU_CYCLE_1) | instskip(NEXT) | instid1(SALU_CYCLE_1)
	s_mul_u64 s[0:1], s[10:11], s[0:1]
	v_lshl_add_u64 v[10:11], s[0:1], 3, v[2:3]
	global_load_b64 v[20:21], v[10:11], off
	s_wait_loadcnt 0x0
	v_dual_mov_b32 v10, v7 :: v_dual_fma_f32 v11, -v18, v20, v9
	v_dual_fma_f32 v5, -v17, v20, v6 :: v_dual_mov_b32 v13, v7
	s_delay_alu instid0(VALU_DEP_1)
	v_dual_fmac_f32 v11, v17, v21 :: v_dual_fma_f32 v12, -v18, v21, v5
.LBB26_46:                              ;   in Loop: Header=BB26_17 Depth=1
	s_or_b32 exec_lo, exec_lo, s22
	v_mov_b32_e32 v14, v16
	s_mov_b32 s28, 0
	s_branch .LBB26_25
.LBB26_47:                              ;   in Loop: Header=BB26_17 Depth=1
	s_and_not1_b32 vcc_lo, exec_lo, s25
	s_cbranch_vccnz .LBB26_49
; %bb.48:                               ;   in Loop: Header=BB26_17 Depth=1
	v_mul_f32_e32 v5, v17, v17
	s_delay_alu instid0(VALU_DEP_1) | instskip(NEXT) | instid1(VALU_DEP_1)
	v_fmac_f32_e32 v5, v18, v18
	v_div_scale_f32 v7, null, v5, v5, 1.0
	v_div_scale_f32 v11, vcc_lo, 1.0, v5, 1.0
	s_delay_alu instid0(VALU_DEP_2) | instskip(SKIP_1) | instid1(TRANS32_DEP_1)
	v_rcp_f32_e32 v8, v7
	v_nop
	v_fma_f32 v10, -v7, v8, 1.0
	s_delay_alu instid0(VALU_DEP_1) | instskip(NEXT) | instid1(VALU_DEP_1)
	v_fmac_f32_e32 v8, v10, v8
	v_mul_f32_e32 v10, v11, v8
	s_delay_alu instid0(VALU_DEP_1) | instskip(NEXT) | instid1(VALU_DEP_1)
	v_fma_f32 v12, -v7, v10, v11
	v_fmac_f32_e32 v10, v12, v8
	s_delay_alu instid0(VALU_DEP_1) | instskip(NEXT) | instid1(VALU_DEP_1)
	v_fma_f32 v7, -v7, v10, v11
	v_div_fmas_f32 v7, v7, v8, v10
	v_fma_f32 v8, v18, 0, -v17
	s_delay_alu instid0(VALU_DEP_2) | instskip(SKIP_1) | instid1(VALU_DEP_1)
	v_div_fixup_f32 v5, v7, v5, 1.0
	v_fma_f32 v7, 0, v17, v18
	v_dual_mul_f32 v7, v7, v5 :: v_dual_mul_f32 v16, v8, v5
	s_delay_alu instid0(VALU_DEP_1)
	v_mov_b32_e32 v8, v7
.LBB26_49:                              ;   in Loop: Header=BB26_17 Depth=1
	v_mov_b64_e32 v[12:13], v[6:7]
	s_delay_alu instid0(VALU_DEP_2) | instskip(NEXT) | instid1(VALU_DEP_4)
	v_mov_b64_e32 v[10:11], v[8:9]
	v_mov_b32_e32 v14, v16
	s_mov_b32 s28, 2
	s_mov_b32 s0, -1
	s_cmp_gt_i32 s28, 3
	s_mov_b32 s1, -1
	s_cbranch_scc1 .LBB26_26
.LBB26_50:                              ;   in Loop: Header=BB26_17 Depth=1
	s_cmp_eq_u32 s28, 0
	s_cselect_b32 s1, -1, 0
	s_delay_alu instid0(SALU_CYCLE_1)
	s_and_not1_b32 vcc_lo, exec_lo, s1
	s_cbranch_vccnz .LBB26_27
.LBB26_51:                              ;   in Loop: Header=BB26_17 Depth=1
	s_add_co_i32 s27, s27, 1
	s_delay_alu instid0(SALU_CYCLE_1) | instskip(SKIP_1) | instid1(SALU_CYCLE_1)
	s_cmp_ge_i32 s27, s24
	s_cselect_b32 s0, -1, 0
	s_and_not1_b32 vcc_lo, exec_lo, s0
	s_cbranch_vccz .LBB26_54
.LBB26_52:                              ;   in Loop: Header=BB26_17 Depth=1
	v_mov_b32_e32 v16, v14
	v_mov_b64_e32 v[6:7], v[12:13]
	v_mov_b64_e32 v[8:9], v[10:11]
	s_sub_co_i32 s0, s27, s17
	s_delay_alu instid0(SALU_CYCLE_1) | instskip(NEXT) | instid1(SALU_CYCLE_1)
	s_and_b32 s0, s0, 0x7f
	s_cmp_lg_u32 s0, 0
	s_cbranch_scc1 .LBB26_17
	s_branch .LBB26_14
.LBB26_53:
	v_mov_b64_e32 v[10:11], v[8:9]
	v_mov_b64_e32 v[12:13], v[6:7]
	s_and_saveexec_b32 s0, s2
	s_cbranch_execnz .LBB26_55
	s_branch .LBB26_56
.LBB26_54:
	v_dual_mov_b32 v4, v12 :: v_dual_mov_b32 v5, v11
	s_and_saveexec_b32 s0, s2
	s_cbranch_execz .LBB26_56
.LBB26_55:
	s_cmp_eq_u32 s6, 0
	s_delay_alu instid0(VALU_DEP_1) | instskip(SKIP_3) | instid1(VALU_DEP_2)
	v_xor_b32_e32 v7, 0x80000000, v12
	s_cselect_b32 vcc_lo, -1, 0
	v_mov_b32_e32 v6, v11
	v_lshl_add_u64 v[2:3], s[18:19], 3, v[2:3]
	v_pk_mul_f32 v[6:7], v[14:15], v[6:7] op_sel_hi:[0,1]
	s_delay_alu instid0(VALU_DEP_1) | instskip(NEXT) | instid1(VALU_DEP_1)
	v_pk_fma_f32 v[6:7], v[12:13], v[10:11], v[6:7]
	v_dual_cndmask_b32 v9, v4, v6 :: v_dual_cndmask_b32 v8, v5, v7
	global_store_b64 v[2:3], v[8:9], off
.LBB26_56:
	s_wait_xcnt 0x0
	s_or_b32 exec_lo, exec_lo, s0
	global_wb scope:SCOPE_DEV
	s_wait_loadcnt 0x0
	s_wait_storecnt 0x0
	global_inv scope:SCOPE_DEV
	s_wait_loadcnt 0x0
	s_barrier_signal -1
	s_barrier_wait -1
	s_mov_b32 s0, exec_lo
	v_cmpx_eq_u32_e32 0, v0
	s_cbranch_execz .LBB26_58
; %bb.57:
	s_add_co_i32 s0, s16, s7
	s_delay_alu instid0(SALU_CYCLE_1)
	v_dual_mov_b32 v0, 1 :: v_dual_mov_b32 v1, s0
	global_store_b32 v1, v0, s[20:21] scale_offset scope:SCOPE_DEV
.LBB26_58:
	s_endpgm
	.section	.rodata,"a",@progbits
	.p2align	6, 0x0
	.amdhsa_kernel _ZN9rocsparseL5csrsmILj128ELj64ELb0Eii21rocsparse_complex_numIfEEEv20rocsparse_operation_T3_S4_NS_24const_host_device_scalarIT4_EEPKT2_PKS4_PKS6_PS6_lPiSC_PS4_21rocsparse_index_base_20rocsparse_fill_mode_20rocsparse_diag_type_b
		.amdhsa_group_segment_fixed_size 1536
		.amdhsa_private_segment_fixed_size 0
		.amdhsa_kernarg_size 104
		.amdhsa_user_sgpr_count 2
		.amdhsa_user_sgpr_dispatch_ptr 0
		.amdhsa_user_sgpr_queue_ptr 0
		.amdhsa_user_sgpr_kernarg_segment_ptr 1
		.amdhsa_user_sgpr_dispatch_id 0
		.amdhsa_user_sgpr_kernarg_preload_length 0
		.amdhsa_user_sgpr_kernarg_preload_offset 0
		.amdhsa_user_sgpr_private_segment_size 0
		.amdhsa_wavefront_size32 1
		.amdhsa_uses_dynamic_stack 0
		.amdhsa_enable_private_segment 0
		.amdhsa_system_sgpr_workgroup_id_x 1
		.amdhsa_system_sgpr_workgroup_id_y 0
		.amdhsa_system_sgpr_workgroup_id_z 0
		.amdhsa_system_sgpr_workgroup_info 0
		.amdhsa_system_vgpr_workitem_id 0
		.amdhsa_next_free_vgpr 22
		.amdhsa_next_free_sgpr 31
		.amdhsa_named_barrier_count 0
		.amdhsa_reserve_vcc 1
		.amdhsa_float_round_mode_32 0
		.amdhsa_float_round_mode_16_64 0
		.amdhsa_float_denorm_mode_32 3
		.amdhsa_float_denorm_mode_16_64 3
		.amdhsa_fp16_overflow 0
		.amdhsa_memory_ordered 1
		.amdhsa_forward_progress 1
		.amdhsa_inst_pref_size 17
		.amdhsa_round_robin_scheduling 0
		.amdhsa_exception_fp_ieee_invalid_op 0
		.amdhsa_exception_fp_denorm_src 0
		.amdhsa_exception_fp_ieee_div_zero 0
		.amdhsa_exception_fp_ieee_overflow 0
		.amdhsa_exception_fp_ieee_underflow 0
		.amdhsa_exception_fp_ieee_inexact 0
		.amdhsa_exception_int_div_zero 0
	.end_amdhsa_kernel
	.section	.text._ZN9rocsparseL5csrsmILj128ELj64ELb0Eii21rocsparse_complex_numIfEEEv20rocsparse_operation_T3_S4_NS_24const_host_device_scalarIT4_EEPKT2_PKS4_PKS6_PS6_lPiSC_PS4_21rocsparse_index_base_20rocsparse_fill_mode_20rocsparse_diag_type_b,"axG",@progbits,_ZN9rocsparseL5csrsmILj128ELj64ELb0Eii21rocsparse_complex_numIfEEEv20rocsparse_operation_T3_S4_NS_24const_host_device_scalarIT4_EEPKT2_PKS4_PKS6_PS6_lPiSC_PS4_21rocsparse_index_base_20rocsparse_fill_mode_20rocsparse_diag_type_b,comdat
.Lfunc_end26:
	.size	_ZN9rocsparseL5csrsmILj128ELj64ELb0Eii21rocsparse_complex_numIfEEEv20rocsparse_operation_T3_S4_NS_24const_host_device_scalarIT4_EEPKT2_PKS4_PKS6_PS6_lPiSC_PS4_21rocsparse_index_base_20rocsparse_fill_mode_20rocsparse_diag_type_b, .Lfunc_end26-_ZN9rocsparseL5csrsmILj128ELj64ELb0Eii21rocsparse_complex_numIfEEEv20rocsparse_operation_T3_S4_NS_24const_host_device_scalarIT4_EEPKT2_PKS4_PKS6_PS6_lPiSC_PS4_21rocsparse_index_base_20rocsparse_fill_mode_20rocsparse_diag_type_b
                                        ; -- End function
	.set _ZN9rocsparseL5csrsmILj128ELj64ELb0Eii21rocsparse_complex_numIfEEEv20rocsparse_operation_T3_S4_NS_24const_host_device_scalarIT4_EEPKT2_PKS4_PKS6_PS6_lPiSC_PS4_21rocsparse_index_base_20rocsparse_fill_mode_20rocsparse_diag_type_b.num_vgpr, 22
	.set _ZN9rocsparseL5csrsmILj128ELj64ELb0Eii21rocsparse_complex_numIfEEEv20rocsparse_operation_T3_S4_NS_24const_host_device_scalarIT4_EEPKT2_PKS4_PKS6_PS6_lPiSC_PS4_21rocsparse_index_base_20rocsparse_fill_mode_20rocsparse_diag_type_b.num_agpr, 0
	.set _ZN9rocsparseL5csrsmILj128ELj64ELb0Eii21rocsparse_complex_numIfEEEv20rocsparse_operation_T3_S4_NS_24const_host_device_scalarIT4_EEPKT2_PKS4_PKS6_PS6_lPiSC_PS4_21rocsparse_index_base_20rocsparse_fill_mode_20rocsparse_diag_type_b.numbered_sgpr, 31
	.set _ZN9rocsparseL5csrsmILj128ELj64ELb0Eii21rocsparse_complex_numIfEEEv20rocsparse_operation_T3_S4_NS_24const_host_device_scalarIT4_EEPKT2_PKS4_PKS6_PS6_lPiSC_PS4_21rocsparse_index_base_20rocsparse_fill_mode_20rocsparse_diag_type_b.num_named_barrier, 0
	.set _ZN9rocsparseL5csrsmILj128ELj64ELb0Eii21rocsparse_complex_numIfEEEv20rocsparse_operation_T3_S4_NS_24const_host_device_scalarIT4_EEPKT2_PKS4_PKS6_PS6_lPiSC_PS4_21rocsparse_index_base_20rocsparse_fill_mode_20rocsparse_diag_type_b.private_seg_size, 0
	.set _ZN9rocsparseL5csrsmILj128ELj64ELb0Eii21rocsparse_complex_numIfEEEv20rocsparse_operation_T3_S4_NS_24const_host_device_scalarIT4_EEPKT2_PKS4_PKS6_PS6_lPiSC_PS4_21rocsparse_index_base_20rocsparse_fill_mode_20rocsparse_diag_type_b.uses_vcc, 1
	.set _ZN9rocsparseL5csrsmILj128ELj64ELb0Eii21rocsparse_complex_numIfEEEv20rocsparse_operation_T3_S4_NS_24const_host_device_scalarIT4_EEPKT2_PKS4_PKS6_PS6_lPiSC_PS4_21rocsparse_index_base_20rocsparse_fill_mode_20rocsparse_diag_type_b.uses_flat_scratch, 0
	.set _ZN9rocsparseL5csrsmILj128ELj64ELb0Eii21rocsparse_complex_numIfEEEv20rocsparse_operation_T3_S4_NS_24const_host_device_scalarIT4_EEPKT2_PKS4_PKS6_PS6_lPiSC_PS4_21rocsparse_index_base_20rocsparse_fill_mode_20rocsparse_diag_type_b.has_dyn_sized_stack, 0
	.set _ZN9rocsparseL5csrsmILj128ELj64ELb0Eii21rocsparse_complex_numIfEEEv20rocsparse_operation_T3_S4_NS_24const_host_device_scalarIT4_EEPKT2_PKS4_PKS6_PS6_lPiSC_PS4_21rocsparse_index_base_20rocsparse_fill_mode_20rocsparse_diag_type_b.has_recursion, 0
	.set _ZN9rocsparseL5csrsmILj128ELj64ELb0Eii21rocsparse_complex_numIfEEEv20rocsparse_operation_T3_S4_NS_24const_host_device_scalarIT4_EEPKT2_PKS4_PKS6_PS6_lPiSC_PS4_21rocsparse_index_base_20rocsparse_fill_mode_20rocsparse_diag_type_b.has_indirect_call, 0
	.section	.AMDGPU.csdata,"",@progbits
; Kernel info:
; codeLenInByte = 2120
; TotalNumSgprs: 33
; NumVgprs: 22
; ScratchSize: 0
; MemoryBound: 0
; FloatMode: 240
; IeeeMode: 1
; LDSByteSize: 1536 bytes/workgroup (compile time only)
; SGPRBlocks: 0
; VGPRBlocks: 1
; NumSGPRsForWavesPerEU: 33
; NumVGPRsForWavesPerEU: 22
; NamedBarCnt: 0
; Occupancy: 16
; WaveLimiterHint : 1
; COMPUTE_PGM_RSRC2:SCRATCH_EN: 0
; COMPUTE_PGM_RSRC2:USER_SGPR: 2
; COMPUTE_PGM_RSRC2:TRAP_HANDLER: 0
; COMPUTE_PGM_RSRC2:TGID_X_EN: 1
; COMPUTE_PGM_RSRC2:TGID_Y_EN: 0
; COMPUTE_PGM_RSRC2:TGID_Z_EN: 0
; COMPUTE_PGM_RSRC2:TIDIG_COMP_CNT: 0
	.section	.text._ZN9rocsparseL5csrsmILj256ELj64ELb1Eii21rocsparse_complex_numIfEEEv20rocsparse_operation_T3_S4_NS_24const_host_device_scalarIT4_EEPKT2_PKS4_PKS6_PS6_lPiSC_PS4_21rocsparse_index_base_20rocsparse_fill_mode_20rocsparse_diag_type_b,"axG",@progbits,_ZN9rocsparseL5csrsmILj256ELj64ELb1Eii21rocsparse_complex_numIfEEEv20rocsparse_operation_T3_S4_NS_24const_host_device_scalarIT4_EEPKT2_PKS4_PKS6_PS6_lPiSC_PS4_21rocsparse_index_base_20rocsparse_fill_mode_20rocsparse_diag_type_b,comdat
	.globl	_ZN9rocsparseL5csrsmILj256ELj64ELb1Eii21rocsparse_complex_numIfEEEv20rocsparse_operation_T3_S4_NS_24const_host_device_scalarIT4_EEPKT2_PKS4_PKS6_PS6_lPiSC_PS4_21rocsparse_index_base_20rocsparse_fill_mode_20rocsparse_diag_type_b ; -- Begin function _ZN9rocsparseL5csrsmILj256ELj64ELb1Eii21rocsparse_complex_numIfEEEv20rocsparse_operation_T3_S4_NS_24const_host_device_scalarIT4_EEPKT2_PKS4_PKS6_PS6_lPiSC_PS4_21rocsparse_index_base_20rocsparse_fill_mode_20rocsparse_diag_type_b
	.p2align	8
	.type	_ZN9rocsparseL5csrsmILj256ELj64ELb1Eii21rocsparse_complex_numIfEEEv20rocsparse_operation_T3_S4_NS_24const_host_device_scalarIT4_EEPKT2_PKS4_PKS6_PS6_lPiSC_PS4_21rocsparse_index_base_20rocsparse_fill_mode_20rocsparse_diag_type_b,@function
_ZN9rocsparseL5csrsmILj256ELj64ELb1Eii21rocsparse_complex_numIfEEEv20rocsparse_operation_T3_S4_NS_24const_host_device_scalarIT4_EEPKT2_PKS4_PKS6_PS6_lPiSC_PS4_21rocsparse_index_base_20rocsparse_fill_mode_20rocsparse_diag_type_b: ; @_ZN9rocsparseL5csrsmILj256ELj64ELb1Eii21rocsparse_complex_numIfEEEv20rocsparse_operation_T3_S4_NS_24const_host_device_scalarIT4_EEPKT2_PKS4_PKS6_PS6_lPiSC_PS4_21rocsparse_index_base_20rocsparse_fill_mode_20rocsparse_diag_type_b
; %bb.0:
	s_clause 0x1
	s_load_b128 s[4:7], s[0:1], 0x58
	s_load_b64 s[2:3], s[0:1], 0x10
	s_wait_kmcnt 0x0
	s_bitcmp1_b32 s7, 0
	s_mov_b32 s15, s2
	s_cselect_b32 s8, -1, 0
	s_delay_alu instid0(SALU_CYCLE_1)
	s_xor_b32 s7, s8, -1
	s_and_b32 vcc_lo, exec_lo, s8
	s_cbranch_vccnz .LBB27_2
; %bb.1:
	s_load_b32 s15, s[2:3], 0x0
.LBB27_2:
	s_clause 0x1
	s_load_b64 s[18:19], s[0:1], 0x18
	s_load_b64 s[8:9], s[0:1], 0x48
	s_and_not1_b32 vcc_lo, exec_lo, s7
	s_cbranch_vccnz .LBB27_4
; %bb.3:
	s_wait_xcnt 0x0
	s_load_b32 s3, s[2:3], 0x4
.LBB27_4:
	s_nop 0
	s_load_b96 s[12:14], s[0:1], 0x0
	s_bfe_u32 s10, ttmp6, 0x4000c
	s_and_b32 s7, ttmp6, 15
	s_add_co_i32 s10, s10, 1
	s_getreg_b32 s16, hwreg(HW_REG_IB_STS2, 6, 4)
	s_mul_i32 s10, ttmp9, s10
	s_delay_alu instid0(SALU_CYCLE_1) | instskip(SKIP_3) | instid1(SALU_CYCLE_2)
	s_add_co_i32 s7, s7, s10
	s_wait_kmcnt 0x0
	s_cvt_f32_u32 s2, s13
	s_sub_co_i32 s11, 0, s13
	v_rcp_iflag_f32_e32 v1, s2
	v_nop
	s_delay_alu instid0(TRANS32_DEP_1) | instskip(SKIP_1) | instid1(SALU_CYCLE_3)
	v_readfirstlane_b32 s2, v1
	s_mul_f32 s2, s2, 0x4f7ffffe
	s_cvt_u32_f32 s2, s2
	s_delay_alu instid0(SALU_CYCLE_3) | instskip(NEXT) | instid1(SALU_CYCLE_1)
	s_mul_i32 s11, s11, s2
	s_mul_hi_u32 s11, s2, s11
	s_delay_alu instid0(SALU_CYCLE_1) | instskip(SKIP_2) | instid1(SALU_CYCLE_1)
	s_add_co_i32 s2, s2, s11
	s_cmp_eq_u32 s16, 0
	s_cselect_b32 s10, ttmp9, s7
	s_mul_hi_u32 s2, s10, s2
	s_delay_alu instid0(SALU_CYCLE_1) | instskip(SKIP_2) | instid1(SALU_CYCLE_1)
	s_mul_i32 s7, s2, s13
	s_add_co_i32 s11, s2, 1
	s_sub_co_i32 s7, s10, s7
	s_sub_co_i32 s16, s7, s13
	s_cmp_ge_u32 s7, s13
	s_cselect_b32 s2, s11, s2
	s_cselect_b32 s7, s16, s7
	s_add_co_i32 s11, s2, 1
	s_cmp_ge_u32 s7, s13
	s_cselect_b32 s2, s11, s2
	s_delay_alu instid0(SALU_CYCLE_1) | instskip(SKIP_2) | instid1(SALU_CYCLE_1)
	s_mul_i32 s7, s2, s13
	v_lshl_or_b32 v2, s2, 8, v0
	s_sub_co_i32 s10, s10, s7
	s_ashr_i32 s11, s10, 31
	s_delay_alu instid0(VALU_DEP_1)
	v_ashrrev_i32_e32 v3, 31, v2
	s_lshl_b64 s[10:11], s[10:11], 2
	v_cmp_gt_i32_e64 s2, s14, v2
	s_add_nc_u64 s[20:21], s[8:9], s[10:11]
	s_load_b32 s16, s[20:21], 0x0
	s_load_b128 s[8:11], s[0:1], 0x30
	s_wait_kmcnt 0x0
	s_ashr_i32 s17, s16, 31
	s_delay_alu instid0(SALU_CYCLE_1)
	s_lshl_b64 s[20:21], s[16:17], 2
	s_cmp_lg_u32 s12, 0x71
	s_add_nc_u64 s[18:19], s[18:19], s[20:21]
	s_load_b64 s[22:23], s[18:19], 0x0
	s_wait_xcnt 0x0
	s_mul_u64 s[18:19], s[10:11], s[16:17]
	s_delay_alu instid0(SALU_CYCLE_1)
	v_add_nc_u64_e32 v[6:7], s[18:19], v[2:3]
	s_cbranch_scc0 .LBB27_8
; %bb.5:
	v_mov_b64_e32 v[4:5], 0
	s_and_saveexec_b32 s12, s2
	s_cbranch_execz .LBB27_7
; %bb.6:
	s_delay_alu instid0(VALU_DEP_2) | instskip(SKIP_1) | instid1(SALU_CYCLE_1)
	v_lshl_add_u64 v[4:5], v[6:7], 3, s[8:9]
	s_xor_b32 s13, s3, 0x80000000
	v_dual_mov_b32 v9, s15 :: v_dual_mov_b32 v11, s13
	v_dual_mov_b32 v10, s15 :: v_dual_mov_b32 v8, s3
	global_load_b64 v[4:5], v[4:5], off
	s_wait_loadcnt 0x0
	v_pk_mul_f32 v[10:11], v[4:5], v[10:11] op_sel:[1,0]
	s_delay_alu instid0(VALU_DEP_1)
	v_pk_fma_f32 v[4:5], v[8:9], v[4:5], v[10:11] op_sel_hi:[1,0,1]
.LBB27_7:
	s_or_b32 exec_lo, exec_lo, s12
	s_load_b64 s[20:21], s[0:1], 0x40
	s_cbranch_execz .LBB27_9
	s_branch .LBB27_12
.LBB27_8:
                                        ; implicit-def: $vgpr4_vgpr5
	s_load_b64 s[20:21], s[0:1], 0x40
.LBB27_9:
	v_mov_b64_e32 v[4:5], 0
	s_and_saveexec_b32 s12, s2
	s_cbranch_execz .LBB27_11
; %bb.10:
	s_delay_alu instid0(VALU_DEP_2) | instskip(SKIP_1) | instid1(SALU_CYCLE_1)
	v_lshl_add_u64 v[4:5], v[6:7], 3, s[8:9]
	s_mov_b32 s14, s3
	v_mov_b64_e32 v[6:7], s[14:15]
	global_load_b64 v[4:5], v[4:5], off
	s_wait_loadcnt 0x0
	v_pk_mul_f32 v[8:9], v[4:5], v[6:7] op_sel:[1,0] neg_hi:[1,0]
	s_delay_alu instid0(VALU_DEP_1)
	v_pk_fma_f32 v[4:5], v[6:7], v[4:5], v[8:9] op_sel:[0,0,1] op_sel_hi:[1,0,0]
.LBB27_11:
	s_or_b32 exec_lo, exec_lo, s12
.LBB27_12:
	s_delay_alu instid0(VALU_DEP_1) | instskip(SKIP_1) | instid1(VALU_DEP_3)
	v_dual_mov_b32 v7, 1.0 :: v_dual_mov_b32 v6, v4
	v_lshl_add_u64 v[2:3], v[2:3], 3, s[8:9]
	v_dual_mov_b32 v9, v5 :: v_dual_mov_b32 v14, 0
	s_delay_alu instid0(VALU_DEP_3)
	v_mov_b32_e32 v8, v7
	v_cmp_eq_u32_e64 s3, 0, v0
	s_wait_kmcnt 0x0
	s_cmp_ge_i32 s22, s23
	s_cbranch_scc1 .LBB27_55
; %bb.13:
	s_clause 0x1
	s_load_b64 s[8:9], s[0:1], 0x50
	s_load_b128 s[12:15], s[0:1], 0x20
	s_sub_co_i32 s17, s22, s4
	s_sub_co_i32 s24, s23, s4
	v_lshl_or_b32 v1, v0, 2, 0x800
	v_dual_mov_b32 v4, 0 :: v_dual_lshlrev_b32 v15, 3, v0
	v_mov_b32_e32 v16, 0
	s_cmp_eq_u32 s6, 0
	s_mov_b32 s27, s17
	s_cselect_b32 s25, -1, 0
	s_add_co_i32 s26, s16, s4
	s_wait_xcnt 0x0
	s_sub_co_i32 s0, s27, s17
	s_delay_alu instid0(SALU_CYCLE_1) | instskip(NEXT) | instid1(SALU_CYCLE_1)
	s_and_b32 s0, s0, 0xff
	s_cmp_lg_u32 s0, 0
	s_cbranch_scc1 .LBB27_17
.LBB27_14:
	s_sub_co_i32 s1, s24, s27
	v_dual_mov_b32 v11, 0 :: v_dual_mov_b32 v10, -1.0
	v_cmp_gt_u32_e32 vcc_lo, s1, v0
	v_mov_b32_e32 v5, -1
	s_and_saveexec_b32 s1, vcc_lo
	s_cbranch_execz .LBB27_16
; %bb.15:
	v_add_nc_u32_e32 v5, s27, v0
	s_wait_kmcnt 0x0
	s_clause 0x1
	global_load_b32 v12, v5, s[12:13] scale_offset
	global_load_b64 v[10:11], v5, s[14:15] scale_offset
	s_wait_loadcnt 0x1
	s_wait_xcnt 0x0
	v_subrev_nc_u32_e32 v5, s4, v12
.LBB27_16:
	s_or_b32 exec_lo, exec_lo, s1
	ds_store_b32 v1, v5
	s_wait_loadcnt 0x0
	ds_store_b64 v15, v[10:11]
.LBB27_17:                              ; =>This Loop Header: Depth=1
                                        ;     Child Loop BB27_53 Depth 2
                                        ;       Child Loop BB27_54 Depth 3
	s_lshl_b32 s1, s0, 3
	s_wait_dscnt 0x0
	v_mov_b32_e32 v5, s1
	s_barrier_signal -1
	s_barrier_wait -1
	s_lshl_b32 s0, s0, 2
	ds_load_b64 v[10:11], v5
	v_mov_b32_e32 v5, s0
	ds_load_b32 v5, v5 offset:2048
	s_wait_dscnt 0x1
	v_readfirstlane_b32 s1, v10
	v_readfirstlane_b32 s23, v11
	s_cmp_eq_f32 s1, 0
	s_wait_dscnt 0x0
	v_readfirstlane_b32 s0, v5
	s_cselect_b32 s22, -1, 0
	s_cmp_eq_f32 s23, 0
	s_cselect_b32 s28, -1, 0
	s_delay_alu instid0(SALU_CYCLE_1)
	s_and_b32 s29, s22, s28
	s_cmp_eq_u32 s0, s16
	s_cselect_b32 s28, -1, 0
	s_cmp_lg_u32 s0, s16
	s_cselect_b32 s22, -1, 0
	s_and_b32 s29, s29, s28
	s_delay_alu instid0(SALU_CYCLE_1) | instskip(NEXT) | instid1(SALU_CYCLE_1)
	s_and_b32 s29, s25, s29
	s_and_b32 s30, s3, s29
	s_and_b32 s29, s29, exec_lo
	s_cselect_b32 s23, 0, s23
	s_cselect_b32 s1, 1.0, s1
	s_delay_alu instid0(SALU_CYCLE_1)
	v_dual_mov_b32 v17, s23 :: v_dual_mov_b32 v18, s1
	s_and_saveexec_b32 s1, s30
	s_cbranch_execz .LBB27_21
; %bb.18:                               ;   in Loop: Header=BB27_17 Depth=1
	v_mbcnt_lo_u32_b32 v5, exec_lo, 0
	s_mov_b32 s23, exec_lo
	s_delay_alu instid0(VALU_DEP_1)
	v_cmpx_eq_u32_e32 0, v5
	s_cbranch_execz .LBB27_20
; %bb.19:                               ;   in Loop: Header=BB27_17 Depth=1
	v_mov_b32_e32 v5, s26
	s_wait_kmcnt 0x0
	global_atomic_min_i32 v4, v5, s[8:9] scope:SCOPE_DEV
.LBB27_20:                              ;   in Loop: Header=BB27_17 Depth=1
	s_wait_xcnt 0x0
	s_or_b32 exec_lo, exec_lo, s23
	v_dual_mov_b32 v18, 1.0 :: v_dual_mov_b32 v17, 0
.LBB27_21:                              ;   in Loop: Header=BB27_17 Depth=1
	s_or_b32 exec_lo, exec_lo, s1
	s_mov_b32 s29, -1
	s_mov_b32 s1, 0
	s_cmp_lt_i32 s5, 1
	s_mov_b32 s23, 0
                                        ; implicit-def: $vgpr10_vgpr11
                                        ; implicit-def: $vgpr12_vgpr13
                                        ; implicit-def: $vgpr14
	s_cbranch_scc0 .LBB27_28
; %bb.22:                               ;   in Loop: Header=BB27_17 Depth=1
	s_and_b32 vcc_lo, exec_lo, s29
	s_mov_b32 s28, 4
	s_cbranch_vccnz .LBB27_35
.LBB27_23:                              ;   in Loop: Header=BB27_17 Depth=1
	s_and_b32 vcc_lo, exec_lo, s23
	s_cbranch_vccnz .LBB27_40
.LBB27_24:                              ;   in Loop: Header=BB27_17 Depth=1
	s_and_b32 vcc_lo, exec_lo, s1
	s_cbranch_vccnz .LBB27_45
.LBB27_25:                              ;   in Loop: Header=BB27_17 Depth=1
	s_mov_b32 s0, -1
	s_cmp_gt_i32 s28, 3
	s_mov_b32 s1, -1
	s_cbranch_scc0 .LBB27_48
.LBB27_26:                              ;   in Loop: Header=BB27_17 Depth=1
	s_and_not1_b32 vcc_lo, exec_lo, s1
	s_cbranch_vccz .LBB27_49
.LBB27_27:                              ;   in Loop: Header=BB27_17 Depth=1
	s_and_not1_b32 vcc_lo, exec_lo, s0
	s_cbranch_vccnz .LBB27_50
	s_branch .LBB27_56
.LBB27_28:                              ;   in Loop: Header=BB27_17 Depth=1
	s_cmp_eq_u32 s5, 1
	s_mov_b32 s23, -1
                                        ; implicit-def: $vgpr10_vgpr11
                                        ; implicit-def: $vgpr12_vgpr13
                                        ; implicit-def: $vgpr14
	s_cbranch_scc0 .LBB27_34
; %bb.29:                               ;   in Loop: Header=BB27_17 Depth=1
	v_mov_b64_e32 v[10:11], v[8:9]
	v_mov_b64_e32 v[12:13], v[6:7]
	v_mov_b32_e32 v14, v16
	s_cmp_ge_i32 s0, s16
	s_mov_b32 s23, 0
	s_cbranch_scc0 .LBB27_34
; %bb.30:                               ;   in Loop: Header=BB27_17 Depth=1
	s_and_b32 vcc_lo, exec_lo, s28
	s_mov_b32 s23, -1
                                        ; implicit-def: $vgpr10_vgpr11
                                        ; implicit-def: $vgpr12_vgpr13
                                        ; implicit-def: $vgpr14
	s_cbranch_vccz .LBB27_34
; %bb.31:                               ;   in Loop: Header=BB27_17 Depth=1
	v_mov_b64_e32 v[10:11], v[8:9]
	v_mov_b64_e32 v[12:13], v[6:7]
	v_mov_b32_e32 v14, v16
	s_and_not1_b32 vcc_lo, exec_lo, s25
	s_cbranch_vccnz .LBB27_33
; %bb.32:                               ;   in Loop: Header=BB27_17 Depth=1
	v_mul_f32_e32 v5, v17, v17
	s_delay_alu instid0(VALU_DEP_1) | instskip(NEXT) | instid1(VALU_DEP_1)
	v_fmac_f32_e32 v5, v18, v18
	v_div_scale_f32 v10, null, v5, v5, 1.0
	v_div_scale_f32 v13, vcc_lo, 1.0, v5, 1.0
	s_delay_alu instid0(VALU_DEP_2) | instskip(SKIP_1) | instid1(TRANS32_DEP_1)
	v_rcp_f32_e32 v11, v10
	v_nop
	v_fma_f32 v12, -v10, v11, 1.0
	s_delay_alu instid0(VALU_DEP_1) | instskip(NEXT) | instid1(VALU_DEP_1)
	v_fmac_f32_e32 v11, v12, v11
	v_mul_f32_e32 v12, v13, v11
	s_delay_alu instid0(VALU_DEP_1) | instskip(NEXT) | instid1(VALU_DEP_1)
	v_fma_f32 v14, -v10, v12, v13
	v_fmac_f32_e32 v12, v14, v11
	s_delay_alu instid0(VALU_DEP_1) | instskip(NEXT) | instid1(VALU_DEP_1)
	v_fma_f32 v10, -v10, v12, v13
	v_div_fmas_f32 v10, v10, v11, v12
	v_dual_fma_f32 v11, 0, v17, v18 :: v_dual_mov_b32 v12, v6
	s_delay_alu instid0(VALU_DEP_2) | instskip(SKIP_1) | instid1(VALU_DEP_1)
	v_div_fixup_f32 v5, v10, v5, 1.0
	v_fma_f32 v10, v18, 0, -v17
	v_dual_mul_f32 v13, v11, v5 :: v_dual_mul_f32 v14, v10, v5
	s_delay_alu instid0(VALU_DEP_1)
	v_dual_mov_b32 v11, v9 :: v_dual_mov_b32 v10, v13
.LBB27_33:                              ;   in Loop: Header=BB27_17 Depth=1
	s_mov_b32 s23, 0
.LBB27_34:                              ;   in Loop: Header=BB27_17 Depth=1
	s_mov_b32 s28, 4
	s_branch .LBB27_23
.LBB27_35:                              ;   in Loop: Header=BB27_17 Depth=1
	s_cmp_eq_u32 s5, 0
	s_cbranch_scc1 .LBB27_37
; %bb.36:                               ;   in Loop: Header=BB27_17 Depth=1
	s_mov_b32 s23, -1
	s_branch .LBB27_39
.LBB27_37:                              ;   in Loop: Header=BB27_17 Depth=1
	s_cmp_le_i32 s0, s16
	s_mov_b32 s23, 0
	s_cbranch_scc0 .LBB27_39
; %bb.38:                               ;   in Loop: Header=BB27_17 Depth=1
	s_mov_b32 s1, -1
	s_mov_b32 s23, s22
.LBB27_39:                              ;   in Loop: Header=BB27_17 Depth=1
	v_mov_b64_e32 v[10:11], v[8:9]
	v_mov_b64_e32 v[12:13], v[6:7]
	v_mov_b32_e32 v14, v16
	s_mov_b32 s28, 2
	s_and_b32 vcc_lo, exec_lo, s23
	s_cbranch_vccz .LBB27_24
.LBB27_40:                              ;   in Loop: Header=BB27_17 Depth=1
	s_and_saveexec_b32 s1, s3
	s_cbranch_execz .LBB27_42
; %bb.41:                               ;   in Loop: Header=BB27_17 Depth=1
	s_add_co_i32 s22, s0, s7
	s_delay_alu instid0(SALU_CYCLE_1)
	v_mov_b32_e32 v5, s22
	global_load_b32 v5, v5, s[20:21] scale_offset scope:SCOPE_DEV
	s_wait_loadcnt 0x0
	v_cmp_ne_u32_e32 vcc_lo, 0, v5
	s_cbranch_vccz .LBB27_51
.LBB27_42:                              ;   in Loop: Header=BB27_17 Depth=1
	s_wait_xcnt 0x0
	s_or_b32 exec_lo, exec_lo, s1
	v_dual_mov_b32 v5, v7 :: v_dual_mov_b32 v10, v7
	v_mov_b32_e32 v11, v4
	s_wait_storecnt 0x0
	s_barrier_signal -1
	s_delay_alu instid0(VALU_DEP_2)
	v_mov_b64_e32 v[12:13], v[4:5]
	s_barrier_wait -1
	global_inv scope:SCOPE_DEV
	s_and_saveexec_b32 s22, s2
	s_cbranch_execz .LBB27_44
; %bb.43:                               ;   in Loop: Header=BB27_17 Depth=1
	s_ashr_i32 s1, s0, 31
	s_delay_alu instid0(SALU_CYCLE_1) | instskip(NEXT) | instid1(SALU_CYCLE_1)
	s_mul_u64 s[0:1], s[10:11], s[0:1]
	v_lshl_add_u64 v[10:11], s[0:1], 3, v[2:3]
	global_load_b64 v[20:21], v[10:11], off
	s_wait_loadcnt 0x0
	v_dual_mov_b32 v10, v7 :: v_dual_fma_f32 v11, -v18, v20, v9
	v_dual_fma_f32 v5, -v17, v20, v6 :: v_dual_mov_b32 v13, v7
	s_delay_alu instid0(VALU_DEP_1)
	v_dual_fmac_f32 v11, v17, v21 :: v_dual_fma_f32 v12, -v18, v21, v5
.LBB27_44:                              ;   in Loop: Header=BB27_17 Depth=1
	s_or_b32 exec_lo, exec_lo, s22
	v_mov_b32_e32 v14, v16
	s_mov_b32 s28, 0
	s_branch .LBB27_25
.LBB27_45:                              ;   in Loop: Header=BB27_17 Depth=1
	s_and_not1_b32 vcc_lo, exec_lo, s25
	s_cbranch_vccnz .LBB27_47
; %bb.46:                               ;   in Loop: Header=BB27_17 Depth=1
	v_mul_f32_e32 v5, v17, v17
	s_delay_alu instid0(VALU_DEP_1) | instskip(NEXT) | instid1(VALU_DEP_1)
	v_fmac_f32_e32 v5, v18, v18
	v_div_scale_f32 v7, null, v5, v5, 1.0
	v_div_scale_f32 v11, vcc_lo, 1.0, v5, 1.0
	s_delay_alu instid0(VALU_DEP_2) | instskip(SKIP_1) | instid1(TRANS32_DEP_1)
	v_rcp_f32_e32 v8, v7
	v_nop
	v_fma_f32 v10, -v7, v8, 1.0
	s_delay_alu instid0(VALU_DEP_1) | instskip(NEXT) | instid1(VALU_DEP_1)
	v_fmac_f32_e32 v8, v10, v8
	v_mul_f32_e32 v10, v11, v8
	s_delay_alu instid0(VALU_DEP_1) | instskip(NEXT) | instid1(VALU_DEP_1)
	v_fma_f32 v12, -v7, v10, v11
	v_fmac_f32_e32 v10, v12, v8
	s_delay_alu instid0(VALU_DEP_1) | instskip(NEXT) | instid1(VALU_DEP_1)
	v_fma_f32 v7, -v7, v10, v11
	v_div_fmas_f32 v7, v7, v8, v10
	v_fma_f32 v8, v18, 0, -v17
	s_delay_alu instid0(VALU_DEP_2) | instskip(SKIP_1) | instid1(VALU_DEP_1)
	v_div_fixup_f32 v5, v7, v5, 1.0
	v_fma_f32 v7, 0, v17, v18
	v_dual_mul_f32 v7, v7, v5 :: v_dual_mul_f32 v16, v8, v5
	s_delay_alu instid0(VALU_DEP_1)
	v_mov_b32_e32 v8, v7
.LBB27_47:                              ;   in Loop: Header=BB27_17 Depth=1
	v_mov_b64_e32 v[12:13], v[6:7]
	s_delay_alu instid0(VALU_DEP_2) | instskip(NEXT) | instid1(VALU_DEP_4)
	v_mov_b64_e32 v[10:11], v[8:9]
	v_mov_b32_e32 v14, v16
	s_mov_b32 s28, 2
	s_mov_b32 s0, -1
	s_cmp_gt_i32 s28, 3
	s_mov_b32 s1, -1
	s_cbranch_scc1 .LBB27_26
.LBB27_48:                              ;   in Loop: Header=BB27_17 Depth=1
	s_cmp_eq_u32 s28, 0
	s_cselect_b32 s1, -1, 0
	s_delay_alu instid0(SALU_CYCLE_1)
	s_and_not1_b32 vcc_lo, exec_lo, s1
	s_cbranch_vccnz .LBB27_27
.LBB27_49:                              ;   in Loop: Header=BB27_17 Depth=1
	s_add_co_i32 s27, s27, 1
	s_delay_alu instid0(SALU_CYCLE_1) | instskip(SKIP_1) | instid1(SALU_CYCLE_1)
	s_cmp_ge_i32 s27, s24
	s_cselect_b32 s0, -1, 0
	s_and_not1_b32 vcc_lo, exec_lo, s0
	s_cbranch_vccz .LBB27_56
.LBB27_50:                              ;   in Loop: Header=BB27_17 Depth=1
	v_mov_b32_e32 v16, v14
	v_mov_b64_e32 v[6:7], v[12:13]
	v_mov_b64_e32 v[8:9], v[10:11]
	s_sub_co_i32 s0, s27, s17
	s_delay_alu instid0(SALU_CYCLE_1) | instskip(NEXT) | instid1(SALU_CYCLE_1)
	s_and_b32 s0, s0, 0xff
	s_cmp_lg_u32 s0, 0
	s_cbranch_scc1 .LBB27_17
	s_branch .LBB27_14
.LBB27_51:                              ;   in Loop: Header=BB27_17 Depth=1
	s_ashr_i32 s23, s22, 31
	s_mov_b32 s28, 0
	s_lshl_b64 s[22:23], s[22:23], 2
	s_delay_alu instid0(SALU_CYCLE_1)
	s_add_nc_u64 s[22:23], s[20:21], s[22:23]
	s_branch .LBB27_53
.LBB27_52:                              ;   in Loop: Header=BB27_53 Depth=2
	global_load_b32 v5, v4, s[22:23] scope:SCOPE_DEV
	s_cmp_lt_u32 s28, 0xf43
	s_cselect_b32 s29, -1, 0
	s_delay_alu instid0(SALU_CYCLE_1)
	s_cmp_lg_u32 s29, 0
	s_add_co_ci_u32 s28, s28, 0
	s_wait_loadcnt 0x0
	v_cmp_ne_u32_e32 vcc_lo, 0, v5
	s_cbranch_vccnz .LBB27_42
.LBB27_53:                              ;   Parent Loop BB27_17 Depth=1
                                        ; =>  This Loop Header: Depth=2
                                        ;       Child Loop BB27_54 Depth 3
	s_cmp_eq_u32 s28, 0
	s_mov_b32 s29, s28
	s_cbranch_scc1 .LBB27_52
.LBB27_54:                              ;   Parent Loop BB27_17 Depth=1
                                        ;     Parent Loop BB27_53 Depth=2
                                        ; =>    This Inner Loop Header: Depth=3
	s_add_co_i32 s29, s29, -1
	s_sleep 1
	s_cmp_eq_u32 s29, 0
	s_cbranch_scc0 .LBB27_54
	s_branch .LBB27_52
.LBB27_55:
	v_mov_b64_e32 v[10:11], v[8:9]
	v_mov_b64_e32 v[12:13], v[6:7]
	s_and_saveexec_b32 s0, s2
	s_cbranch_execnz .LBB27_57
	s_branch .LBB27_58
.LBB27_56:
	v_dual_mov_b32 v4, v12 :: v_dual_mov_b32 v5, v11
	s_and_saveexec_b32 s0, s2
	s_cbranch_execz .LBB27_58
.LBB27_57:
	s_cmp_eq_u32 s6, 0
	s_delay_alu instid0(VALU_DEP_1) | instskip(SKIP_3) | instid1(VALU_DEP_2)
	v_xor_b32_e32 v7, 0x80000000, v12
	s_cselect_b32 vcc_lo, -1, 0
	v_mov_b32_e32 v6, v11
	v_lshl_add_u64 v[2:3], s[18:19], 3, v[2:3]
	v_pk_mul_f32 v[6:7], v[14:15], v[6:7] op_sel_hi:[0,1]
	s_delay_alu instid0(VALU_DEP_1) | instskip(NEXT) | instid1(VALU_DEP_1)
	v_pk_fma_f32 v[6:7], v[12:13], v[10:11], v[6:7]
	v_dual_cndmask_b32 v9, v4, v6 :: v_dual_cndmask_b32 v8, v5, v7
	global_store_b64 v[2:3], v[8:9], off
.LBB27_58:
	s_wait_xcnt 0x0
	s_or_b32 exec_lo, exec_lo, s0
	global_wb scope:SCOPE_DEV
	s_wait_loadcnt 0x0
	s_wait_storecnt 0x0
	global_inv scope:SCOPE_DEV
	s_wait_loadcnt 0x0
	s_barrier_signal -1
	s_barrier_wait -1
	s_mov_b32 s0, exec_lo
	v_cmpx_eq_u32_e32 0, v0
	s_cbranch_execz .LBB27_60
; %bb.59:
	s_add_co_i32 s0, s16, s7
	s_delay_alu instid0(SALU_CYCLE_1)
	v_dual_mov_b32 v0, 1 :: v_dual_mov_b32 v1, s0
	global_store_b32 v1, v0, s[20:21] scale_offset scope:SCOPE_DEV
.LBB27_60:
	s_endpgm
	.section	.rodata,"a",@progbits
	.p2align	6, 0x0
	.amdhsa_kernel _ZN9rocsparseL5csrsmILj256ELj64ELb1Eii21rocsparse_complex_numIfEEEv20rocsparse_operation_T3_S4_NS_24const_host_device_scalarIT4_EEPKT2_PKS4_PKS6_PS6_lPiSC_PS4_21rocsparse_index_base_20rocsparse_fill_mode_20rocsparse_diag_type_b
		.amdhsa_group_segment_fixed_size 3072
		.amdhsa_private_segment_fixed_size 0
		.amdhsa_kernarg_size 104
		.amdhsa_user_sgpr_count 2
		.amdhsa_user_sgpr_dispatch_ptr 0
		.amdhsa_user_sgpr_queue_ptr 0
		.amdhsa_user_sgpr_kernarg_segment_ptr 1
		.amdhsa_user_sgpr_dispatch_id 0
		.amdhsa_user_sgpr_kernarg_preload_length 0
		.amdhsa_user_sgpr_kernarg_preload_offset 0
		.amdhsa_user_sgpr_private_segment_size 0
		.amdhsa_wavefront_size32 1
		.amdhsa_uses_dynamic_stack 0
		.amdhsa_enable_private_segment 0
		.amdhsa_system_sgpr_workgroup_id_x 1
		.amdhsa_system_sgpr_workgroup_id_y 0
		.amdhsa_system_sgpr_workgroup_id_z 0
		.amdhsa_system_sgpr_workgroup_info 0
		.amdhsa_system_vgpr_workitem_id 0
		.amdhsa_next_free_vgpr 22
		.amdhsa_next_free_sgpr 31
		.amdhsa_named_barrier_count 0
		.amdhsa_reserve_vcc 1
		.amdhsa_float_round_mode_32 0
		.amdhsa_float_round_mode_16_64 0
		.amdhsa_float_denorm_mode_32 3
		.amdhsa_float_denorm_mode_16_64 3
		.amdhsa_fp16_overflow 0
		.amdhsa_memory_ordered 1
		.amdhsa_forward_progress 1
		.amdhsa_inst_pref_size 18
		.amdhsa_round_robin_scheduling 0
		.amdhsa_exception_fp_ieee_invalid_op 0
		.amdhsa_exception_fp_denorm_src 0
		.amdhsa_exception_fp_ieee_div_zero 0
		.amdhsa_exception_fp_ieee_overflow 0
		.amdhsa_exception_fp_ieee_underflow 0
		.amdhsa_exception_fp_ieee_inexact 0
		.amdhsa_exception_int_div_zero 0
	.end_amdhsa_kernel
	.section	.text._ZN9rocsparseL5csrsmILj256ELj64ELb1Eii21rocsparse_complex_numIfEEEv20rocsparse_operation_T3_S4_NS_24const_host_device_scalarIT4_EEPKT2_PKS4_PKS6_PS6_lPiSC_PS4_21rocsparse_index_base_20rocsparse_fill_mode_20rocsparse_diag_type_b,"axG",@progbits,_ZN9rocsparseL5csrsmILj256ELj64ELb1Eii21rocsparse_complex_numIfEEEv20rocsparse_operation_T3_S4_NS_24const_host_device_scalarIT4_EEPKT2_PKS4_PKS6_PS6_lPiSC_PS4_21rocsparse_index_base_20rocsparse_fill_mode_20rocsparse_diag_type_b,comdat
.Lfunc_end27:
	.size	_ZN9rocsparseL5csrsmILj256ELj64ELb1Eii21rocsparse_complex_numIfEEEv20rocsparse_operation_T3_S4_NS_24const_host_device_scalarIT4_EEPKT2_PKS4_PKS6_PS6_lPiSC_PS4_21rocsparse_index_base_20rocsparse_fill_mode_20rocsparse_diag_type_b, .Lfunc_end27-_ZN9rocsparseL5csrsmILj256ELj64ELb1Eii21rocsparse_complex_numIfEEEv20rocsparse_operation_T3_S4_NS_24const_host_device_scalarIT4_EEPKT2_PKS4_PKS6_PS6_lPiSC_PS4_21rocsparse_index_base_20rocsparse_fill_mode_20rocsparse_diag_type_b
                                        ; -- End function
	.set _ZN9rocsparseL5csrsmILj256ELj64ELb1Eii21rocsparse_complex_numIfEEEv20rocsparse_operation_T3_S4_NS_24const_host_device_scalarIT4_EEPKT2_PKS4_PKS6_PS6_lPiSC_PS4_21rocsparse_index_base_20rocsparse_fill_mode_20rocsparse_diag_type_b.num_vgpr, 22
	.set _ZN9rocsparseL5csrsmILj256ELj64ELb1Eii21rocsparse_complex_numIfEEEv20rocsparse_operation_T3_S4_NS_24const_host_device_scalarIT4_EEPKT2_PKS4_PKS6_PS6_lPiSC_PS4_21rocsparse_index_base_20rocsparse_fill_mode_20rocsparse_diag_type_b.num_agpr, 0
	.set _ZN9rocsparseL5csrsmILj256ELj64ELb1Eii21rocsparse_complex_numIfEEEv20rocsparse_operation_T3_S4_NS_24const_host_device_scalarIT4_EEPKT2_PKS4_PKS6_PS6_lPiSC_PS4_21rocsparse_index_base_20rocsparse_fill_mode_20rocsparse_diag_type_b.numbered_sgpr, 31
	.set _ZN9rocsparseL5csrsmILj256ELj64ELb1Eii21rocsparse_complex_numIfEEEv20rocsparse_operation_T3_S4_NS_24const_host_device_scalarIT4_EEPKT2_PKS4_PKS6_PS6_lPiSC_PS4_21rocsparse_index_base_20rocsparse_fill_mode_20rocsparse_diag_type_b.num_named_barrier, 0
	.set _ZN9rocsparseL5csrsmILj256ELj64ELb1Eii21rocsparse_complex_numIfEEEv20rocsparse_operation_T3_S4_NS_24const_host_device_scalarIT4_EEPKT2_PKS4_PKS6_PS6_lPiSC_PS4_21rocsparse_index_base_20rocsparse_fill_mode_20rocsparse_diag_type_b.private_seg_size, 0
	.set _ZN9rocsparseL5csrsmILj256ELj64ELb1Eii21rocsparse_complex_numIfEEEv20rocsparse_operation_T3_S4_NS_24const_host_device_scalarIT4_EEPKT2_PKS4_PKS6_PS6_lPiSC_PS4_21rocsparse_index_base_20rocsparse_fill_mode_20rocsparse_diag_type_b.uses_vcc, 1
	.set _ZN9rocsparseL5csrsmILj256ELj64ELb1Eii21rocsparse_complex_numIfEEEv20rocsparse_operation_T3_S4_NS_24const_host_device_scalarIT4_EEPKT2_PKS4_PKS6_PS6_lPiSC_PS4_21rocsparse_index_base_20rocsparse_fill_mode_20rocsparse_diag_type_b.uses_flat_scratch, 0
	.set _ZN9rocsparseL5csrsmILj256ELj64ELb1Eii21rocsparse_complex_numIfEEEv20rocsparse_operation_T3_S4_NS_24const_host_device_scalarIT4_EEPKT2_PKS4_PKS6_PS6_lPiSC_PS4_21rocsparse_index_base_20rocsparse_fill_mode_20rocsparse_diag_type_b.has_dyn_sized_stack, 0
	.set _ZN9rocsparseL5csrsmILj256ELj64ELb1Eii21rocsparse_complex_numIfEEEv20rocsparse_operation_T3_S4_NS_24const_host_device_scalarIT4_EEPKT2_PKS4_PKS6_PS6_lPiSC_PS4_21rocsparse_index_base_20rocsparse_fill_mode_20rocsparse_diag_type_b.has_recursion, 0
	.set _ZN9rocsparseL5csrsmILj256ELj64ELb1Eii21rocsparse_complex_numIfEEEv20rocsparse_operation_T3_S4_NS_24const_host_device_scalarIT4_EEPKT2_PKS4_PKS6_PS6_lPiSC_PS4_21rocsparse_index_base_20rocsparse_fill_mode_20rocsparse_diag_type_b.has_indirect_call, 0
	.section	.AMDGPU.csdata,"",@progbits
; Kernel info:
; codeLenInByte = 2184
; TotalNumSgprs: 33
; NumVgprs: 22
; ScratchSize: 0
; MemoryBound: 0
; FloatMode: 240
; IeeeMode: 1
; LDSByteSize: 3072 bytes/workgroup (compile time only)
; SGPRBlocks: 0
; VGPRBlocks: 1
; NumSGPRsForWavesPerEU: 33
; NumVGPRsForWavesPerEU: 22
; NamedBarCnt: 0
; Occupancy: 16
; WaveLimiterHint : 1
; COMPUTE_PGM_RSRC2:SCRATCH_EN: 0
; COMPUTE_PGM_RSRC2:USER_SGPR: 2
; COMPUTE_PGM_RSRC2:TRAP_HANDLER: 0
; COMPUTE_PGM_RSRC2:TGID_X_EN: 1
; COMPUTE_PGM_RSRC2:TGID_Y_EN: 0
; COMPUTE_PGM_RSRC2:TGID_Z_EN: 0
; COMPUTE_PGM_RSRC2:TIDIG_COMP_CNT: 0
	.section	.text._ZN9rocsparseL5csrsmILj256ELj64ELb0Eii21rocsparse_complex_numIfEEEv20rocsparse_operation_T3_S4_NS_24const_host_device_scalarIT4_EEPKT2_PKS4_PKS6_PS6_lPiSC_PS4_21rocsparse_index_base_20rocsparse_fill_mode_20rocsparse_diag_type_b,"axG",@progbits,_ZN9rocsparseL5csrsmILj256ELj64ELb0Eii21rocsparse_complex_numIfEEEv20rocsparse_operation_T3_S4_NS_24const_host_device_scalarIT4_EEPKT2_PKS4_PKS6_PS6_lPiSC_PS4_21rocsparse_index_base_20rocsparse_fill_mode_20rocsparse_diag_type_b,comdat
	.globl	_ZN9rocsparseL5csrsmILj256ELj64ELb0Eii21rocsparse_complex_numIfEEEv20rocsparse_operation_T3_S4_NS_24const_host_device_scalarIT4_EEPKT2_PKS4_PKS6_PS6_lPiSC_PS4_21rocsparse_index_base_20rocsparse_fill_mode_20rocsparse_diag_type_b ; -- Begin function _ZN9rocsparseL5csrsmILj256ELj64ELb0Eii21rocsparse_complex_numIfEEEv20rocsparse_operation_T3_S4_NS_24const_host_device_scalarIT4_EEPKT2_PKS4_PKS6_PS6_lPiSC_PS4_21rocsparse_index_base_20rocsparse_fill_mode_20rocsparse_diag_type_b
	.p2align	8
	.type	_ZN9rocsparseL5csrsmILj256ELj64ELb0Eii21rocsparse_complex_numIfEEEv20rocsparse_operation_T3_S4_NS_24const_host_device_scalarIT4_EEPKT2_PKS4_PKS6_PS6_lPiSC_PS4_21rocsparse_index_base_20rocsparse_fill_mode_20rocsparse_diag_type_b,@function
_ZN9rocsparseL5csrsmILj256ELj64ELb0Eii21rocsparse_complex_numIfEEEv20rocsparse_operation_T3_S4_NS_24const_host_device_scalarIT4_EEPKT2_PKS4_PKS6_PS6_lPiSC_PS4_21rocsparse_index_base_20rocsparse_fill_mode_20rocsparse_diag_type_b: ; @_ZN9rocsparseL5csrsmILj256ELj64ELb0Eii21rocsparse_complex_numIfEEEv20rocsparse_operation_T3_S4_NS_24const_host_device_scalarIT4_EEPKT2_PKS4_PKS6_PS6_lPiSC_PS4_21rocsparse_index_base_20rocsparse_fill_mode_20rocsparse_diag_type_b
; %bb.0:
	s_clause 0x1
	s_load_b128 s[4:7], s[0:1], 0x58
	s_load_b64 s[2:3], s[0:1], 0x10
	s_wait_kmcnt 0x0
	s_bitcmp1_b32 s7, 0
	s_mov_b32 s15, s2
	s_cselect_b32 s8, -1, 0
	s_delay_alu instid0(SALU_CYCLE_1)
	s_xor_b32 s7, s8, -1
	s_and_b32 vcc_lo, exec_lo, s8
	s_cbranch_vccnz .LBB28_2
; %bb.1:
	s_load_b32 s15, s[2:3], 0x0
.LBB28_2:
	s_clause 0x1
	s_load_b64 s[18:19], s[0:1], 0x18
	s_load_b64 s[8:9], s[0:1], 0x48
	s_and_not1_b32 vcc_lo, exec_lo, s7
	s_cbranch_vccnz .LBB28_4
; %bb.3:
	s_wait_xcnt 0x0
	s_load_b32 s3, s[2:3], 0x4
.LBB28_4:
	s_nop 0
	s_load_b96 s[12:14], s[0:1], 0x0
	s_bfe_u32 s10, ttmp6, 0x4000c
	s_and_b32 s7, ttmp6, 15
	s_add_co_i32 s10, s10, 1
	s_getreg_b32 s16, hwreg(HW_REG_IB_STS2, 6, 4)
	s_mul_i32 s10, ttmp9, s10
	s_delay_alu instid0(SALU_CYCLE_1) | instskip(SKIP_3) | instid1(SALU_CYCLE_2)
	s_add_co_i32 s7, s7, s10
	s_wait_kmcnt 0x0
	s_cvt_f32_u32 s2, s13
	s_sub_co_i32 s11, 0, s13
	v_rcp_iflag_f32_e32 v1, s2
	v_nop
	s_delay_alu instid0(TRANS32_DEP_1) | instskip(SKIP_1) | instid1(SALU_CYCLE_3)
	v_readfirstlane_b32 s2, v1
	s_mul_f32 s2, s2, 0x4f7ffffe
	s_cvt_u32_f32 s2, s2
	s_delay_alu instid0(SALU_CYCLE_3) | instskip(NEXT) | instid1(SALU_CYCLE_1)
	s_mul_i32 s11, s11, s2
	s_mul_hi_u32 s11, s2, s11
	s_delay_alu instid0(SALU_CYCLE_1) | instskip(SKIP_2) | instid1(SALU_CYCLE_1)
	s_add_co_i32 s2, s2, s11
	s_cmp_eq_u32 s16, 0
	s_cselect_b32 s10, ttmp9, s7
	s_mul_hi_u32 s2, s10, s2
	s_delay_alu instid0(SALU_CYCLE_1) | instskip(SKIP_2) | instid1(SALU_CYCLE_1)
	s_mul_i32 s7, s2, s13
	s_add_co_i32 s11, s2, 1
	s_sub_co_i32 s7, s10, s7
	s_sub_co_i32 s16, s7, s13
	s_cmp_ge_u32 s7, s13
	s_cselect_b32 s2, s11, s2
	s_cselect_b32 s7, s16, s7
	s_add_co_i32 s11, s2, 1
	s_cmp_ge_u32 s7, s13
	s_cselect_b32 s2, s11, s2
	s_delay_alu instid0(SALU_CYCLE_1) | instskip(SKIP_2) | instid1(SALU_CYCLE_1)
	s_mul_i32 s7, s2, s13
	v_lshl_or_b32 v2, s2, 8, v0
	s_sub_co_i32 s10, s10, s7
	s_ashr_i32 s11, s10, 31
	s_delay_alu instid0(VALU_DEP_1)
	v_ashrrev_i32_e32 v3, 31, v2
	s_lshl_b64 s[10:11], s[10:11], 2
	v_cmp_gt_i32_e64 s2, s14, v2
	s_add_nc_u64 s[20:21], s[8:9], s[10:11]
	s_load_b32 s16, s[20:21], 0x0
	s_load_b128 s[8:11], s[0:1], 0x30
	s_wait_kmcnt 0x0
	s_ashr_i32 s17, s16, 31
	s_delay_alu instid0(SALU_CYCLE_1)
	s_lshl_b64 s[20:21], s[16:17], 2
	s_cmp_lg_u32 s12, 0x71
	s_add_nc_u64 s[18:19], s[18:19], s[20:21]
	s_load_b64 s[22:23], s[18:19], 0x0
	s_wait_xcnt 0x0
	s_mul_u64 s[18:19], s[10:11], s[16:17]
	s_delay_alu instid0(SALU_CYCLE_1)
	v_add_nc_u64_e32 v[6:7], s[18:19], v[2:3]
	s_cbranch_scc0 .LBB28_8
; %bb.5:
	v_mov_b64_e32 v[4:5], 0
	s_and_saveexec_b32 s12, s2
	s_cbranch_execz .LBB28_7
; %bb.6:
	s_delay_alu instid0(VALU_DEP_2) | instskip(SKIP_1) | instid1(SALU_CYCLE_1)
	v_lshl_add_u64 v[4:5], v[6:7], 3, s[8:9]
	s_xor_b32 s13, s3, 0x80000000
	v_dual_mov_b32 v9, s15 :: v_dual_mov_b32 v11, s13
	v_dual_mov_b32 v10, s15 :: v_dual_mov_b32 v8, s3
	global_load_b64 v[4:5], v[4:5], off
	s_wait_loadcnt 0x0
	v_pk_mul_f32 v[10:11], v[4:5], v[10:11] op_sel:[1,0]
	s_delay_alu instid0(VALU_DEP_1)
	v_pk_fma_f32 v[4:5], v[8:9], v[4:5], v[10:11] op_sel_hi:[1,0,1]
.LBB28_7:
	s_or_b32 exec_lo, exec_lo, s12
	s_load_b64 s[20:21], s[0:1], 0x40
	s_cbranch_execz .LBB28_9
	s_branch .LBB28_12
.LBB28_8:
                                        ; implicit-def: $vgpr4_vgpr5
	s_load_b64 s[20:21], s[0:1], 0x40
.LBB28_9:
	v_mov_b64_e32 v[4:5], 0
	s_and_saveexec_b32 s12, s2
	s_cbranch_execz .LBB28_11
; %bb.10:
	s_delay_alu instid0(VALU_DEP_2) | instskip(SKIP_1) | instid1(SALU_CYCLE_1)
	v_lshl_add_u64 v[4:5], v[6:7], 3, s[8:9]
	s_mov_b32 s14, s3
	v_mov_b64_e32 v[6:7], s[14:15]
	global_load_b64 v[4:5], v[4:5], off
	s_wait_loadcnt 0x0
	v_pk_mul_f32 v[8:9], v[4:5], v[6:7] op_sel:[1,0] neg_hi:[1,0]
	s_delay_alu instid0(VALU_DEP_1)
	v_pk_fma_f32 v[4:5], v[6:7], v[4:5], v[8:9] op_sel:[0,0,1] op_sel_hi:[1,0,0]
.LBB28_11:
	s_or_b32 exec_lo, exec_lo, s12
.LBB28_12:
	s_delay_alu instid0(VALU_DEP_1) | instskip(SKIP_1) | instid1(VALU_DEP_3)
	v_dual_mov_b32 v7, 1.0 :: v_dual_mov_b32 v6, v4
	v_lshl_add_u64 v[2:3], v[2:3], 3, s[8:9]
	v_dual_mov_b32 v9, v5 :: v_dual_mov_b32 v14, 0
	s_delay_alu instid0(VALU_DEP_3)
	v_mov_b32_e32 v8, v7
	v_cmp_eq_u32_e64 s3, 0, v0
	s_wait_kmcnt 0x0
	s_cmp_ge_i32 s22, s23
	s_cbranch_scc1 .LBB28_53
; %bb.13:
	s_clause 0x1
	s_load_b64 s[8:9], s[0:1], 0x50
	s_load_b128 s[12:15], s[0:1], 0x20
	s_sub_co_i32 s17, s22, s4
	s_sub_co_i32 s24, s23, s4
	v_lshl_or_b32 v1, v0, 2, 0x800
	v_dual_mov_b32 v4, 0 :: v_dual_lshlrev_b32 v15, 3, v0
	v_mov_b32_e32 v16, 0
	s_cmp_eq_u32 s6, 0
	s_mov_b32 s27, s17
	s_cselect_b32 s25, -1, 0
	s_add_co_i32 s26, s16, s4
	s_wait_xcnt 0x0
	s_sub_co_i32 s0, s27, s17
	s_delay_alu instid0(SALU_CYCLE_1) | instskip(NEXT) | instid1(SALU_CYCLE_1)
	s_and_b32 s0, s0, 0xff
	s_cmp_lg_u32 s0, 0
	s_cbranch_scc1 .LBB28_17
.LBB28_14:
	s_sub_co_i32 s1, s24, s27
	v_dual_mov_b32 v11, 0 :: v_dual_mov_b32 v10, -1.0
	v_cmp_gt_u32_e32 vcc_lo, s1, v0
	v_mov_b32_e32 v5, -1
	s_and_saveexec_b32 s1, vcc_lo
	s_cbranch_execz .LBB28_16
; %bb.15:
	v_add_nc_u32_e32 v5, s27, v0
	s_wait_kmcnt 0x0
	s_clause 0x1
	global_load_b32 v12, v5, s[12:13] scale_offset
	global_load_b64 v[10:11], v5, s[14:15] scale_offset
	s_wait_loadcnt 0x1
	s_wait_xcnt 0x0
	v_subrev_nc_u32_e32 v5, s4, v12
.LBB28_16:
	s_or_b32 exec_lo, exec_lo, s1
	ds_store_b32 v1, v5
	s_wait_loadcnt 0x0
	ds_store_b64 v15, v[10:11]
.LBB28_17:                              ; =>This Loop Header: Depth=1
                                        ;     Child Loop BB28_43 Depth 2
	s_lshl_b32 s1, s0, 3
	s_wait_dscnt 0x0
	v_mov_b32_e32 v5, s1
	s_barrier_signal -1
	s_barrier_wait -1
	s_lshl_b32 s0, s0, 2
	ds_load_b64 v[10:11], v5
	v_mov_b32_e32 v5, s0
	ds_load_b32 v5, v5 offset:2048
	s_wait_dscnt 0x1
	v_readfirstlane_b32 s1, v10
	v_readfirstlane_b32 s23, v11
	s_cmp_eq_f32 s1, 0
	s_wait_dscnt 0x0
	v_readfirstlane_b32 s0, v5
	s_cselect_b32 s22, -1, 0
	s_cmp_eq_f32 s23, 0
	s_cselect_b32 s28, -1, 0
	s_delay_alu instid0(SALU_CYCLE_1)
	s_and_b32 s29, s22, s28
	s_cmp_eq_u32 s0, s16
	s_cselect_b32 s28, -1, 0
	s_cmp_lg_u32 s0, s16
	s_cselect_b32 s22, -1, 0
	s_and_b32 s29, s29, s28
	s_delay_alu instid0(SALU_CYCLE_1) | instskip(NEXT) | instid1(SALU_CYCLE_1)
	s_and_b32 s29, s25, s29
	s_and_b32 s30, s3, s29
	s_and_b32 s29, s29, exec_lo
	s_cselect_b32 s23, 0, s23
	s_cselect_b32 s1, 1.0, s1
	s_delay_alu instid0(SALU_CYCLE_1)
	v_dual_mov_b32 v17, s23 :: v_dual_mov_b32 v18, s1
	s_and_saveexec_b32 s1, s30
	s_cbranch_execz .LBB28_21
; %bb.18:                               ;   in Loop: Header=BB28_17 Depth=1
	v_mbcnt_lo_u32_b32 v5, exec_lo, 0
	s_mov_b32 s23, exec_lo
	s_delay_alu instid0(VALU_DEP_1)
	v_cmpx_eq_u32_e32 0, v5
	s_cbranch_execz .LBB28_20
; %bb.19:                               ;   in Loop: Header=BB28_17 Depth=1
	v_mov_b32_e32 v5, s26
	s_wait_kmcnt 0x0
	global_atomic_min_i32 v4, v5, s[8:9] scope:SCOPE_DEV
.LBB28_20:                              ;   in Loop: Header=BB28_17 Depth=1
	s_wait_xcnt 0x0
	s_or_b32 exec_lo, exec_lo, s23
	v_dual_mov_b32 v18, 1.0 :: v_dual_mov_b32 v17, 0
.LBB28_21:                              ;   in Loop: Header=BB28_17 Depth=1
	s_or_b32 exec_lo, exec_lo, s1
	s_mov_b32 s29, -1
	s_mov_b32 s1, 0
	s_cmp_lt_i32 s5, 1
	s_mov_b32 s23, 0
                                        ; implicit-def: $vgpr10_vgpr11
                                        ; implicit-def: $vgpr12_vgpr13
                                        ; implicit-def: $vgpr14
	s_cbranch_scc0 .LBB28_28
; %bb.22:                               ;   in Loop: Header=BB28_17 Depth=1
	s_and_b32 vcc_lo, exec_lo, s29
	s_mov_b32 s28, 4
	s_cbranch_vccnz .LBB28_35
.LBB28_23:                              ;   in Loop: Header=BB28_17 Depth=1
	s_and_b32 vcc_lo, exec_lo, s23
	s_cbranch_vccnz .LBB28_40
.LBB28_24:                              ;   in Loop: Header=BB28_17 Depth=1
	s_and_b32 vcc_lo, exec_lo, s1
	s_cbranch_vccnz .LBB28_47
.LBB28_25:                              ;   in Loop: Header=BB28_17 Depth=1
	s_mov_b32 s0, -1
	s_cmp_gt_i32 s28, 3
	s_mov_b32 s1, -1
	s_cbranch_scc0 .LBB28_50
.LBB28_26:                              ;   in Loop: Header=BB28_17 Depth=1
	s_and_not1_b32 vcc_lo, exec_lo, s1
	s_cbranch_vccz .LBB28_51
.LBB28_27:                              ;   in Loop: Header=BB28_17 Depth=1
	s_and_not1_b32 vcc_lo, exec_lo, s0
	s_cbranch_vccnz .LBB28_52
	s_branch .LBB28_54
.LBB28_28:                              ;   in Loop: Header=BB28_17 Depth=1
	s_cmp_eq_u32 s5, 1
	s_mov_b32 s23, -1
                                        ; implicit-def: $vgpr10_vgpr11
                                        ; implicit-def: $vgpr12_vgpr13
                                        ; implicit-def: $vgpr14
	s_cbranch_scc0 .LBB28_34
; %bb.29:                               ;   in Loop: Header=BB28_17 Depth=1
	v_mov_b64_e32 v[10:11], v[8:9]
	v_mov_b64_e32 v[12:13], v[6:7]
	v_mov_b32_e32 v14, v16
	s_cmp_ge_i32 s0, s16
	s_mov_b32 s23, 0
	s_cbranch_scc0 .LBB28_34
; %bb.30:                               ;   in Loop: Header=BB28_17 Depth=1
	s_and_b32 vcc_lo, exec_lo, s28
	s_mov_b32 s23, -1
                                        ; implicit-def: $vgpr10_vgpr11
                                        ; implicit-def: $vgpr12_vgpr13
                                        ; implicit-def: $vgpr14
	s_cbranch_vccz .LBB28_34
; %bb.31:                               ;   in Loop: Header=BB28_17 Depth=1
	v_mov_b64_e32 v[10:11], v[8:9]
	v_mov_b64_e32 v[12:13], v[6:7]
	v_mov_b32_e32 v14, v16
	s_and_not1_b32 vcc_lo, exec_lo, s25
	s_cbranch_vccnz .LBB28_33
; %bb.32:                               ;   in Loop: Header=BB28_17 Depth=1
	v_mul_f32_e32 v5, v17, v17
	s_delay_alu instid0(VALU_DEP_1) | instskip(NEXT) | instid1(VALU_DEP_1)
	v_fmac_f32_e32 v5, v18, v18
	v_div_scale_f32 v10, null, v5, v5, 1.0
	v_div_scale_f32 v13, vcc_lo, 1.0, v5, 1.0
	s_delay_alu instid0(VALU_DEP_2) | instskip(SKIP_1) | instid1(TRANS32_DEP_1)
	v_rcp_f32_e32 v11, v10
	v_nop
	v_fma_f32 v12, -v10, v11, 1.0
	s_delay_alu instid0(VALU_DEP_1) | instskip(NEXT) | instid1(VALU_DEP_1)
	v_fmac_f32_e32 v11, v12, v11
	v_mul_f32_e32 v12, v13, v11
	s_delay_alu instid0(VALU_DEP_1) | instskip(NEXT) | instid1(VALU_DEP_1)
	v_fma_f32 v14, -v10, v12, v13
	v_fmac_f32_e32 v12, v14, v11
	s_delay_alu instid0(VALU_DEP_1) | instskip(NEXT) | instid1(VALU_DEP_1)
	v_fma_f32 v10, -v10, v12, v13
	v_div_fmas_f32 v10, v10, v11, v12
	v_dual_fma_f32 v11, 0, v17, v18 :: v_dual_mov_b32 v12, v6
	s_delay_alu instid0(VALU_DEP_2) | instskip(SKIP_1) | instid1(VALU_DEP_1)
	v_div_fixup_f32 v5, v10, v5, 1.0
	v_fma_f32 v10, v18, 0, -v17
	v_dual_mul_f32 v13, v11, v5 :: v_dual_mul_f32 v14, v10, v5
	s_delay_alu instid0(VALU_DEP_1)
	v_dual_mov_b32 v11, v9 :: v_dual_mov_b32 v10, v13
.LBB28_33:                              ;   in Loop: Header=BB28_17 Depth=1
	s_mov_b32 s23, 0
.LBB28_34:                              ;   in Loop: Header=BB28_17 Depth=1
	s_mov_b32 s28, 4
	s_branch .LBB28_23
.LBB28_35:                              ;   in Loop: Header=BB28_17 Depth=1
	s_cmp_eq_u32 s5, 0
	s_cbranch_scc1 .LBB28_37
; %bb.36:                               ;   in Loop: Header=BB28_17 Depth=1
	s_mov_b32 s23, -1
	s_branch .LBB28_39
.LBB28_37:                              ;   in Loop: Header=BB28_17 Depth=1
	s_cmp_le_i32 s0, s16
	s_mov_b32 s23, 0
	s_cbranch_scc0 .LBB28_39
; %bb.38:                               ;   in Loop: Header=BB28_17 Depth=1
	s_mov_b32 s1, -1
	s_mov_b32 s23, s22
.LBB28_39:                              ;   in Loop: Header=BB28_17 Depth=1
	v_mov_b64_e32 v[10:11], v[8:9]
	v_mov_b64_e32 v[12:13], v[6:7]
	v_mov_b32_e32 v14, v16
	s_mov_b32 s28, 2
	s_and_b32 vcc_lo, exec_lo, s23
	s_cbranch_vccz .LBB28_24
.LBB28_40:                              ;   in Loop: Header=BB28_17 Depth=1
	s_and_saveexec_b32 s1, s3
	s_cbranch_execz .LBB28_44
; %bb.41:                               ;   in Loop: Header=BB28_17 Depth=1
	s_add_co_i32 s22, s0, s7
	s_delay_alu instid0(SALU_CYCLE_1)
	v_mov_b32_e32 v5, s22
	global_load_b32 v5, v5, s[20:21] scale_offset scope:SCOPE_DEV
	s_wait_loadcnt 0x0
	v_cmp_ne_u32_e32 vcc_lo, 0, v5
	s_cbranch_vccnz .LBB28_44
; %bb.42:                               ;   in Loop: Header=BB28_17 Depth=1
	s_ashr_i32 s23, s22, 31
	s_delay_alu instid0(SALU_CYCLE_1) | instskip(NEXT) | instid1(SALU_CYCLE_1)
	s_lshl_b64 s[22:23], s[22:23], 2
	s_add_nc_u64 s[22:23], s[20:21], s[22:23]
.LBB28_43:                              ;   Parent Loop BB28_17 Depth=1
                                        ; =>  This Inner Loop Header: Depth=2
	global_load_b32 v5, v4, s[22:23] scope:SCOPE_DEV
	s_wait_loadcnt 0x0
	v_cmp_eq_u32_e32 vcc_lo, 0, v5
	s_cbranch_vccnz .LBB28_43
.LBB28_44:                              ;   in Loop: Header=BB28_17 Depth=1
	s_wait_xcnt 0x0
	s_or_b32 exec_lo, exec_lo, s1
	v_dual_mov_b32 v5, v7 :: v_dual_mov_b32 v10, v7
	v_mov_b32_e32 v11, v4
	s_wait_storecnt 0x0
	s_barrier_signal -1
	s_delay_alu instid0(VALU_DEP_2)
	v_mov_b64_e32 v[12:13], v[4:5]
	s_barrier_wait -1
	global_inv scope:SCOPE_DEV
	s_and_saveexec_b32 s22, s2
	s_cbranch_execz .LBB28_46
; %bb.45:                               ;   in Loop: Header=BB28_17 Depth=1
	s_ashr_i32 s1, s0, 31
	s_delay_alu instid0(SALU_CYCLE_1) | instskip(NEXT) | instid1(SALU_CYCLE_1)
	s_mul_u64 s[0:1], s[10:11], s[0:1]
	v_lshl_add_u64 v[10:11], s[0:1], 3, v[2:3]
	global_load_b64 v[20:21], v[10:11], off
	s_wait_loadcnt 0x0
	v_dual_mov_b32 v10, v7 :: v_dual_fma_f32 v11, -v18, v20, v9
	v_dual_fma_f32 v5, -v17, v20, v6 :: v_dual_mov_b32 v13, v7
	s_delay_alu instid0(VALU_DEP_1)
	v_dual_fmac_f32 v11, v17, v21 :: v_dual_fma_f32 v12, -v18, v21, v5
.LBB28_46:                              ;   in Loop: Header=BB28_17 Depth=1
	s_or_b32 exec_lo, exec_lo, s22
	v_mov_b32_e32 v14, v16
	s_mov_b32 s28, 0
	s_branch .LBB28_25
.LBB28_47:                              ;   in Loop: Header=BB28_17 Depth=1
	s_and_not1_b32 vcc_lo, exec_lo, s25
	s_cbranch_vccnz .LBB28_49
; %bb.48:                               ;   in Loop: Header=BB28_17 Depth=1
	v_mul_f32_e32 v5, v17, v17
	s_delay_alu instid0(VALU_DEP_1) | instskip(NEXT) | instid1(VALU_DEP_1)
	v_fmac_f32_e32 v5, v18, v18
	v_div_scale_f32 v7, null, v5, v5, 1.0
	v_div_scale_f32 v11, vcc_lo, 1.0, v5, 1.0
	s_delay_alu instid0(VALU_DEP_2) | instskip(SKIP_1) | instid1(TRANS32_DEP_1)
	v_rcp_f32_e32 v8, v7
	v_nop
	v_fma_f32 v10, -v7, v8, 1.0
	s_delay_alu instid0(VALU_DEP_1) | instskip(NEXT) | instid1(VALU_DEP_1)
	v_fmac_f32_e32 v8, v10, v8
	v_mul_f32_e32 v10, v11, v8
	s_delay_alu instid0(VALU_DEP_1) | instskip(NEXT) | instid1(VALU_DEP_1)
	v_fma_f32 v12, -v7, v10, v11
	v_fmac_f32_e32 v10, v12, v8
	s_delay_alu instid0(VALU_DEP_1) | instskip(NEXT) | instid1(VALU_DEP_1)
	v_fma_f32 v7, -v7, v10, v11
	v_div_fmas_f32 v7, v7, v8, v10
	v_fma_f32 v8, v18, 0, -v17
	s_delay_alu instid0(VALU_DEP_2) | instskip(SKIP_1) | instid1(VALU_DEP_1)
	v_div_fixup_f32 v5, v7, v5, 1.0
	v_fma_f32 v7, 0, v17, v18
	v_dual_mul_f32 v7, v7, v5 :: v_dual_mul_f32 v16, v8, v5
	s_delay_alu instid0(VALU_DEP_1)
	v_mov_b32_e32 v8, v7
.LBB28_49:                              ;   in Loop: Header=BB28_17 Depth=1
	v_mov_b64_e32 v[12:13], v[6:7]
	s_delay_alu instid0(VALU_DEP_2) | instskip(NEXT) | instid1(VALU_DEP_4)
	v_mov_b64_e32 v[10:11], v[8:9]
	v_mov_b32_e32 v14, v16
	s_mov_b32 s28, 2
	s_mov_b32 s0, -1
	s_cmp_gt_i32 s28, 3
	s_mov_b32 s1, -1
	s_cbranch_scc1 .LBB28_26
.LBB28_50:                              ;   in Loop: Header=BB28_17 Depth=1
	s_cmp_eq_u32 s28, 0
	s_cselect_b32 s1, -1, 0
	s_delay_alu instid0(SALU_CYCLE_1)
	s_and_not1_b32 vcc_lo, exec_lo, s1
	s_cbranch_vccnz .LBB28_27
.LBB28_51:                              ;   in Loop: Header=BB28_17 Depth=1
	s_add_co_i32 s27, s27, 1
	s_delay_alu instid0(SALU_CYCLE_1) | instskip(SKIP_1) | instid1(SALU_CYCLE_1)
	s_cmp_ge_i32 s27, s24
	s_cselect_b32 s0, -1, 0
	s_and_not1_b32 vcc_lo, exec_lo, s0
	s_cbranch_vccz .LBB28_54
.LBB28_52:                              ;   in Loop: Header=BB28_17 Depth=1
	v_mov_b32_e32 v16, v14
	v_mov_b64_e32 v[6:7], v[12:13]
	v_mov_b64_e32 v[8:9], v[10:11]
	s_sub_co_i32 s0, s27, s17
	s_delay_alu instid0(SALU_CYCLE_1) | instskip(NEXT) | instid1(SALU_CYCLE_1)
	s_and_b32 s0, s0, 0xff
	s_cmp_lg_u32 s0, 0
	s_cbranch_scc1 .LBB28_17
	s_branch .LBB28_14
.LBB28_53:
	v_mov_b64_e32 v[10:11], v[8:9]
	v_mov_b64_e32 v[12:13], v[6:7]
	s_and_saveexec_b32 s0, s2
	s_cbranch_execnz .LBB28_55
	s_branch .LBB28_56
.LBB28_54:
	v_dual_mov_b32 v4, v12 :: v_dual_mov_b32 v5, v11
	s_and_saveexec_b32 s0, s2
	s_cbranch_execz .LBB28_56
.LBB28_55:
	s_cmp_eq_u32 s6, 0
	s_delay_alu instid0(VALU_DEP_1) | instskip(SKIP_3) | instid1(VALU_DEP_2)
	v_xor_b32_e32 v7, 0x80000000, v12
	s_cselect_b32 vcc_lo, -1, 0
	v_mov_b32_e32 v6, v11
	v_lshl_add_u64 v[2:3], s[18:19], 3, v[2:3]
	v_pk_mul_f32 v[6:7], v[14:15], v[6:7] op_sel_hi:[0,1]
	s_delay_alu instid0(VALU_DEP_1) | instskip(NEXT) | instid1(VALU_DEP_1)
	v_pk_fma_f32 v[6:7], v[12:13], v[10:11], v[6:7]
	v_dual_cndmask_b32 v9, v4, v6 :: v_dual_cndmask_b32 v8, v5, v7
	global_store_b64 v[2:3], v[8:9], off
.LBB28_56:
	s_wait_xcnt 0x0
	s_or_b32 exec_lo, exec_lo, s0
	global_wb scope:SCOPE_DEV
	s_wait_loadcnt 0x0
	s_wait_storecnt 0x0
	global_inv scope:SCOPE_DEV
	s_wait_loadcnt 0x0
	s_barrier_signal -1
	s_barrier_wait -1
	s_mov_b32 s0, exec_lo
	v_cmpx_eq_u32_e32 0, v0
	s_cbranch_execz .LBB28_58
; %bb.57:
	s_add_co_i32 s0, s16, s7
	s_delay_alu instid0(SALU_CYCLE_1)
	v_dual_mov_b32 v0, 1 :: v_dual_mov_b32 v1, s0
	global_store_b32 v1, v0, s[20:21] scale_offset scope:SCOPE_DEV
.LBB28_58:
	s_endpgm
	.section	.rodata,"a",@progbits
	.p2align	6, 0x0
	.amdhsa_kernel _ZN9rocsparseL5csrsmILj256ELj64ELb0Eii21rocsparse_complex_numIfEEEv20rocsparse_operation_T3_S4_NS_24const_host_device_scalarIT4_EEPKT2_PKS4_PKS6_PS6_lPiSC_PS4_21rocsparse_index_base_20rocsparse_fill_mode_20rocsparse_diag_type_b
		.amdhsa_group_segment_fixed_size 3072
		.amdhsa_private_segment_fixed_size 0
		.amdhsa_kernarg_size 104
		.amdhsa_user_sgpr_count 2
		.amdhsa_user_sgpr_dispatch_ptr 0
		.amdhsa_user_sgpr_queue_ptr 0
		.amdhsa_user_sgpr_kernarg_segment_ptr 1
		.amdhsa_user_sgpr_dispatch_id 0
		.amdhsa_user_sgpr_kernarg_preload_length 0
		.amdhsa_user_sgpr_kernarg_preload_offset 0
		.amdhsa_user_sgpr_private_segment_size 0
		.amdhsa_wavefront_size32 1
		.amdhsa_uses_dynamic_stack 0
		.amdhsa_enable_private_segment 0
		.amdhsa_system_sgpr_workgroup_id_x 1
		.amdhsa_system_sgpr_workgroup_id_y 0
		.amdhsa_system_sgpr_workgroup_id_z 0
		.amdhsa_system_sgpr_workgroup_info 0
		.amdhsa_system_vgpr_workitem_id 0
		.amdhsa_next_free_vgpr 22
		.amdhsa_next_free_sgpr 31
		.amdhsa_named_barrier_count 0
		.amdhsa_reserve_vcc 1
		.amdhsa_float_round_mode_32 0
		.amdhsa_float_round_mode_16_64 0
		.amdhsa_float_denorm_mode_32 3
		.amdhsa_float_denorm_mode_16_64 3
		.amdhsa_fp16_overflow 0
		.amdhsa_memory_ordered 1
		.amdhsa_forward_progress 1
		.amdhsa_inst_pref_size 17
		.amdhsa_round_robin_scheduling 0
		.amdhsa_exception_fp_ieee_invalid_op 0
		.amdhsa_exception_fp_denorm_src 0
		.amdhsa_exception_fp_ieee_div_zero 0
		.amdhsa_exception_fp_ieee_overflow 0
		.amdhsa_exception_fp_ieee_underflow 0
		.amdhsa_exception_fp_ieee_inexact 0
		.amdhsa_exception_int_div_zero 0
	.end_amdhsa_kernel
	.section	.text._ZN9rocsparseL5csrsmILj256ELj64ELb0Eii21rocsparse_complex_numIfEEEv20rocsparse_operation_T3_S4_NS_24const_host_device_scalarIT4_EEPKT2_PKS4_PKS6_PS6_lPiSC_PS4_21rocsparse_index_base_20rocsparse_fill_mode_20rocsparse_diag_type_b,"axG",@progbits,_ZN9rocsparseL5csrsmILj256ELj64ELb0Eii21rocsparse_complex_numIfEEEv20rocsparse_operation_T3_S4_NS_24const_host_device_scalarIT4_EEPKT2_PKS4_PKS6_PS6_lPiSC_PS4_21rocsparse_index_base_20rocsparse_fill_mode_20rocsparse_diag_type_b,comdat
.Lfunc_end28:
	.size	_ZN9rocsparseL5csrsmILj256ELj64ELb0Eii21rocsparse_complex_numIfEEEv20rocsparse_operation_T3_S4_NS_24const_host_device_scalarIT4_EEPKT2_PKS4_PKS6_PS6_lPiSC_PS4_21rocsparse_index_base_20rocsparse_fill_mode_20rocsparse_diag_type_b, .Lfunc_end28-_ZN9rocsparseL5csrsmILj256ELj64ELb0Eii21rocsparse_complex_numIfEEEv20rocsparse_operation_T3_S4_NS_24const_host_device_scalarIT4_EEPKT2_PKS4_PKS6_PS6_lPiSC_PS4_21rocsparse_index_base_20rocsparse_fill_mode_20rocsparse_diag_type_b
                                        ; -- End function
	.set _ZN9rocsparseL5csrsmILj256ELj64ELb0Eii21rocsparse_complex_numIfEEEv20rocsparse_operation_T3_S4_NS_24const_host_device_scalarIT4_EEPKT2_PKS4_PKS6_PS6_lPiSC_PS4_21rocsparse_index_base_20rocsparse_fill_mode_20rocsparse_diag_type_b.num_vgpr, 22
	.set _ZN9rocsparseL5csrsmILj256ELj64ELb0Eii21rocsparse_complex_numIfEEEv20rocsparse_operation_T3_S4_NS_24const_host_device_scalarIT4_EEPKT2_PKS4_PKS6_PS6_lPiSC_PS4_21rocsparse_index_base_20rocsparse_fill_mode_20rocsparse_diag_type_b.num_agpr, 0
	.set _ZN9rocsparseL5csrsmILj256ELj64ELb0Eii21rocsparse_complex_numIfEEEv20rocsparse_operation_T3_S4_NS_24const_host_device_scalarIT4_EEPKT2_PKS4_PKS6_PS6_lPiSC_PS4_21rocsparse_index_base_20rocsparse_fill_mode_20rocsparse_diag_type_b.numbered_sgpr, 31
	.set _ZN9rocsparseL5csrsmILj256ELj64ELb0Eii21rocsparse_complex_numIfEEEv20rocsparse_operation_T3_S4_NS_24const_host_device_scalarIT4_EEPKT2_PKS4_PKS6_PS6_lPiSC_PS4_21rocsparse_index_base_20rocsparse_fill_mode_20rocsparse_diag_type_b.num_named_barrier, 0
	.set _ZN9rocsparseL5csrsmILj256ELj64ELb0Eii21rocsparse_complex_numIfEEEv20rocsparse_operation_T3_S4_NS_24const_host_device_scalarIT4_EEPKT2_PKS4_PKS6_PS6_lPiSC_PS4_21rocsparse_index_base_20rocsparse_fill_mode_20rocsparse_diag_type_b.private_seg_size, 0
	.set _ZN9rocsparseL5csrsmILj256ELj64ELb0Eii21rocsparse_complex_numIfEEEv20rocsparse_operation_T3_S4_NS_24const_host_device_scalarIT4_EEPKT2_PKS4_PKS6_PS6_lPiSC_PS4_21rocsparse_index_base_20rocsparse_fill_mode_20rocsparse_diag_type_b.uses_vcc, 1
	.set _ZN9rocsparseL5csrsmILj256ELj64ELb0Eii21rocsparse_complex_numIfEEEv20rocsparse_operation_T3_S4_NS_24const_host_device_scalarIT4_EEPKT2_PKS4_PKS6_PS6_lPiSC_PS4_21rocsparse_index_base_20rocsparse_fill_mode_20rocsparse_diag_type_b.uses_flat_scratch, 0
	.set _ZN9rocsparseL5csrsmILj256ELj64ELb0Eii21rocsparse_complex_numIfEEEv20rocsparse_operation_T3_S4_NS_24const_host_device_scalarIT4_EEPKT2_PKS4_PKS6_PS6_lPiSC_PS4_21rocsparse_index_base_20rocsparse_fill_mode_20rocsparse_diag_type_b.has_dyn_sized_stack, 0
	.set _ZN9rocsparseL5csrsmILj256ELj64ELb0Eii21rocsparse_complex_numIfEEEv20rocsparse_operation_T3_S4_NS_24const_host_device_scalarIT4_EEPKT2_PKS4_PKS6_PS6_lPiSC_PS4_21rocsparse_index_base_20rocsparse_fill_mode_20rocsparse_diag_type_b.has_recursion, 0
	.set _ZN9rocsparseL5csrsmILj256ELj64ELb0Eii21rocsparse_complex_numIfEEEv20rocsparse_operation_T3_S4_NS_24const_host_device_scalarIT4_EEPKT2_PKS4_PKS6_PS6_lPiSC_PS4_21rocsparse_index_base_20rocsparse_fill_mode_20rocsparse_diag_type_b.has_indirect_call, 0
	.section	.AMDGPU.csdata,"",@progbits
; Kernel info:
; codeLenInByte = 2120
; TotalNumSgprs: 33
; NumVgprs: 22
; ScratchSize: 0
; MemoryBound: 0
; FloatMode: 240
; IeeeMode: 1
; LDSByteSize: 3072 bytes/workgroup (compile time only)
; SGPRBlocks: 0
; VGPRBlocks: 1
; NumSGPRsForWavesPerEU: 33
; NumVGPRsForWavesPerEU: 22
; NamedBarCnt: 0
; Occupancy: 16
; WaveLimiterHint : 1
; COMPUTE_PGM_RSRC2:SCRATCH_EN: 0
; COMPUTE_PGM_RSRC2:USER_SGPR: 2
; COMPUTE_PGM_RSRC2:TRAP_HANDLER: 0
; COMPUTE_PGM_RSRC2:TGID_X_EN: 1
; COMPUTE_PGM_RSRC2:TGID_Y_EN: 0
; COMPUTE_PGM_RSRC2:TGID_Z_EN: 0
; COMPUTE_PGM_RSRC2:TIDIG_COMP_CNT: 0
	.section	.text._ZN9rocsparseL5csrsmILj512ELj64ELb1Eii21rocsparse_complex_numIfEEEv20rocsparse_operation_T3_S4_NS_24const_host_device_scalarIT4_EEPKT2_PKS4_PKS6_PS6_lPiSC_PS4_21rocsparse_index_base_20rocsparse_fill_mode_20rocsparse_diag_type_b,"axG",@progbits,_ZN9rocsparseL5csrsmILj512ELj64ELb1Eii21rocsparse_complex_numIfEEEv20rocsparse_operation_T3_S4_NS_24const_host_device_scalarIT4_EEPKT2_PKS4_PKS6_PS6_lPiSC_PS4_21rocsparse_index_base_20rocsparse_fill_mode_20rocsparse_diag_type_b,comdat
	.globl	_ZN9rocsparseL5csrsmILj512ELj64ELb1Eii21rocsparse_complex_numIfEEEv20rocsparse_operation_T3_S4_NS_24const_host_device_scalarIT4_EEPKT2_PKS4_PKS6_PS6_lPiSC_PS4_21rocsparse_index_base_20rocsparse_fill_mode_20rocsparse_diag_type_b ; -- Begin function _ZN9rocsparseL5csrsmILj512ELj64ELb1Eii21rocsparse_complex_numIfEEEv20rocsparse_operation_T3_S4_NS_24const_host_device_scalarIT4_EEPKT2_PKS4_PKS6_PS6_lPiSC_PS4_21rocsparse_index_base_20rocsparse_fill_mode_20rocsparse_diag_type_b
	.p2align	8
	.type	_ZN9rocsparseL5csrsmILj512ELj64ELb1Eii21rocsparse_complex_numIfEEEv20rocsparse_operation_T3_S4_NS_24const_host_device_scalarIT4_EEPKT2_PKS4_PKS6_PS6_lPiSC_PS4_21rocsparse_index_base_20rocsparse_fill_mode_20rocsparse_diag_type_b,@function
_ZN9rocsparseL5csrsmILj512ELj64ELb1Eii21rocsparse_complex_numIfEEEv20rocsparse_operation_T3_S4_NS_24const_host_device_scalarIT4_EEPKT2_PKS4_PKS6_PS6_lPiSC_PS4_21rocsparse_index_base_20rocsparse_fill_mode_20rocsparse_diag_type_b: ; @_ZN9rocsparseL5csrsmILj512ELj64ELb1Eii21rocsparse_complex_numIfEEEv20rocsparse_operation_T3_S4_NS_24const_host_device_scalarIT4_EEPKT2_PKS4_PKS6_PS6_lPiSC_PS4_21rocsparse_index_base_20rocsparse_fill_mode_20rocsparse_diag_type_b
; %bb.0:
	s_clause 0x1
	s_load_b128 s[4:7], s[0:1], 0x58
	s_load_b64 s[2:3], s[0:1], 0x10
	s_wait_kmcnt 0x0
	s_bitcmp1_b32 s7, 0
	s_mov_b32 s15, s2
	s_cselect_b32 s8, -1, 0
	s_delay_alu instid0(SALU_CYCLE_1)
	s_xor_b32 s7, s8, -1
	s_and_b32 vcc_lo, exec_lo, s8
	s_cbranch_vccnz .LBB29_2
; %bb.1:
	s_load_b32 s15, s[2:3], 0x0
.LBB29_2:
	s_clause 0x1
	s_load_b64 s[18:19], s[0:1], 0x18
	s_load_b64 s[8:9], s[0:1], 0x48
	s_and_not1_b32 vcc_lo, exec_lo, s7
	s_cbranch_vccnz .LBB29_4
; %bb.3:
	s_wait_xcnt 0x0
	s_load_b32 s3, s[2:3], 0x4
.LBB29_4:
	s_nop 0
	s_load_b96 s[12:14], s[0:1], 0x0
	s_bfe_u32 s10, ttmp6, 0x4000c
	s_and_b32 s7, ttmp6, 15
	s_add_co_i32 s10, s10, 1
	s_getreg_b32 s16, hwreg(HW_REG_IB_STS2, 6, 4)
	s_mul_i32 s10, ttmp9, s10
	s_delay_alu instid0(SALU_CYCLE_1) | instskip(SKIP_3) | instid1(SALU_CYCLE_2)
	s_add_co_i32 s7, s7, s10
	s_wait_kmcnt 0x0
	s_cvt_f32_u32 s2, s13
	s_sub_co_i32 s11, 0, s13
	v_rcp_iflag_f32_e32 v1, s2
	v_nop
	s_delay_alu instid0(TRANS32_DEP_1) | instskip(SKIP_1) | instid1(SALU_CYCLE_3)
	v_readfirstlane_b32 s2, v1
	s_mul_f32 s2, s2, 0x4f7ffffe
	s_cvt_u32_f32 s2, s2
	s_delay_alu instid0(SALU_CYCLE_3) | instskip(NEXT) | instid1(SALU_CYCLE_1)
	s_mul_i32 s11, s11, s2
	s_mul_hi_u32 s11, s2, s11
	s_delay_alu instid0(SALU_CYCLE_1) | instskip(SKIP_2) | instid1(SALU_CYCLE_1)
	s_add_co_i32 s2, s2, s11
	s_cmp_eq_u32 s16, 0
	s_cselect_b32 s10, ttmp9, s7
	s_mul_hi_u32 s2, s10, s2
	s_delay_alu instid0(SALU_CYCLE_1) | instskip(SKIP_2) | instid1(SALU_CYCLE_1)
	s_mul_i32 s7, s2, s13
	s_add_co_i32 s11, s2, 1
	s_sub_co_i32 s7, s10, s7
	s_sub_co_i32 s16, s7, s13
	s_cmp_ge_u32 s7, s13
	s_cselect_b32 s2, s11, s2
	s_cselect_b32 s7, s16, s7
	s_add_co_i32 s11, s2, 1
	s_cmp_ge_u32 s7, s13
	s_cselect_b32 s2, s11, s2
	s_delay_alu instid0(SALU_CYCLE_1) | instskip(SKIP_2) | instid1(SALU_CYCLE_1)
	s_mul_i32 s7, s2, s13
	v_lshl_or_b32 v2, s2, 9, v0
	s_sub_co_i32 s10, s10, s7
	s_ashr_i32 s11, s10, 31
	s_delay_alu instid0(VALU_DEP_1)
	v_ashrrev_i32_e32 v3, 31, v2
	s_lshl_b64 s[10:11], s[10:11], 2
	v_cmp_gt_i32_e64 s2, s14, v2
	s_add_nc_u64 s[20:21], s[8:9], s[10:11]
	s_load_b32 s16, s[20:21], 0x0
	s_load_b128 s[8:11], s[0:1], 0x30
	s_wait_kmcnt 0x0
	s_ashr_i32 s17, s16, 31
	s_delay_alu instid0(SALU_CYCLE_1)
	s_lshl_b64 s[20:21], s[16:17], 2
	s_cmp_lg_u32 s12, 0x71
	s_add_nc_u64 s[18:19], s[18:19], s[20:21]
	s_load_b64 s[22:23], s[18:19], 0x0
	s_wait_xcnt 0x0
	s_mul_u64 s[18:19], s[10:11], s[16:17]
	s_delay_alu instid0(SALU_CYCLE_1)
	v_add_nc_u64_e32 v[6:7], s[18:19], v[2:3]
	s_cbranch_scc0 .LBB29_8
; %bb.5:
	v_mov_b64_e32 v[4:5], 0
	s_and_saveexec_b32 s12, s2
	s_cbranch_execz .LBB29_7
; %bb.6:
	s_delay_alu instid0(VALU_DEP_2) | instskip(SKIP_1) | instid1(SALU_CYCLE_1)
	v_lshl_add_u64 v[4:5], v[6:7], 3, s[8:9]
	s_xor_b32 s13, s3, 0x80000000
	v_dual_mov_b32 v9, s15 :: v_dual_mov_b32 v11, s13
	v_dual_mov_b32 v10, s15 :: v_dual_mov_b32 v8, s3
	global_load_b64 v[4:5], v[4:5], off
	s_wait_loadcnt 0x0
	v_pk_mul_f32 v[10:11], v[4:5], v[10:11] op_sel:[1,0]
	s_delay_alu instid0(VALU_DEP_1)
	v_pk_fma_f32 v[4:5], v[8:9], v[4:5], v[10:11] op_sel_hi:[1,0,1]
.LBB29_7:
	s_or_b32 exec_lo, exec_lo, s12
	s_load_b64 s[20:21], s[0:1], 0x40
	s_cbranch_execz .LBB29_9
	s_branch .LBB29_12
.LBB29_8:
                                        ; implicit-def: $vgpr4_vgpr5
	s_load_b64 s[20:21], s[0:1], 0x40
.LBB29_9:
	v_mov_b64_e32 v[4:5], 0
	s_and_saveexec_b32 s12, s2
	s_cbranch_execz .LBB29_11
; %bb.10:
	s_delay_alu instid0(VALU_DEP_2) | instskip(SKIP_1) | instid1(SALU_CYCLE_1)
	v_lshl_add_u64 v[4:5], v[6:7], 3, s[8:9]
	s_mov_b32 s14, s3
	v_mov_b64_e32 v[6:7], s[14:15]
	global_load_b64 v[4:5], v[4:5], off
	s_wait_loadcnt 0x0
	v_pk_mul_f32 v[8:9], v[4:5], v[6:7] op_sel:[1,0] neg_hi:[1,0]
	s_delay_alu instid0(VALU_DEP_1)
	v_pk_fma_f32 v[4:5], v[6:7], v[4:5], v[8:9] op_sel:[0,0,1] op_sel_hi:[1,0,0]
.LBB29_11:
	s_or_b32 exec_lo, exec_lo, s12
.LBB29_12:
	s_delay_alu instid0(VALU_DEP_1) | instskip(SKIP_1) | instid1(VALU_DEP_3)
	v_dual_mov_b32 v7, 1.0 :: v_dual_mov_b32 v6, v4
	v_lshl_add_u64 v[2:3], v[2:3], 3, s[8:9]
	v_dual_mov_b32 v9, v5 :: v_dual_mov_b32 v14, 0
	s_delay_alu instid0(VALU_DEP_3)
	v_mov_b32_e32 v8, v7
	v_cmp_eq_u32_e64 s3, 0, v0
	s_wait_kmcnt 0x0
	s_cmp_ge_i32 s22, s23
	s_cbranch_scc1 .LBB29_55
; %bb.13:
	s_clause 0x1
	s_load_b64 s[8:9], s[0:1], 0x50
	s_load_b128 s[12:15], s[0:1], 0x20
	s_sub_co_i32 s17, s22, s4
	s_sub_co_i32 s24, s23, s4
	v_lshl_or_b32 v1, v0, 2, 0x1000
	v_dual_mov_b32 v4, 0 :: v_dual_lshlrev_b32 v15, 3, v0
	v_mov_b32_e32 v16, 0
	s_cmp_eq_u32 s6, 0
	s_mov_b32 s27, s17
	s_cselect_b32 s25, -1, 0
	s_add_co_i32 s26, s16, s4
	s_wait_xcnt 0x0
	s_sub_co_i32 s0, s27, s17
	s_delay_alu instid0(SALU_CYCLE_1) | instskip(NEXT) | instid1(SALU_CYCLE_1)
	s_and_b32 s0, s0, 0x1ff
	s_cmp_lg_u32 s0, 0
	s_cbranch_scc1 .LBB29_17
.LBB29_14:
	s_sub_co_i32 s1, s24, s27
	v_dual_mov_b32 v11, 0 :: v_dual_mov_b32 v10, -1.0
	v_cmp_gt_u32_e32 vcc_lo, s1, v0
	v_mov_b32_e32 v5, -1
	s_and_saveexec_b32 s1, vcc_lo
	s_cbranch_execz .LBB29_16
; %bb.15:
	v_add_nc_u32_e32 v5, s27, v0
	s_wait_kmcnt 0x0
	s_clause 0x1
	global_load_b32 v12, v5, s[12:13] scale_offset
	global_load_b64 v[10:11], v5, s[14:15] scale_offset
	s_wait_loadcnt 0x1
	s_wait_xcnt 0x0
	v_subrev_nc_u32_e32 v5, s4, v12
.LBB29_16:
	s_or_b32 exec_lo, exec_lo, s1
	ds_store_b32 v1, v5
	s_wait_loadcnt 0x0
	ds_store_b64 v15, v[10:11]
.LBB29_17:                              ; =>This Loop Header: Depth=1
                                        ;     Child Loop BB29_53 Depth 2
                                        ;       Child Loop BB29_54 Depth 3
	s_lshl_b32 s1, s0, 3
	s_wait_dscnt 0x0
	v_mov_b32_e32 v5, s1
	s_barrier_signal -1
	s_barrier_wait -1
	s_lshl_b32 s0, s0, 2
	ds_load_b64 v[10:11], v5
	v_mov_b32_e32 v5, s0
	ds_load_b32 v5, v5 offset:4096
	s_wait_dscnt 0x1
	v_readfirstlane_b32 s1, v10
	v_readfirstlane_b32 s23, v11
	s_cmp_eq_f32 s1, 0
	s_wait_dscnt 0x0
	v_readfirstlane_b32 s0, v5
	s_cselect_b32 s22, -1, 0
	s_cmp_eq_f32 s23, 0
	s_cselect_b32 s28, -1, 0
	s_delay_alu instid0(SALU_CYCLE_1)
	s_and_b32 s29, s22, s28
	s_cmp_eq_u32 s0, s16
	s_cselect_b32 s28, -1, 0
	s_cmp_lg_u32 s0, s16
	s_cselect_b32 s22, -1, 0
	s_and_b32 s29, s29, s28
	s_delay_alu instid0(SALU_CYCLE_1) | instskip(NEXT) | instid1(SALU_CYCLE_1)
	s_and_b32 s29, s25, s29
	s_and_b32 s30, s3, s29
	s_and_b32 s29, s29, exec_lo
	s_cselect_b32 s23, 0, s23
	s_cselect_b32 s1, 1.0, s1
	s_delay_alu instid0(SALU_CYCLE_1)
	v_dual_mov_b32 v17, s23 :: v_dual_mov_b32 v18, s1
	s_and_saveexec_b32 s1, s30
	s_cbranch_execz .LBB29_21
; %bb.18:                               ;   in Loop: Header=BB29_17 Depth=1
	v_mbcnt_lo_u32_b32 v5, exec_lo, 0
	s_mov_b32 s23, exec_lo
	s_delay_alu instid0(VALU_DEP_1)
	v_cmpx_eq_u32_e32 0, v5
	s_cbranch_execz .LBB29_20
; %bb.19:                               ;   in Loop: Header=BB29_17 Depth=1
	v_mov_b32_e32 v5, s26
	s_wait_kmcnt 0x0
	global_atomic_min_i32 v4, v5, s[8:9] scope:SCOPE_DEV
.LBB29_20:                              ;   in Loop: Header=BB29_17 Depth=1
	s_wait_xcnt 0x0
	s_or_b32 exec_lo, exec_lo, s23
	v_dual_mov_b32 v18, 1.0 :: v_dual_mov_b32 v17, 0
.LBB29_21:                              ;   in Loop: Header=BB29_17 Depth=1
	s_or_b32 exec_lo, exec_lo, s1
	s_mov_b32 s29, -1
	s_mov_b32 s1, 0
	s_cmp_lt_i32 s5, 1
	s_mov_b32 s23, 0
                                        ; implicit-def: $vgpr10_vgpr11
                                        ; implicit-def: $vgpr12_vgpr13
                                        ; implicit-def: $vgpr14
	s_cbranch_scc0 .LBB29_28
; %bb.22:                               ;   in Loop: Header=BB29_17 Depth=1
	s_and_b32 vcc_lo, exec_lo, s29
	s_mov_b32 s28, 4
	s_cbranch_vccnz .LBB29_35
.LBB29_23:                              ;   in Loop: Header=BB29_17 Depth=1
	s_and_b32 vcc_lo, exec_lo, s23
	s_cbranch_vccnz .LBB29_40
.LBB29_24:                              ;   in Loop: Header=BB29_17 Depth=1
	s_and_b32 vcc_lo, exec_lo, s1
	s_cbranch_vccnz .LBB29_45
.LBB29_25:                              ;   in Loop: Header=BB29_17 Depth=1
	s_mov_b32 s0, -1
	s_cmp_gt_i32 s28, 3
	s_mov_b32 s1, -1
	s_cbranch_scc0 .LBB29_48
.LBB29_26:                              ;   in Loop: Header=BB29_17 Depth=1
	s_and_not1_b32 vcc_lo, exec_lo, s1
	s_cbranch_vccz .LBB29_49
.LBB29_27:                              ;   in Loop: Header=BB29_17 Depth=1
	s_and_not1_b32 vcc_lo, exec_lo, s0
	s_cbranch_vccnz .LBB29_50
	s_branch .LBB29_56
.LBB29_28:                              ;   in Loop: Header=BB29_17 Depth=1
	s_cmp_eq_u32 s5, 1
	s_mov_b32 s23, -1
                                        ; implicit-def: $vgpr10_vgpr11
                                        ; implicit-def: $vgpr12_vgpr13
                                        ; implicit-def: $vgpr14
	s_cbranch_scc0 .LBB29_34
; %bb.29:                               ;   in Loop: Header=BB29_17 Depth=1
	v_mov_b64_e32 v[10:11], v[8:9]
	v_mov_b64_e32 v[12:13], v[6:7]
	v_mov_b32_e32 v14, v16
	s_cmp_ge_i32 s0, s16
	s_mov_b32 s23, 0
	s_cbranch_scc0 .LBB29_34
; %bb.30:                               ;   in Loop: Header=BB29_17 Depth=1
	s_and_b32 vcc_lo, exec_lo, s28
	s_mov_b32 s23, -1
                                        ; implicit-def: $vgpr10_vgpr11
                                        ; implicit-def: $vgpr12_vgpr13
                                        ; implicit-def: $vgpr14
	s_cbranch_vccz .LBB29_34
; %bb.31:                               ;   in Loop: Header=BB29_17 Depth=1
	v_mov_b64_e32 v[10:11], v[8:9]
	v_mov_b64_e32 v[12:13], v[6:7]
	v_mov_b32_e32 v14, v16
	s_and_not1_b32 vcc_lo, exec_lo, s25
	s_cbranch_vccnz .LBB29_33
; %bb.32:                               ;   in Loop: Header=BB29_17 Depth=1
	v_mul_f32_e32 v5, v17, v17
	s_delay_alu instid0(VALU_DEP_1) | instskip(NEXT) | instid1(VALU_DEP_1)
	v_fmac_f32_e32 v5, v18, v18
	v_div_scale_f32 v10, null, v5, v5, 1.0
	v_div_scale_f32 v13, vcc_lo, 1.0, v5, 1.0
	s_delay_alu instid0(VALU_DEP_2) | instskip(SKIP_1) | instid1(TRANS32_DEP_1)
	v_rcp_f32_e32 v11, v10
	v_nop
	v_fma_f32 v12, -v10, v11, 1.0
	s_delay_alu instid0(VALU_DEP_1) | instskip(NEXT) | instid1(VALU_DEP_1)
	v_fmac_f32_e32 v11, v12, v11
	v_mul_f32_e32 v12, v13, v11
	s_delay_alu instid0(VALU_DEP_1) | instskip(NEXT) | instid1(VALU_DEP_1)
	v_fma_f32 v14, -v10, v12, v13
	v_fmac_f32_e32 v12, v14, v11
	s_delay_alu instid0(VALU_DEP_1) | instskip(NEXT) | instid1(VALU_DEP_1)
	v_fma_f32 v10, -v10, v12, v13
	v_div_fmas_f32 v10, v10, v11, v12
	v_dual_fma_f32 v11, 0, v17, v18 :: v_dual_mov_b32 v12, v6
	s_delay_alu instid0(VALU_DEP_2) | instskip(SKIP_1) | instid1(VALU_DEP_1)
	v_div_fixup_f32 v5, v10, v5, 1.0
	v_fma_f32 v10, v18, 0, -v17
	v_dual_mul_f32 v13, v11, v5 :: v_dual_mul_f32 v14, v10, v5
	s_delay_alu instid0(VALU_DEP_1)
	v_dual_mov_b32 v11, v9 :: v_dual_mov_b32 v10, v13
.LBB29_33:                              ;   in Loop: Header=BB29_17 Depth=1
	s_mov_b32 s23, 0
.LBB29_34:                              ;   in Loop: Header=BB29_17 Depth=1
	s_mov_b32 s28, 4
	s_branch .LBB29_23
.LBB29_35:                              ;   in Loop: Header=BB29_17 Depth=1
	s_cmp_eq_u32 s5, 0
	s_cbranch_scc1 .LBB29_37
; %bb.36:                               ;   in Loop: Header=BB29_17 Depth=1
	s_mov_b32 s23, -1
	s_branch .LBB29_39
.LBB29_37:                              ;   in Loop: Header=BB29_17 Depth=1
	s_cmp_le_i32 s0, s16
	s_mov_b32 s23, 0
	s_cbranch_scc0 .LBB29_39
; %bb.38:                               ;   in Loop: Header=BB29_17 Depth=1
	s_mov_b32 s1, -1
	s_mov_b32 s23, s22
.LBB29_39:                              ;   in Loop: Header=BB29_17 Depth=1
	v_mov_b64_e32 v[10:11], v[8:9]
	v_mov_b64_e32 v[12:13], v[6:7]
	v_mov_b32_e32 v14, v16
	s_mov_b32 s28, 2
	s_and_b32 vcc_lo, exec_lo, s23
	s_cbranch_vccz .LBB29_24
.LBB29_40:                              ;   in Loop: Header=BB29_17 Depth=1
	s_and_saveexec_b32 s1, s3
	s_cbranch_execz .LBB29_42
; %bb.41:                               ;   in Loop: Header=BB29_17 Depth=1
	s_add_co_i32 s22, s0, s7
	s_delay_alu instid0(SALU_CYCLE_1)
	v_mov_b32_e32 v5, s22
	global_load_b32 v5, v5, s[20:21] scale_offset scope:SCOPE_DEV
	s_wait_loadcnt 0x0
	v_cmp_ne_u32_e32 vcc_lo, 0, v5
	s_cbranch_vccz .LBB29_51
.LBB29_42:                              ;   in Loop: Header=BB29_17 Depth=1
	s_wait_xcnt 0x0
	s_or_b32 exec_lo, exec_lo, s1
	v_dual_mov_b32 v5, v7 :: v_dual_mov_b32 v10, v7
	v_mov_b32_e32 v11, v4
	s_wait_storecnt 0x0
	s_barrier_signal -1
	s_delay_alu instid0(VALU_DEP_2)
	v_mov_b64_e32 v[12:13], v[4:5]
	s_barrier_wait -1
	global_inv scope:SCOPE_DEV
	s_and_saveexec_b32 s22, s2
	s_cbranch_execz .LBB29_44
; %bb.43:                               ;   in Loop: Header=BB29_17 Depth=1
	s_ashr_i32 s1, s0, 31
	s_delay_alu instid0(SALU_CYCLE_1) | instskip(NEXT) | instid1(SALU_CYCLE_1)
	s_mul_u64 s[0:1], s[10:11], s[0:1]
	v_lshl_add_u64 v[10:11], s[0:1], 3, v[2:3]
	global_load_b64 v[20:21], v[10:11], off
	s_wait_loadcnt 0x0
	v_dual_mov_b32 v10, v7 :: v_dual_fma_f32 v11, -v18, v20, v9
	v_dual_fma_f32 v5, -v17, v20, v6 :: v_dual_mov_b32 v13, v7
	s_delay_alu instid0(VALU_DEP_1)
	v_dual_fmac_f32 v11, v17, v21 :: v_dual_fma_f32 v12, -v18, v21, v5
.LBB29_44:                              ;   in Loop: Header=BB29_17 Depth=1
	s_or_b32 exec_lo, exec_lo, s22
	v_mov_b32_e32 v14, v16
	s_mov_b32 s28, 0
	s_branch .LBB29_25
.LBB29_45:                              ;   in Loop: Header=BB29_17 Depth=1
	s_and_not1_b32 vcc_lo, exec_lo, s25
	s_cbranch_vccnz .LBB29_47
; %bb.46:                               ;   in Loop: Header=BB29_17 Depth=1
	v_mul_f32_e32 v5, v17, v17
	s_delay_alu instid0(VALU_DEP_1) | instskip(NEXT) | instid1(VALU_DEP_1)
	v_fmac_f32_e32 v5, v18, v18
	v_div_scale_f32 v7, null, v5, v5, 1.0
	v_div_scale_f32 v11, vcc_lo, 1.0, v5, 1.0
	s_delay_alu instid0(VALU_DEP_2) | instskip(SKIP_1) | instid1(TRANS32_DEP_1)
	v_rcp_f32_e32 v8, v7
	v_nop
	v_fma_f32 v10, -v7, v8, 1.0
	s_delay_alu instid0(VALU_DEP_1) | instskip(NEXT) | instid1(VALU_DEP_1)
	v_fmac_f32_e32 v8, v10, v8
	v_mul_f32_e32 v10, v11, v8
	s_delay_alu instid0(VALU_DEP_1) | instskip(NEXT) | instid1(VALU_DEP_1)
	v_fma_f32 v12, -v7, v10, v11
	v_fmac_f32_e32 v10, v12, v8
	s_delay_alu instid0(VALU_DEP_1) | instskip(NEXT) | instid1(VALU_DEP_1)
	v_fma_f32 v7, -v7, v10, v11
	v_div_fmas_f32 v7, v7, v8, v10
	v_fma_f32 v8, v18, 0, -v17
	s_delay_alu instid0(VALU_DEP_2) | instskip(SKIP_1) | instid1(VALU_DEP_1)
	v_div_fixup_f32 v5, v7, v5, 1.0
	v_fma_f32 v7, 0, v17, v18
	v_dual_mul_f32 v7, v7, v5 :: v_dual_mul_f32 v16, v8, v5
	s_delay_alu instid0(VALU_DEP_1)
	v_mov_b32_e32 v8, v7
.LBB29_47:                              ;   in Loop: Header=BB29_17 Depth=1
	v_mov_b64_e32 v[12:13], v[6:7]
	s_delay_alu instid0(VALU_DEP_2) | instskip(NEXT) | instid1(VALU_DEP_4)
	v_mov_b64_e32 v[10:11], v[8:9]
	v_mov_b32_e32 v14, v16
	s_mov_b32 s28, 2
	s_mov_b32 s0, -1
	s_cmp_gt_i32 s28, 3
	s_mov_b32 s1, -1
	s_cbranch_scc1 .LBB29_26
.LBB29_48:                              ;   in Loop: Header=BB29_17 Depth=1
	s_cmp_eq_u32 s28, 0
	s_cselect_b32 s1, -1, 0
	s_delay_alu instid0(SALU_CYCLE_1)
	s_and_not1_b32 vcc_lo, exec_lo, s1
	s_cbranch_vccnz .LBB29_27
.LBB29_49:                              ;   in Loop: Header=BB29_17 Depth=1
	s_add_co_i32 s27, s27, 1
	s_delay_alu instid0(SALU_CYCLE_1) | instskip(SKIP_1) | instid1(SALU_CYCLE_1)
	s_cmp_ge_i32 s27, s24
	s_cselect_b32 s0, -1, 0
	s_and_not1_b32 vcc_lo, exec_lo, s0
	s_cbranch_vccz .LBB29_56
.LBB29_50:                              ;   in Loop: Header=BB29_17 Depth=1
	v_mov_b32_e32 v16, v14
	v_mov_b64_e32 v[6:7], v[12:13]
	v_mov_b64_e32 v[8:9], v[10:11]
	s_sub_co_i32 s0, s27, s17
	s_delay_alu instid0(SALU_CYCLE_1) | instskip(NEXT) | instid1(SALU_CYCLE_1)
	s_and_b32 s0, s0, 0x1ff
	s_cmp_lg_u32 s0, 0
	s_cbranch_scc1 .LBB29_17
	s_branch .LBB29_14
.LBB29_51:                              ;   in Loop: Header=BB29_17 Depth=1
	s_ashr_i32 s23, s22, 31
	s_mov_b32 s28, 0
	s_lshl_b64 s[22:23], s[22:23], 2
	s_delay_alu instid0(SALU_CYCLE_1)
	s_add_nc_u64 s[22:23], s[20:21], s[22:23]
	s_branch .LBB29_53
.LBB29_52:                              ;   in Loop: Header=BB29_53 Depth=2
	global_load_b32 v5, v4, s[22:23] scope:SCOPE_DEV
	s_cmp_lt_u32 s28, 0xf43
	s_cselect_b32 s29, -1, 0
	s_delay_alu instid0(SALU_CYCLE_1)
	s_cmp_lg_u32 s29, 0
	s_add_co_ci_u32 s28, s28, 0
	s_wait_loadcnt 0x0
	v_cmp_ne_u32_e32 vcc_lo, 0, v5
	s_cbranch_vccnz .LBB29_42
.LBB29_53:                              ;   Parent Loop BB29_17 Depth=1
                                        ; =>  This Loop Header: Depth=2
                                        ;       Child Loop BB29_54 Depth 3
	s_cmp_eq_u32 s28, 0
	s_mov_b32 s29, s28
	s_cbranch_scc1 .LBB29_52
.LBB29_54:                              ;   Parent Loop BB29_17 Depth=1
                                        ;     Parent Loop BB29_53 Depth=2
                                        ; =>    This Inner Loop Header: Depth=3
	s_add_co_i32 s29, s29, -1
	s_sleep 1
	s_cmp_eq_u32 s29, 0
	s_cbranch_scc0 .LBB29_54
	s_branch .LBB29_52
.LBB29_55:
	v_mov_b64_e32 v[10:11], v[8:9]
	v_mov_b64_e32 v[12:13], v[6:7]
	s_and_saveexec_b32 s0, s2
	s_cbranch_execnz .LBB29_57
	s_branch .LBB29_58
.LBB29_56:
	v_dual_mov_b32 v4, v12 :: v_dual_mov_b32 v5, v11
	s_and_saveexec_b32 s0, s2
	s_cbranch_execz .LBB29_58
.LBB29_57:
	s_cmp_eq_u32 s6, 0
	s_delay_alu instid0(VALU_DEP_1) | instskip(SKIP_3) | instid1(VALU_DEP_2)
	v_xor_b32_e32 v7, 0x80000000, v12
	s_cselect_b32 vcc_lo, -1, 0
	v_mov_b32_e32 v6, v11
	v_lshl_add_u64 v[2:3], s[18:19], 3, v[2:3]
	v_pk_mul_f32 v[6:7], v[14:15], v[6:7] op_sel_hi:[0,1]
	s_delay_alu instid0(VALU_DEP_1) | instskip(NEXT) | instid1(VALU_DEP_1)
	v_pk_fma_f32 v[6:7], v[12:13], v[10:11], v[6:7]
	v_dual_cndmask_b32 v9, v4, v6 :: v_dual_cndmask_b32 v8, v5, v7
	global_store_b64 v[2:3], v[8:9], off
.LBB29_58:
	s_wait_xcnt 0x0
	s_or_b32 exec_lo, exec_lo, s0
	global_wb scope:SCOPE_DEV
	s_wait_loadcnt 0x0
	s_wait_storecnt 0x0
	global_inv scope:SCOPE_DEV
	s_wait_loadcnt 0x0
	s_barrier_signal -1
	s_barrier_wait -1
	s_mov_b32 s0, exec_lo
	v_cmpx_eq_u32_e32 0, v0
	s_cbranch_execz .LBB29_60
; %bb.59:
	s_add_co_i32 s0, s16, s7
	s_delay_alu instid0(SALU_CYCLE_1)
	v_dual_mov_b32 v0, 1 :: v_dual_mov_b32 v1, s0
	global_store_b32 v1, v0, s[20:21] scale_offset scope:SCOPE_DEV
.LBB29_60:
	s_endpgm
	.section	.rodata,"a",@progbits
	.p2align	6, 0x0
	.amdhsa_kernel _ZN9rocsparseL5csrsmILj512ELj64ELb1Eii21rocsparse_complex_numIfEEEv20rocsparse_operation_T3_S4_NS_24const_host_device_scalarIT4_EEPKT2_PKS4_PKS6_PS6_lPiSC_PS4_21rocsparse_index_base_20rocsparse_fill_mode_20rocsparse_diag_type_b
		.amdhsa_group_segment_fixed_size 6144
		.amdhsa_private_segment_fixed_size 0
		.amdhsa_kernarg_size 104
		.amdhsa_user_sgpr_count 2
		.amdhsa_user_sgpr_dispatch_ptr 0
		.amdhsa_user_sgpr_queue_ptr 0
		.amdhsa_user_sgpr_kernarg_segment_ptr 1
		.amdhsa_user_sgpr_dispatch_id 0
		.amdhsa_user_sgpr_kernarg_preload_length 0
		.amdhsa_user_sgpr_kernarg_preload_offset 0
		.amdhsa_user_sgpr_private_segment_size 0
		.amdhsa_wavefront_size32 1
		.amdhsa_uses_dynamic_stack 0
		.amdhsa_enable_private_segment 0
		.amdhsa_system_sgpr_workgroup_id_x 1
		.amdhsa_system_sgpr_workgroup_id_y 0
		.amdhsa_system_sgpr_workgroup_id_z 0
		.amdhsa_system_sgpr_workgroup_info 0
		.amdhsa_system_vgpr_workitem_id 0
		.amdhsa_next_free_vgpr 22
		.amdhsa_next_free_sgpr 31
		.amdhsa_named_barrier_count 0
		.amdhsa_reserve_vcc 1
		.amdhsa_float_round_mode_32 0
		.amdhsa_float_round_mode_16_64 0
		.amdhsa_float_denorm_mode_32 3
		.amdhsa_float_denorm_mode_16_64 3
		.amdhsa_fp16_overflow 0
		.amdhsa_memory_ordered 1
		.amdhsa_forward_progress 1
		.amdhsa_inst_pref_size 18
		.amdhsa_round_robin_scheduling 0
		.amdhsa_exception_fp_ieee_invalid_op 0
		.amdhsa_exception_fp_denorm_src 0
		.amdhsa_exception_fp_ieee_div_zero 0
		.amdhsa_exception_fp_ieee_overflow 0
		.amdhsa_exception_fp_ieee_underflow 0
		.amdhsa_exception_fp_ieee_inexact 0
		.amdhsa_exception_int_div_zero 0
	.end_amdhsa_kernel
	.section	.text._ZN9rocsparseL5csrsmILj512ELj64ELb1Eii21rocsparse_complex_numIfEEEv20rocsparse_operation_T3_S4_NS_24const_host_device_scalarIT4_EEPKT2_PKS4_PKS6_PS6_lPiSC_PS4_21rocsparse_index_base_20rocsparse_fill_mode_20rocsparse_diag_type_b,"axG",@progbits,_ZN9rocsparseL5csrsmILj512ELj64ELb1Eii21rocsparse_complex_numIfEEEv20rocsparse_operation_T3_S4_NS_24const_host_device_scalarIT4_EEPKT2_PKS4_PKS6_PS6_lPiSC_PS4_21rocsparse_index_base_20rocsparse_fill_mode_20rocsparse_diag_type_b,comdat
.Lfunc_end29:
	.size	_ZN9rocsparseL5csrsmILj512ELj64ELb1Eii21rocsparse_complex_numIfEEEv20rocsparse_operation_T3_S4_NS_24const_host_device_scalarIT4_EEPKT2_PKS4_PKS6_PS6_lPiSC_PS4_21rocsparse_index_base_20rocsparse_fill_mode_20rocsparse_diag_type_b, .Lfunc_end29-_ZN9rocsparseL5csrsmILj512ELj64ELb1Eii21rocsparse_complex_numIfEEEv20rocsparse_operation_T3_S4_NS_24const_host_device_scalarIT4_EEPKT2_PKS4_PKS6_PS6_lPiSC_PS4_21rocsparse_index_base_20rocsparse_fill_mode_20rocsparse_diag_type_b
                                        ; -- End function
	.set _ZN9rocsparseL5csrsmILj512ELj64ELb1Eii21rocsparse_complex_numIfEEEv20rocsparse_operation_T3_S4_NS_24const_host_device_scalarIT4_EEPKT2_PKS4_PKS6_PS6_lPiSC_PS4_21rocsparse_index_base_20rocsparse_fill_mode_20rocsparse_diag_type_b.num_vgpr, 22
	.set _ZN9rocsparseL5csrsmILj512ELj64ELb1Eii21rocsparse_complex_numIfEEEv20rocsparse_operation_T3_S4_NS_24const_host_device_scalarIT4_EEPKT2_PKS4_PKS6_PS6_lPiSC_PS4_21rocsparse_index_base_20rocsparse_fill_mode_20rocsparse_diag_type_b.num_agpr, 0
	.set _ZN9rocsparseL5csrsmILj512ELj64ELb1Eii21rocsparse_complex_numIfEEEv20rocsparse_operation_T3_S4_NS_24const_host_device_scalarIT4_EEPKT2_PKS4_PKS6_PS6_lPiSC_PS4_21rocsparse_index_base_20rocsparse_fill_mode_20rocsparse_diag_type_b.numbered_sgpr, 31
	.set _ZN9rocsparseL5csrsmILj512ELj64ELb1Eii21rocsparse_complex_numIfEEEv20rocsparse_operation_T3_S4_NS_24const_host_device_scalarIT4_EEPKT2_PKS4_PKS6_PS6_lPiSC_PS4_21rocsparse_index_base_20rocsparse_fill_mode_20rocsparse_diag_type_b.num_named_barrier, 0
	.set _ZN9rocsparseL5csrsmILj512ELj64ELb1Eii21rocsparse_complex_numIfEEEv20rocsparse_operation_T3_S4_NS_24const_host_device_scalarIT4_EEPKT2_PKS4_PKS6_PS6_lPiSC_PS4_21rocsparse_index_base_20rocsparse_fill_mode_20rocsparse_diag_type_b.private_seg_size, 0
	.set _ZN9rocsparseL5csrsmILj512ELj64ELb1Eii21rocsparse_complex_numIfEEEv20rocsparse_operation_T3_S4_NS_24const_host_device_scalarIT4_EEPKT2_PKS4_PKS6_PS6_lPiSC_PS4_21rocsparse_index_base_20rocsparse_fill_mode_20rocsparse_diag_type_b.uses_vcc, 1
	.set _ZN9rocsparseL5csrsmILj512ELj64ELb1Eii21rocsparse_complex_numIfEEEv20rocsparse_operation_T3_S4_NS_24const_host_device_scalarIT4_EEPKT2_PKS4_PKS6_PS6_lPiSC_PS4_21rocsparse_index_base_20rocsparse_fill_mode_20rocsparse_diag_type_b.uses_flat_scratch, 0
	.set _ZN9rocsparseL5csrsmILj512ELj64ELb1Eii21rocsparse_complex_numIfEEEv20rocsparse_operation_T3_S4_NS_24const_host_device_scalarIT4_EEPKT2_PKS4_PKS6_PS6_lPiSC_PS4_21rocsparse_index_base_20rocsparse_fill_mode_20rocsparse_diag_type_b.has_dyn_sized_stack, 0
	.set _ZN9rocsparseL5csrsmILj512ELj64ELb1Eii21rocsparse_complex_numIfEEEv20rocsparse_operation_T3_S4_NS_24const_host_device_scalarIT4_EEPKT2_PKS4_PKS6_PS6_lPiSC_PS4_21rocsparse_index_base_20rocsparse_fill_mode_20rocsparse_diag_type_b.has_recursion, 0
	.set _ZN9rocsparseL5csrsmILj512ELj64ELb1Eii21rocsparse_complex_numIfEEEv20rocsparse_operation_T3_S4_NS_24const_host_device_scalarIT4_EEPKT2_PKS4_PKS6_PS6_lPiSC_PS4_21rocsparse_index_base_20rocsparse_fill_mode_20rocsparse_diag_type_b.has_indirect_call, 0
	.section	.AMDGPU.csdata,"",@progbits
; Kernel info:
; codeLenInByte = 2184
; TotalNumSgprs: 33
; NumVgprs: 22
; ScratchSize: 0
; MemoryBound: 0
; FloatMode: 240
; IeeeMode: 1
; LDSByteSize: 6144 bytes/workgroup (compile time only)
; SGPRBlocks: 0
; VGPRBlocks: 1
; NumSGPRsForWavesPerEU: 33
; NumVGPRsForWavesPerEU: 22
; NamedBarCnt: 0
; Occupancy: 16
; WaveLimiterHint : 1
; COMPUTE_PGM_RSRC2:SCRATCH_EN: 0
; COMPUTE_PGM_RSRC2:USER_SGPR: 2
; COMPUTE_PGM_RSRC2:TRAP_HANDLER: 0
; COMPUTE_PGM_RSRC2:TGID_X_EN: 1
; COMPUTE_PGM_RSRC2:TGID_Y_EN: 0
; COMPUTE_PGM_RSRC2:TGID_Z_EN: 0
; COMPUTE_PGM_RSRC2:TIDIG_COMP_CNT: 0
	.section	.text._ZN9rocsparseL5csrsmILj512ELj64ELb0Eii21rocsparse_complex_numIfEEEv20rocsparse_operation_T3_S4_NS_24const_host_device_scalarIT4_EEPKT2_PKS4_PKS6_PS6_lPiSC_PS4_21rocsparse_index_base_20rocsparse_fill_mode_20rocsparse_diag_type_b,"axG",@progbits,_ZN9rocsparseL5csrsmILj512ELj64ELb0Eii21rocsparse_complex_numIfEEEv20rocsparse_operation_T3_S4_NS_24const_host_device_scalarIT4_EEPKT2_PKS4_PKS6_PS6_lPiSC_PS4_21rocsparse_index_base_20rocsparse_fill_mode_20rocsparse_diag_type_b,comdat
	.globl	_ZN9rocsparseL5csrsmILj512ELj64ELb0Eii21rocsparse_complex_numIfEEEv20rocsparse_operation_T3_S4_NS_24const_host_device_scalarIT4_EEPKT2_PKS4_PKS6_PS6_lPiSC_PS4_21rocsparse_index_base_20rocsparse_fill_mode_20rocsparse_diag_type_b ; -- Begin function _ZN9rocsparseL5csrsmILj512ELj64ELb0Eii21rocsparse_complex_numIfEEEv20rocsparse_operation_T3_S4_NS_24const_host_device_scalarIT4_EEPKT2_PKS4_PKS6_PS6_lPiSC_PS4_21rocsparse_index_base_20rocsparse_fill_mode_20rocsparse_diag_type_b
	.p2align	8
	.type	_ZN9rocsparseL5csrsmILj512ELj64ELb0Eii21rocsparse_complex_numIfEEEv20rocsparse_operation_T3_S4_NS_24const_host_device_scalarIT4_EEPKT2_PKS4_PKS6_PS6_lPiSC_PS4_21rocsparse_index_base_20rocsparse_fill_mode_20rocsparse_diag_type_b,@function
_ZN9rocsparseL5csrsmILj512ELj64ELb0Eii21rocsparse_complex_numIfEEEv20rocsparse_operation_T3_S4_NS_24const_host_device_scalarIT4_EEPKT2_PKS4_PKS6_PS6_lPiSC_PS4_21rocsparse_index_base_20rocsparse_fill_mode_20rocsparse_diag_type_b: ; @_ZN9rocsparseL5csrsmILj512ELj64ELb0Eii21rocsparse_complex_numIfEEEv20rocsparse_operation_T3_S4_NS_24const_host_device_scalarIT4_EEPKT2_PKS4_PKS6_PS6_lPiSC_PS4_21rocsparse_index_base_20rocsparse_fill_mode_20rocsparse_diag_type_b
; %bb.0:
	s_clause 0x1
	s_load_b128 s[4:7], s[0:1], 0x58
	s_load_b64 s[2:3], s[0:1], 0x10
	s_wait_kmcnt 0x0
	s_bitcmp1_b32 s7, 0
	s_mov_b32 s15, s2
	s_cselect_b32 s8, -1, 0
	s_delay_alu instid0(SALU_CYCLE_1)
	s_xor_b32 s7, s8, -1
	s_and_b32 vcc_lo, exec_lo, s8
	s_cbranch_vccnz .LBB30_2
; %bb.1:
	s_load_b32 s15, s[2:3], 0x0
.LBB30_2:
	s_clause 0x1
	s_load_b64 s[18:19], s[0:1], 0x18
	s_load_b64 s[8:9], s[0:1], 0x48
	s_and_not1_b32 vcc_lo, exec_lo, s7
	s_cbranch_vccnz .LBB30_4
; %bb.3:
	s_wait_xcnt 0x0
	s_load_b32 s3, s[2:3], 0x4
.LBB30_4:
	s_nop 0
	s_load_b96 s[12:14], s[0:1], 0x0
	s_bfe_u32 s10, ttmp6, 0x4000c
	s_and_b32 s7, ttmp6, 15
	s_add_co_i32 s10, s10, 1
	s_getreg_b32 s16, hwreg(HW_REG_IB_STS2, 6, 4)
	s_mul_i32 s10, ttmp9, s10
	s_delay_alu instid0(SALU_CYCLE_1) | instskip(SKIP_3) | instid1(SALU_CYCLE_2)
	s_add_co_i32 s7, s7, s10
	s_wait_kmcnt 0x0
	s_cvt_f32_u32 s2, s13
	s_sub_co_i32 s11, 0, s13
	v_rcp_iflag_f32_e32 v1, s2
	v_nop
	s_delay_alu instid0(TRANS32_DEP_1) | instskip(SKIP_1) | instid1(SALU_CYCLE_3)
	v_readfirstlane_b32 s2, v1
	s_mul_f32 s2, s2, 0x4f7ffffe
	s_cvt_u32_f32 s2, s2
	s_delay_alu instid0(SALU_CYCLE_3) | instskip(NEXT) | instid1(SALU_CYCLE_1)
	s_mul_i32 s11, s11, s2
	s_mul_hi_u32 s11, s2, s11
	s_delay_alu instid0(SALU_CYCLE_1) | instskip(SKIP_2) | instid1(SALU_CYCLE_1)
	s_add_co_i32 s2, s2, s11
	s_cmp_eq_u32 s16, 0
	s_cselect_b32 s10, ttmp9, s7
	s_mul_hi_u32 s2, s10, s2
	s_delay_alu instid0(SALU_CYCLE_1) | instskip(SKIP_2) | instid1(SALU_CYCLE_1)
	s_mul_i32 s7, s2, s13
	s_add_co_i32 s11, s2, 1
	s_sub_co_i32 s7, s10, s7
	s_sub_co_i32 s16, s7, s13
	s_cmp_ge_u32 s7, s13
	s_cselect_b32 s2, s11, s2
	s_cselect_b32 s7, s16, s7
	s_add_co_i32 s11, s2, 1
	s_cmp_ge_u32 s7, s13
	s_cselect_b32 s2, s11, s2
	s_delay_alu instid0(SALU_CYCLE_1) | instskip(SKIP_2) | instid1(SALU_CYCLE_1)
	s_mul_i32 s7, s2, s13
	v_lshl_or_b32 v2, s2, 9, v0
	s_sub_co_i32 s10, s10, s7
	s_ashr_i32 s11, s10, 31
	s_delay_alu instid0(VALU_DEP_1)
	v_ashrrev_i32_e32 v3, 31, v2
	s_lshl_b64 s[10:11], s[10:11], 2
	v_cmp_gt_i32_e64 s2, s14, v2
	s_add_nc_u64 s[20:21], s[8:9], s[10:11]
	s_load_b32 s16, s[20:21], 0x0
	s_load_b128 s[8:11], s[0:1], 0x30
	s_wait_kmcnt 0x0
	s_ashr_i32 s17, s16, 31
	s_delay_alu instid0(SALU_CYCLE_1)
	s_lshl_b64 s[20:21], s[16:17], 2
	s_cmp_lg_u32 s12, 0x71
	s_add_nc_u64 s[18:19], s[18:19], s[20:21]
	s_load_b64 s[22:23], s[18:19], 0x0
	s_wait_xcnt 0x0
	s_mul_u64 s[18:19], s[10:11], s[16:17]
	s_delay_alu instid0(SALU_CYCLE_1)
	v_add_nc_u64_e32 v[6:7], s[18:19], v[2:3]
	s_cbranch_scc0 .LBB30_8
; %bb.5:
	v_mov_b64_e32 v[4:5], 0
	s_and_saveexec_b32 s12, s2
	s_cbranch_execz .LBB30_7
; %bb.6:
	s_delay_alu instid0(VALU_DEP_2) | instskip(SKIP_1) | instid1(SALU_CYCLE_1)
	v_lshl_add_u64 v[4:5], v[6:7], 3, s[8:9]
	s_xor_b32 s13, s3, 0x80000000
	v_dual_mov_b32 v9, s15 :: v_dual_mov_b32 v11, s13
	v_dual_mov_b32 v10, s15 :: v_dual_mov_b32 v8, s3
	global_load_b64 v[4:5], v[4:5], off
	s_wait_loadcnt 0x0
	v_pk_mul_f32 v[10:11], v[4:5], v[10:11] op_sel:[1,0]
	s_delay_alu instid0(VALU_DEP_1)
	v_pk_fma_f32 v[4:5], v[8:9], v[4:5], v[10:11] op_sel_hi:[1,0,1]
.LBB30_7:
	s_or_b32 exec_lo, exec_lo, s12
	s_load_b64 s[20:21], s[0:1], 0x40
	s_cbranch_execz .LBB30_9
	s_branch .LBB30_12
.LBB30_8:
                                        ; implicit-def: $vgpr4_vgpr5
	s_load_b64 s[20:21], s[0:1], 0x40
.LBB30_9:
	v_mov_b64_e32 v[4:5], 0
	s_and_saveexec_b32 s12, s2
	s_cbranch_execz .LBB30_11
; %bb.10:
	s_delay_alu instid0(VALU_DEP_2) | instskip(SKIP_1) | instid1(SALU_CYCLE_1)
	v_lshl_add_u64 v[4:5], v[6:7], 3, s[8:9]
	s_mov_b32 s14, s3
	v_mov_b64_e32 v[6:7], s[14:15]
	global_load_b64 v[4:5], v[4:5], off
	s_wait_loadcnt 0x0
	v_pk_mul_f32 v[8:9], v[4:5], v[6:7] op_sel:[1,0] neg_hi:[1,0]
	s_delay_alu instid0(VALU_DEP_1)
	v_pk_fma_f32 v[4:5], v[6:7], v[4:5], v[8:9] op_sel:[0,0,1] op_sel_hi:[1,0,0]
.LBB30_11:
	s_or_b32 exec_lo, exec_lo, s12
.LBB30_12:
	s_delay_alu instid0(VALU_DEP_1) | instskip(SKIP_1) | instid1(VALU_DEP_3)
	v_dual_mov_b32 v7, 1.0 :: v_dual_mov_b32 v6, v4
	v_lshl_add_u64 v[2:3], v[2:3], 3, s[8:9]
	v_dual_mov_b32 v9, v5 :: v_dual_mov_b32 v14, 0
	s_delay_alu instid0(VALU_DEP_3)
	v_mov_b32_e32 v8, v7
	v_cmp_eq_u32_e64 s3, 0, v0
	s_wait_kmcnt 0x0
	s_cmp_ge_i32 s22, s23
	s_cbranch_scc1 .LBB30_53
; %bb.13:
	s_clause 0x1
	s_load_b64 s[8:9], s[0:1], 0x50
	s_load_b128 s[12:15], s[0:1], 0x20
	s_sub_co_i32 s17, s22, s4
	s_sub_co_i32 s24, s23, s4
	v_lshl_or_b32 v1, v0, 2, 0x1000
	v_dual_mov_b32 v4, 0 :: v_dual_lshlrev_b32 v15, 3, v0
	v_mov_b32_e32 v16, 0
	s_cmp_eq_u32 s6, 0
	s_mov_b32 s27, s17
	s_cselect_b32 s25, -1, 0
	s_add_co_i32 s26, s16, s4
	s_wait_xcnt 0x0
	s_sub_co_i32 s0, s27, s17
	s_delay_alu instid0(SALU_CYCLE_1) | instskip(NEXT) | instid1(SALU_CYCLE_1)
	s_and_b32 s0, s0, 0x1ff
	s_cmp_lg_u32 s0, 0
	s_cbranch_scc1 .LBB30_17
.LBB30_14:
	s_sub_co_i32 s1, s24, s27
	v_dual_mov_b32 v11, 0 :: v_dual_mov_b32 v10, -1.0
	v_cmp_gt_u32_e32 vcc_lo, s1, v0
	v_mov_b32_e32 v5, -1
	s_and_saveexec_b32 s1, vcc_lo
	s_cbranch_execz .LBB30_16
; %bb.15:
	v_add_nc_u32_e32 v5, s27, v0
	s_wait_kmcnt 0x0
	s_clause 0x1
	global_load_b32 v12, v5, s[12:13] scale_offset
	global_load_b64 v[10:11], v5, s[14:15] scale_offset
	s_wait_loadcnt 0x1
	s_wait_xcnt 0x0
	v_subrev_nc_u32_e32 v5, s4, v12
.LBB30_16:
	s_or_b32 exec_lo, exec_lo, s1
	ds_store_b32 v1, v5
	s_wait_loadcnt 0x0
	ds_store_b64 v15, v[10:11]
.LBB30_17:                              ; =>This Loop Header: Depth=1
                                        ;     Child Loop BB30_43 Depth 2
	s_lshl_b32 s1, s0, 3
	s_wait_dscnt 0x0
	v_mov_b32_e32 v5, s1
	s_barrier_signal -1
	s_barrier_wait -1
	s_lshl_b32 s0, s0, 2
	ds_load_b64 v[10:11], v5
	v_mov_b32_e32 v5, s0
	ds_load_b32 v5, v5 offset:4096
	s_wait_dscnt 0x1
	v_readfirstlane_b32 s1, v10
	v_readfirstlane_b32 s23, v11
	s_cmp_eq_f32 s1, 0
	s_wait_dscnt 0x0
	v_readfirstlane_b32 s0, v5
	s_cselect_b32 s22, -1, 0
	s_cmp_eq_f32 s23, 0
	s_cselect_b32 s28, -1, 0
	s_delay_alu instid0(SALU_CYCLE_1)
	s_and_b32 s29, s22, s28
	s_cmp_eq_u32 s0, s16
	s_cselect_b32 s28, -1, 0
	s_cmp_lg_u32 s0, s16
	s_cselect_b32 s22, -1, 0
	s_and_b32 s29, s29, s28
	s_delay_alu instid0(SALU_CYCLE_1) | instskip(NEXT) | instid1(SALU_CYCLE_1)
	s_and_b32 s29, s25, s29
	s_and_b32 s30, s3, s29
	s_and_b32 s29, s29, exec_lo
	s_cselect_b32 s23, 0, s23
	s_cselect_b32 s1, 1.0, s1
	s_delay_alu instid0(SALU_CYCLE_1)
	v_dual_mov_b32 v17, s23 :: v_dual_mov_b32 v18, s1
	s_and_saveexec_b32 s1, s30
	s_cbranch_execz .LBB30_21
; %bb.18:                               ;   in Loop: Header=BB30_17 Depth=1
	v_mbcnt_lo_u32_b32 v5, exec_lo, 0
	s_mov_b32 s23, exec_lo
	s_delay_alu instid0(VALU_DEP_1)
	v_cmpx_eq_u32_e32 0, v5
	s_cbranch_execz .LBB30_20
; %bb.19:                               ;   in Loop: Header=BB30_17 Depth=1
	v_mov_b32_e32 v5, s26
	s_wait_kmcnt 0x0
	global_atomic_min_i32 v4, v5, s[8:9] scope:SCOPE_DEV
.LBB30_20:                              ;   in Loop: Header=BB30_17 Depth=1
	s_wait_xcnt 0x0
	s_or_b32 exec_lo, exec_lo, s23
	v_dual_mov_b32 v18, 1.0 :: v_dual_mov_b32 v17, 0
.LBB30_21:                              ;   in Loop: Header=BB30_17 Depth=1
	s_or_b32 exec_lo, exec_lo, s1
	s_mov_b32 s29, -1
	s_mov_b32 s1, 0
	s_cmp_lt_i32 s5, 1
	s_mov_b32 s23, 0
                                        ; implicit-def: $vgpr10_vgpr11
                                        ; implicit-def: $vgpr12_vgpr13
                                        ; implicit-def: $vgpr14
	s_cbranch_scc0 .LBB30_28
; %bb.22:                               ;   in Loop: Header=BB30_17 Depth=1
	s_and_b32 vcc_lo, exec_lo, s29
	s_mov_b32 s28, 4
	s_cbranch_vccnz .LBB30_35
.LBB30_23:                              ;   in Loop: Header=BB30_17 Depth=1
	s_and_b32 vcc_lo, exec_lo, s23
	s_cbranch_vccnz .LBB30_40
.LBB30_24:                              ;   in Loop: Header=BB30_17 Depth=1
	s_and_b32 vcc_lo, exec_lo, s1
	s_cbranch_vccnz .LBB30_47
.LBB30_25:                              ;   in Loop: Header=BB30_17 Depth=1
	s_mov_b32 s0, -1
	s_cmp_gt_i32 s28, 3
	s_mov_b32 s1, -1
	s_cbranch_scc0 .LBB30_50
.LBB30_26:                              ;   in Loop: Header=BB30_17 Depth=1
	s_and_not1_b32 vcc_lo, exec_lo, s1
	s_cbranch_vccz .LBB30_51
.LBB30_27:                              ;   in Loop: Header=BB30_17 Depth=1
	s_and_not1_b32 vcc_lo, exec_lo, s0
	s_cbranch_vccnz .LBB30_52
	s_branch .LBB30_54
.LBB30_28:                              ;   in Loop: Header=BB30_17 Depth=1
	s_cmp_eq_u32 s5, 1
	s_mov_b32 s23, -1
                                        ; implicit-def: $vgpr10_vgpr11
                                        ; implicit-def: $vgpr12_vgpr13
                                        ; implicit-def: $vgpr14
	s_cbranch_scc0 .LBB30_34
; %bb.29:                               ;   in Loop: Header=BB30_17 Depth=1
	v_mov_b64_e32 v[10:11], v[8:9]
	v_mov_b64_e32 v[12:13], v[6:7]
	v_mov_b32_e32 v14, v16
	s_cmp_ge_i32 s0, s16
	s_mov_b32 s23, 0
	s_cbranch_scc0 .LBB30_34
; %bb.30:                               ;   in Loop: Header=BB30_17 Depth=1
	s_and_b32 vcc_lo, exec_lo, s28
	s_mov_b32 s23, -1
                                        ; implicit-def: $vgpr10_vgpr11
                                        ; implicit-def: $vgpr12_vgpr13
                                        ; implicit-def: $vgpr14
	s_cbranch_vccz .LBB30_34
; %bb.31:                               ;   in Loop: Header=BB30_17 Depth=1
	v_mov_b64_e32 v[10:11], v[8:9]
	v_mov_b64_e32 v[12:13], v[6:7]
	v_mov_b32_e32 v14, v16
	s_and_not1_b32 vcc_lo, exec_lo, s25
	s_cbranch_vccnz .LBB30_33
; %bb.32:                               ;   in Loop: Header=BB30_17 Depth=1
	v_mul_f32_e32 v5, v17, v17
	s_delay_alu instid0(VALU_DEP_1) | instskip(NEXT) | instid1(VALU_DEP_1)
	v_fmac_f32_e32 v5, v18, v18
	v_div_scale_f32 v10, null, v5, v5, 1.0
	v_div_scale_f32 v13, vcc_lo, 1.0, v5, 1.0
	s_delay_alu instid0(VALU_DEP_2) | instskip(SKIP_1) | instid1(TRANS32_DEP_1)
	v_rcp_f32_e32 v11, v10
	v_nop
	v_fma_f32 v12, -v10, v11, 1.0
	s_delay_alu instid0(VALU_DEP_1) | instskip(NEXT) | instid1(VALU_DEP_1)
	v_fmac_f32_e32 v11, v12, v11
	v_mul_f32_e32 v12, v13, v11
	s_delay_alu instid0(VALU_DEP_1) | instskip(NEXT) | instid1(VALU_DEP_1)
	v_fma_f32 v14, -v10, v12, v13
	v_fmac_f32_e32 v12, v14, v11
	s_delay_alu instid0(VALU_DEP_1) | instskip(NEXT) | instid1(VALU_DEP_1)
	v_fma_f32 v10, -v10, v12, v13
	v_div_fmas_f32 v10, v10, v11, v12
	v_dual_fma_f32 v11, 0, v17, v18 :: v_dual_mov_b32 v12, v6
	s_delay_alu instid0(VALU_DEP_2) | instskip(SKIP_1) | instid1(VALU_DEP_1)
	v_div_fixup_f32 v5, v10, v5, 1.0
	v_fma_f32 v10, v18, 0, -v17
	v_dual_mul_f32 v13, v11, v5 :: v_dual_mul_f32 v14, v10, v5
	s_delay_alu instid0(VALU_DEP_1)
	v_dual_mov_b32 v11, v9 :: v_dual_mov_b32 v10, v13
.LBB30_33:                              ;   in Loop: Header=BB30_17 Depth=1
	s_mov_b32 s23, 0
.LBB30_34:                              ;   in Loop: Header=BB30_17 Depth=1
	s_mov_b32 s28, 4
	s_branch .LBB30_23
.LBB30_35:                              ;   in Loop: Header=BB30_17 Depth=1
	s_cmp_eq_u32 s5, 0
	s_cbranch_scc1 .LBB30_37
; %bb.36:                               ;   in Loop: Header=BB30_17 Depth=1
	s_mov_b32 s23, -1
	s_branch .LBB30_39
.LBB30_37:                              ;   in Loop: Header=BB30_17 Depth=1
	s_cmp_le_i32 s0, s16
	s_mov_b32 s23, 0
	s_cbranch_scc0 .LBB30_39
; %bb.38:                               ;   in Loop: Header=BB30_17 Depth=1
	s_mov_b32 s1, -1
	s_mov_b32 s23, s22
.LBB30_39:                              ;   in Loop: Header=BB30_17 Depth=1
	v_mov_b64_e32 v[10:11], v[8:9]
	v_mov_b64_e32 v[12:13], v[6:7]
	v_mov_b32_e32 v14, v16
	s_mov_b32 s28, 2
	s_and_b32 vcc_lo, exec_lo, s23
	s_cbranch_vccz .LBB30_24
.LBB30_40:                              ;   in Loop: Header=BB30_17 Depth=1
	s_and_saveexec_b32 s1, s3
	s_cbranch_execz .LBB30_44
; %bb.41:                               ;   in Loop: Header=BB30_17 Depth=1
	s_add_co_i32 s22, s0, s7
	s_delay_alu instid0(SALU_CYCLE_1)
	v_mov_b32_e32 v5, s22
	global_load_b32 v5, v5, s[20:21] scale_offset scope:SCOPE_DEV
	s_wait_loadcnt 0x0
	v_cmp_ne_u32_e32 vcc_lo, 0, v5
	s_cbranch_vccnz .LBB30_44
; %bb.42:                               ;   in Loop: Header=BB30_17 Depth=1
	s_ashr_i32 s23, s22, 31
	s_delay_alu instid0(SALU_CYCLE_1) | instskip(NEXT) | instid1(SALU_CYCLE_1)
	s_lshl_b64 s[22:23], s[22:23], 2
	s_add_nc_u64 s[22:23], s[20:21], s[22:23]
.LBB30_43:                              ;   Parent Loop BB30_17 Depth=1
                                        ; =>  This Inner Loop Header: Depth=2
	global_load_b32 v5, v4, s[22:23] scope:SCOPE_DEV
	s_wait_loadcnt 0x0
	v_cmp_eq_u32_e32 vcc_lo, 0, v5
	s_cbranch_vccnz .LBB30_43
.LBB30_44:                              ;   in Loop: Header=BB30_17 Depth=1
	s_wait_xcnt 0x0
	s_or_b32 exec_lo, exec_lo, s1
	v_dual_mov_b32 v5, v7 :: v_dual_mov_b32 v10, v7
	v_mov_b32_e32 v11, v4
	s_wait_storecnt 0x0
	s_barrier_signal -1
	s_delay_alu instid0(VALU_DEP_2)
	v_mov_b64_e32 v[12:13], v[4:5]
	s_barrier_wait -1
	global_inv scope:SCOPE_DEV
	s_and_saveexec_b32 s22, s2
	s_cbranch_execz .LBB30_46
; %bb.45:                               ;   in Loop: Header=BB30_17 Depth=1
	s_ashr_i32 s1, s0, 31
	s_delay_alu instid0(SALU_CYCLE_1) | instskip(NEXT) | instid1(SALU_CYCLE_1)
	s_mul_u64 s[0:1], s[10:11], s[0:1]
	v_lshl_add_u64 v[10:11], s[0:1], 3, v[2:3]
	global_load_b64 v[20:21], v[10:11], off
	s_wait_loadcnt 0x0
	v_dual_mov_b32 v10, v7 :: v_dual_fma_f32 v11, -v18, v20, v9
	v_dual_fma_f32 v5, -v17, v20, v6 :: v_dual_mov_b32 v13, v7
	s_delay_alu instid0(VALU_DEP_1)
	v_dual_fmac_f32 v11, v17, v21 :: v_dual_fma_f32 v12, -v18, v21, v5
.LBB30_46:                              ;   in Loop: Header=BB30_17 Depth=1
	s_or_b32 exec_lo, exec_lo, s22
	v_mov_b32_e32 v14, v16
	s_mov_b32 s28, 0
	s_branch .LBB30_25
.LBB30_47:                              ;   in Loop: Header=BB30_17 Depth=1
	s_and_not1_b32 vcc_lo, exec_lo, s25
	s_cbranch_vccnz .LBB30_49
; %bb.48:                               ;   in Loop: Header=BB30_17 Depth=1
	v_mul_f32_e32 v5, v17, v17
	s_delay_alu instid0(VALU_DEP_1) | instskip(NEXT) | instid1(VALU_DEP_1)
	v_fmac_f32_e32 v5, v18, v18
	v_div_scale_f32 v7, null, v5, v5, 1.0
	v_div_scale_f32 v11, vcc_lo, 1.0, v5, 1.0
	s_delay_alu instid0(VALU_DEP_2) | instskip(SKIP_1) | instid1(TRANS32_DEP_1)
	v_rcp_f32_e32 v8, v7
	v_nop
	v_fma_f32 v10, -v7, v8, 1.0
	s_delay_alu instid0(VALU_DEP_1) | instskip(NEXT) | instid1(VALU_DEP_1)
	v_fmac_f32_e32 v8, v10, v8
	v_mul_f32_e32 v10, v11, v8
	s_delay_alu instid0(VALU_DEP_1) | instskip(NEXT) | instid1(VALU_DEP_1)
	v_fma_f32 v12, -v7, v10, v11
	v_fmac_f32_e32 v10, v12, v8
	s_delay_alu instid0(VALU_DEP_1) | instskip(NEXT) | instid1(VALU_DEP_1)
	v_fma_f32 v7, -v7, v10, v11
	v_div_fmas_f32 v7, v7, v8, v10
	v_fma_f32 v8, v18, 0, -v17
	s_delay_alu instid0(VALU_DEP_2) | instskip(SKIP_1) | instid1(VALU_DEP_1)
	v_div_fixup_f32 v5, v7, v5, 1.0
	v_fma_f32 v7, 0, v17, v18
	v_dual_mul_f32 v7, v7, v5 :: v_dual_mul_f32 v16, v8, v5
	s_delay_alu instid0(VALU_DEP_1)
	v_mov_b32_e32 v8, v7
.LBB30_49:                              ;   in Loop: Header=BB30_17 Depth=1
	v_mov_b64_e32 v[12:13], v[6:7]
	s_delay_alu instid0(VALU_DEP_2) | instskip(NEXT) | instid1(VALU_DEP_4)
	v_mov_b64_e32 v[10:11], v[8:9]
	v_mov_b32_e32 v14, v16
	s_mov_b32 s28, 2
	s_mov_b32 s0, -1
	s_cmp_gt_i32 s28, 3
	s_mov_b32 s1, -1
	s_cbranch_scc1 .LBB30_26
.LBB30_50:                              ;   in Loop: Header=BB30_17 Depth=1
	s_cmp_eq_u32 s28, 0
	s_cselect_b32 s1, -1, 0
	s_delay_alu instid0(SALU_CYCLE_1)
	s_and_not1_b32 vcc_lo, exec_lo, s1
	s_cbranch_vccnz .LBB30_27
.LBB30_51:                              ;   in Loop: Header=BB30_17 Depth=1
	s_add_co_i32 s27, s27, 1
	s_delay_alu instid0(SALU_CYCLE_1) | instskip(SKIP_1) | instid1(SALU_CYCLE_1)
	s_cmp_ge_i32 s27, s24
	s_cselect_b32 s0, -1, 0
	s_and_not1_b32 vcc_lo, exec_lo, s0
	s_cbranch_vccz .LBB30_54
.LBB30_52:                              ;   in Loop: Header=BB30_17 Depth=1
	v_mov_b32_e32 v16, v14
	v_mov_b64_e32 v[6:7], v[12:13]
	v_mov_b64_e32 v[8:9], v[10:11]
	s_sub_co_i32 s0, s27, s17
	s_delay_alu instid0(SALU_CYCLE_1) | instskip(NEXT) | instid1(SALU_CYCLE_1)
	s_and_b32 s0, s0, 0x1ff
	s_cmp_lg_u32 s0, 0
	s_cbranch_scc1 .LBB30_17
	s_branch .LBB30_14
.LBB30_53:
	v_mov_b64_e32 v[10:11], v[8:9]
	v_mov_b64_e32 v[12:13], v[6:7]
	s_and_saveexec_b32 s0, s2
	s_cbranch_execnz .LBB30_55
	s_branch .LBB30_56
.LBB30_54:
	v_dual_mov_b32 v4, v12 :: v_dual_mov_b32 v5, v11
	s_and_saveexec_b32 s0, s2
	s_cbranch_execz .LBB30_56
.LBB30_55:
	s_cmp_eq_u32 s6, 0
	s_delay_alu instid0(VALU_DEP_1) | instskip(SKIP_3) | instid1(VALU_DEP_2)
	v_xor_b32_e32 v7, 0x80000000, v12
	s_cselect_b32 vcc_lo, -1, 0
	v_mov_b32_e32 v6, v11
	v_lshl_add_u64 v[2:3], s[18:19], 3, v[2:3]
	v_pk_mul_f32 v[6:7], v[14:15], v[6:7] op_sel_hi:[0,1]
	s_delay_alu instid0(VALU_DEP_1) | instskip(NEXT) | instid1(VALU_DEP_1)
	v_pk_fma_f32 v[6:7], v[12:13], v[10:11], v[6:7]
	v_dual_cndmask_b32 v9, v4, v6 :: v_dual_cndmask_b32 v8, v5, v7
	global_store_b64 v[2:3], v[8:9], off
.LBB30_56:
	s_wait_xcnt 0x0
	s_or_b32 exec_lo, exec_lo, s0
	global_wb scope:SCOPE_DEV
	s_wait_loadcnt 0x0
	s_wait_storecnt 0x0
	global_inv scope:SCOPE_DEV
	s_wait_loadcnt 0x0
	s_barrier_signal -1
	s_barrier_wait -1
	s_mov_b32 s0, exec_lo
	v_cmpx_eq_u32_e32 0, v0
	s_cbranch_execz .LBB30_58
; %bb.57:
	s_add_co_i32 s0, s16, s7
	s_delay_alu instid0(SALU_CYCLE_1)
	v_dual_mov_b32 v0, 1 :: v_dual_mov_b32 v1, s0
	global_store_b32 v1, v0, s[20:21] scale_offset scope:SCOPE_DEV
.LBB30_58:
	s_endpgm
	.section	.rodata,"a",@progbits
	.p2align	6, 0x0
	.amdhsa_kernel _ZN9rocsparseL5csrsmILj512ELj64ELb0Eii21rocsparse_complex_numIfEEEv20rocsparse_operation_T3_S4_NS_24const_host_device_scalarIT4_EEPKT2_PKS4_PKS6_PS6_lPiSC_PS4_21rocsparse_index_base_20rocsparse_fill_mode_20rocsparse_diag_type_b
		.amdhsa_group_segment_fixed_size 6144
		.amdhsa_private_segment_fixed_size 0
		.amdhsa_kernarg_size 104
		.amdhsa_user_sgpr_count 2
		.amdhsa_user_sgpr_dispatch_ptr 0
		.amdhsa_user_sgpr_queue_ptr 0
		.amdhsa_user_sgpr_kernarg_segment_ptr 1
		.amdhsa_user_sgpr_dispatch_id 0
		.amdhsa_user_sgpr_kernarg_preload_length 0
		.amdhsa_user_sgpr_kernarg_preload_offset 0
		.amdhsa_user_sgpr_private_segment_size 0
		.amdhsa_wavefront_size32 1
		.amdhsa_uses_dynamic_stack 0
		.amdhsa_enable_private_segment 0
		.amdhsa_system_sgpr_workgroup_id_x 1
		.amdhsa_system_sgpr_workgroup_id_y 0
		.amdhsa_system_sgpr_workgroup_id_z 0
		.amdhsa_system_sgpr_workgroup_info 0
		.amdhsa_system_vgpr_workitem_id 0
		.amdhsa_next_free_vgpr 22
		.amdhsa_next_free_sgpr 31
		.amdhsa_named_barrier_count 0
		.amdhsa_reserve_vcc 1
		.amdhsa_float_round_mode_32 0
		.amdhsa_float_round_mode_16_64 0
		.amdhsa_float_denorm_mode_32 3
		.amdhsa_float_denorm_mode_16_64 3
		.amdhsa_fp16_overflow 0
		.amdhsa_memory_ordered 1
		.amdhsa_forward_progress 1
		.amdhsa_inst_pref_size 17
		.amdhsa_round_robin_scheduling 0
		.amdhsa_exception_fp_ieee_invalid_op 0
		.amdhsa_exception_fp_denorm_src 0
		.amdhsa_exception_fp_ieee_div_zero 0
		.amdhsa_exception_fp_ieee_overflow 0
		.amdhsa_exception_fp_ieee_underflow 0
		.amdhsa_exception_fp_ieee_inexact 0
		.amdhsa_exception_int_div_zero 0
	.end_amdhsa_kernel
	.section	.text._ZN9rocsparseL5csrsmILj512ELj64ELb0Eii21rocsparse_complex_numIfEEEv20rocsparse_operation_T3_S4_NS_24const_host_device_scalarIT4_EEPKT2_PKS4_PKS6_PS6_lPiSC_PS4_21rocsparse_index_base_20rocsparse_fill_mode_20rocsparse_diag_type_b,"axG",@progbits,_ZN9rocsparseL5csrsmILj512ELj64ELb0Eii21rocsparse_complex_numIfEEEv20rocsparse_operation_T3_S4_NS_24const_host_device_scalarIT4_EEPKT2_PKS4_PKS6_PS6_lPiSC_PS4_21rocsparse_index_base_20rocsparse_fill_mode_20rocsparse_diag_type_b,comdat
.Lfunc_end30:
	.size	_ZN9rocsparseL5csrsmILj512ELj64ELb0Eii21rocsparse_complex_numIfEEEv20rocsparse_operation_T3_S4_NS_24const_host_device_scalarIT4_EEPKT2_PKS4_PKS6_PS6_lPiSC_PS4_21rocsparse_index_base_20rocsparse_fill_mode_20rocsparse_diag_type_b, .Lfunc_end30-_ZN9rocsparseL5csrsmILj512ELj64ELb0Eii21rocsparse_complex_numIfEEEv20rocsparse_operation_T3_S4_NS_24const_host_device_scalarIT4_EEPKT2_PKS4_PKS6_PS6_lPiSC_PS4_21rocsparse_index_base_20rocsparse_fill_mode_20rocsparse_diag_type_b
                                        ; -- End function
	.set _ZN9rocsparseL5csrsmILj512ELj64ELb0Eii21rocsparse_complex_numIfEEEv20rocsparse_operation_T3_S4_NS_24const_host_device_scalarIT4_EEPKT2_PKS4_PKS6_PS6_lPiSC_PS4_21rocsparse_index_base_20rocsparse_fill_mode_20rocsparse_diag_type_b.num_vgpr, 22
	.set _ZN9rocsparseL5csrsmILj512ELj64ELb0Eii21rocsparse_complex_numIfEEEv20rocsparse_operation_T3_S4_NS_24const_host_device_scalarIT4_EEPKT2_PKS4_PKS6_PS6_lPiSC_PS4_21rocsparse_index_base_20rocsparse_fill_mode_20rocsparse_diag_type_b.num_agpr, 0
	.set _ZN9rocsparseL5csrsmILj512ELj64ELb0Eii21rocsparse_complex_numIfEEEv20rocsparse_operation_T3_S4_NS_24const_host_device_scalarIT4_EEPKT2_PKS4_PKS6_PS6_lPiSC_PS4_21rocsparse_index_base_20rocsparse_fill_mode_20rocsparse_diag_type_b.numbered_sgpr, 31
	.set _ZN9rocsparseL5csrsmILj512ELj64ELb0Eii21rocsparse_complex_numIfEEEv20rocsparse_operation_T3_S4_NS_24const_host_device_scalarIT4_EEPKT2_PKS4_PKS6_PS6_lPiSC_PS4_21rocsparse_index_base_20rocsparse_fill_mode_20rocsparse_diag_type_b.num_named_barrier, 0
	.set _ZN9rocsparseL5csrsmILj512ELj64ELb0Eii21rocsparse_complex_numIfEEEv20rocsparse_operation_T3_S4_NS_24const_host_device_scalarIT4_EEPKT2_PKS4_PKS6_PS6_lPiSC_PS4_21rocsparse_index_base_20rocsparse_fill_mode_20rocsparse_diag_type_b.private_seg_size, 0
	.set _ZN9rocsparseL5csrsmILj512ELj64ELb0Eii21rocsparse_complex_numIfEEEv20rocsparse_operation_T3_S4_NS_24const_host_device_scalarIT4_EEPKT2_PKS4_PKS6_PS6_lPiSC_PS4_21rocsparse_index_base_20rocsparse_fill_mode_20rocsparse_diag_type_b.uses_vcc, 1
	.set _ZN9rocsparseL5csrsmILj512ELj64ELb0Eii21rocsparse_complex_numIfEEEv20rocsparse_operation_T3_S4_NS_24const_host_device_scalarIT4_EEPKT2_PKS4_PKS6_PS6_lPiSC_PS4_21rocsparse_index_base_20rocsparse_fill_mode_20rocsparse_diag_type_b.uses_flat_scratch, 0
	.set _ZN9rocsparseL5csrsmILj512ELj64ELb0Eii21rocsparse_complex_numIfEEEv20rocsparse_operation_T3_S4_NS_24const_host_device_scalarIT4_EEPKT2_PKS4_PKS6_PS6_lPiSC_PS4_21rocsparse_index_base_20rocsparse_fill_mode_20rocsparse_diag_type_b.has_dyn_sized_stack, 0
	.set _ZN9rocsparseL5csrsmILj512ELj64ELb0Eii21rocsparse_complex_numIfEEEv20rocsparse_operation_T3_S4_NS_24const_host_device_scalarIT4_EEPKT2_PKS4_PKS6_PS6_lPiSC_PS4_21rocsparse_index_base_20rocsparse_fill_mode_20rocsparse_diag_type_b.has_recursion, 0
	.set _ZN9rocsparseL5csrsmILj512ELj64ELb0Eii21rocsparse_complex_numIfEEEv20rocsparse_operation_T3_S4_NS_24const_host_device_scalarIT4_EEPKT2_PKS4_PKS6_PS6_lPiSC_PS4_21rocsparse_index_base_20rocsparse_fill_mode_20rocsparse_diag_type_b.has_indirect_call, 0
	.section	.AMDGPU.csdata,"",@progbits
; Kernel info:
; codeLenInByte = 2120
; TotalNumSgprs: 33
; NumVgprs: 22
; ScratchSize: 0
; MemoryBound: 0
; FloatMode: 240
; IeeeMode: 1
; LDSByteSize: 6144 bytes/workgroup (compile time only)
; SGPRBlocks: 0
; VGPRBlocks: 1
; NumSGPRsForWavesPerEU: 33
; NumVGPRsForWavesPerEU: 22
; NamedBarCnt: 0
; Occupancy: 16
; WaveLimiterHint : 1
; COMPUTE_PGM_RSRC2:SCRATCH_EN: 0
; COMPUTE_PGM_RSRC2:USER_SGPR: 2
; COMPUTE_PGM_RSRC2:TRAP_HANDLER: 0
; COMPUTE_PGM_RSRC2:TGID_X_EN: 1
; COMPUTE_PGM_RSRC2:TGID_Y_EN: 0
; COMPUTE_PGM_RSRC2:TGID_Z_EN: 0
; COMPUTE_PGM_RSRC2:TIDIG_COMP_CNT: 0
	.section	.text._ZN9rocsparseL5csrsmILj1024ELj64ELb1Eii21rocsparse_complex_numIfEEEv20rocsparse_operation_T3_S4_NS_24const_host_device_scalarIT4_EEPKT2_PKS4_PKS6_PS6_lPiSC_PS4_21rocsparse_index_base_20rocsparse_fill_mode_20rocsparse_diag_type_b,"axG",@progbits,_ZN9rocsparseL5csrsmILj1024ELj64ELb1Eii21rocsparse_complex_numIfEEEv20rocsparse_operation_T3_S4_NS_24const_host_device_scalarIT4_EEPKT2_PKS4_PKS6_PS6_lPiSC_PS4_21rocsparse_index_base_20rocsparse_fill_mode_20rocsparse_diag_type_b,comdat
	.globl	_ZN9rocsparseL5csrsmILj1024ELj64ELb1Eii21rocsparse_complex_numIfEEEv20rocsparse_operation_T3_S4_NS_24const_host_device_scalarIT4_EEPKT2_PKS4_PKS6_PS6_lPiSC_PS4_21rocsparse_index_base_20rocsparse_fill_mode_20rocsparse_diag_type_b ; -- Begin function _ZN9rocsparseL5csrsmILj1024ELj64ELb1Eii21rocsparse_complex_numIfEEEv20rocsparse_operation_T3_S4_NS_24const_host_device_scalarIT4_EEPKT2_PKS4_PKS6_PS6_lPiSC_PS4_21rocsparse_index_base_20rocsparse_fill_mode_20rocsparse_diag_type_b
	.p2align	8
	.type	_ZN9rocsparseL5csrsmILj1024ELj64ELb1Eii21rocsparse_complex_numIfEEEv20rocsparse_operation_T3_S4_NS_24const_host_device_scalarIT4_EEPKT2_PKS4_PKS6_PS6_lPiSC_PS4_21rocsparse_index_base_20rocsparse_fill_mode_20rocsparse_diag_type_b,@function
_ZN9rocsparseL5csrsmILj1024ELj64ELb1Eii21rocsparse_complex_numIfEEEv20rocsparse_operation_T3_S4_NS_24const_host_device_scalarIT4_EEPKT2_PKS4_PKS6_PS6_lPiSC_PS4_21rocsparse_index_base_20rocsparse_fill_mode_20rocsparse_diag_type_b: ; @_ZN9rocsparseL5csrsmILj1024ELj64ELb1Eii21rocsparse_complex_numIfEEEv20rocsparse_operation_T3_S4_NS_24const_host_device_scalarIT4_EEPKT2_PKS4_PKS6_PS6_lPiSC_PS4_21rocsparse_index_base_20rocsparse_fill_mode_20rocsparse_diag_type_b
; %bb.0:
	s_clause 0x1
	s_load_b128 s[4:7], s[0:1], 0x58
	s_load_b64 s[2:3], s[0:1], 0x10
	s_wait_kmcnt 0x0
	s_bitcmp1_b32 s7, 0
	s_mov_b32 s15, s2
	s_cselect_b32 s8, -1, 0
	s_delay_alu instid0(SALU_CYCLE_1)
	s_xor_b32 s7, s8, -1
	s_and_b32 vcc_lo, exec_lo, s8
	s_cbranch_vccnz .LBB31_2
; %bb.1:
	s_load_b32 s15, s[2:3], 0x0
.LBB31_2:
	s_clause 0x1
	s_load_b64 s[18:19], s[0:1], 0x18
	s_load_b64 s[8:9], s[0:1], 0x48
	s_and_not1_b32 vcc_lo, exec_lo, s7
	s_cbranch_vccnz .LBB31_4
; %bb.3:
	s_wait_xcnt 0x0
	s_load_b32 s3, s[2:3], 0x4
.LBB31_4:
	s_nop 0
	s_load_b96 s[12:14], s[0:1], 0x0
	s_bfe_u32 s10, ttmp6, 0x4000c
	s_and_b32 s7, ttmp6, 15
	s_add_co_i32 s10, s10, 1
	s_getreg_b32 s11, hwreg(HW_REG_IB_STS2, 6, 4)
	s_mul_i32 s10, ttmp9, s10
	s_delay_alu instid0(SALU_CYCLE_1) | instskip(SKIP_3) | instid1(SALU_CYCLE_2)
	s_add_co_i32 s7, s7, s10
	s_wait_kmcnt 0x0
	s_cvt_f32_u32 s2, s13
	s_sub_co_i32 s16, 0, s13
	v_rcp_iflag_f32_e32 v1, s2
	v_nop
	s_delay_alu instid0(TRANS32_DEP_1) | instskip(SKIP_1) | instid1(SALU_CYCLE_3)
	v_readfirstlane_b32 s2, v1
	s_mul_f32 s2, s2, 0x4f7ffffe
	s_cvt_u32_f32 s2, s2
	s_delay_alu instid0(SALU_CYCLE_3) | instskip(NEXT) | instid1(SALU_CYCLE_1)
	s_mul_i32 s16, s16, s2
	s_mul_hi_u32 s16, s2, s16
	s_delay_alu instid0(SALU_CYCLE_1) | instskip(SKIP_2) | instid1(SALU_CYCLE_1)
	s_add_co_i32 s2, s2, s16
	s_cmp_eq_u32 s11, 0
	s_cselect_b32 s10, ttmp9, s7
	s_mul_hi_u32 s2, s10, s2
	s_delay_alu instid0(SALU_CYCLE_1) | instskip(SKIP_2) | instid1(SALU_CYCLE_1)
	s_mul_i32 s7, s2, s13
	s_add_co_i32 s11, s2, 1
	s_sub_co_i32 s7, s10, s7
	s_sub_co_i32 s16, s7, s13
	s_cmp_ge_u32 s7, s13
	s_cselect_b32 s2, s11, s2
	s_cselect_b32 s7, s16, s7
	s_add_co_i32 s11, s2, 1
	s_cmp_ge_u32 s7, s13
	s_cselect_b32 s2, s11, s2
	s_delay_alu instid0(SALU_CYCLE_1) | instskip(SKIP_2) | instid1(SALU_CYCLE_1)
	s_mul_i32 s7, s2, s13
	v_lshl_or_b32 v4, s2, 10, v0
	s_sub_co_i32 s10, s10, s7
	s_ashr_i32 s11, s10, 31
	s_delay_alu instid0(VALU_DEP_1) | instskip(SKIP_1) | instid1(SALU_CYCLE_1)
	v_ashrrev_i32_e32 v5, 31, v4
	s_lshl_b64 s[10:11], s[10:11], 2
	s_add_nc_u64 s[20:21], s[8:9], s[10:11]
	s_load_b32 s16, s[20:21], 0x0
	s_load_b128 s[8:11], s[0:1], 0x30
	s_wait_kmcnt 0x0
	s_ashr_i32 s17, s16, 31
	v_mad_nc_u64_u32 v[2:3], s10, s16, v[4:5]
	s_lshl_b64 s[20:21], s[16:17], 2
	s_mul_i32 s2, s10, s17
	s_add_nc_u64 s[18:19], s[18:19], s[20:21]
	s_mul_i32 s13, s11, s16
	s_load_b64 s[22:23], s[18:19], 0x0
	s_cmp_lg_u32 s12, 0x71
	s_delay_alu instid0(VALU_DEP_1)
	v_add3_u32 v3, s2, s13, v3
	v_cmp_gt_i32_e64 s2, s14, v4
	s_cbranch_scc0 .LBB31_8
; %bb.5:
	v_mov_b64_e32 v[6:7], 0
	s_and_saveexec_b32 s12, s2
	s_cbranch_execz .LBB31_7
; %bb.6:
	v_lshl_add_u64 v[6:7], v[2:3], 3, s[8:9]
	s_xor_b32 s13, s3, 0x80000000
	s_delay_alu instid0(SALU_CYCLE_1) | instskip(SKIP_4) | instid1(VALU_DEP_1)
	v_dual_mov_b32 v9, s15 :: v_dual_mov_b32 v11, s13
	v_dual_mov_b32 v10, s15 :: v_dual_mov_b32 v8, s3
	global_load_b64 v[6:7], v[6:7], off
	s_wait_loadcnt 0x0
	v_pk_mul_f32 v[10:11], v[6:7], v[10:11] op_sel:[1,0]
	v_pk_fma_f32 v[6:7], v[8:9], v[6:7], v[10:11] op_sel_hi:[1,0,1]
.LBB31_7:
	s_or_b32 exec_lo, exec_lo, s12
	s_wait_xcnt 0x0
	s_load_b64 s[18:19], s[0:1], 0x40
	s_cbranch_execz .LBB31_9
	s_branch .LBB31_12
.LBB31_8:
                                        ; implicit-def: $vgpr6_vgpr7
	s_wait_xcnt 0x0
	s_load_b64 s[18:19], s[0:1], 0x40
.LBB31_9:
	v_mov_b64_e32 v[6:7], 0
	s_and_saveexec_b32 s12, s2
	s_cbranch_execz .LBB31_11
; %bb.10:
	v_lshl_add_u64 v[6:7], v[2:3], 3, s[8:9]
	s_mov_b32 s14, s3
	s_delay_alu instid0(SALU_CYCLE_1) | instskip(SKIP_3) | instid1(VALU_DEP_1)
	v_mov_b64_e32 v[8:9], s[14:15]
	global_load_b64 v[6:7], v[6:7], off
	s_wait_loadcnt 0x0
	v_pk_mul_f32 v[10:11], v[6:7], v[8:9] op_sel:[1,0] neg_hi:[1,0]
	v_pk_fma_f32 v[6:7], v[8:9], v[6:7], v[10:11] op_sel:[0,0,1] op_sel_hi:[1,0,0]
.LBB31_11:
	s_or_b32 exec_lo, exec_lo, s12
.LBB31_12:
	s_delay_alu instid0(VALU_DEP_1) | instskip(NEXT) | instid1(VALU_DEP_2)
	v_dual_mov_b32 v9, 1.0 :: v_dual_mov_b32 v8, v6
	v_dual_mov_b32 v11, v7 :: v_dual_mov_b32 v16, 0
	v_cmp_eq_u32_e64 s3, 0, v0
	s_delay_alu instid0(VALU_DEP_3)
	v_mov_b32_e32 v10, v9
	s_wait_kmcnt 0x0
	s_cmp_ge_i32 s22, s23
	s_cbranch_scc1 .LBB31_55
; %bb.13:
	s_clause 0x1
	s_load_b64 s[20:21], s[0:1], 0x50
	s_load_b128 s[12:15], s[0:1], 0x20
	v_lshl_add_u64 v[4:5], v[4:5], 3, s[8:9]
	s_sub_co_i32 s17, s22, s4
	s_sub_co_i32 s24, s23, s4
	v_lshl_or_b32 v1, v0, 2, 0x2000
	v_dual_mov_b32 v6, 0 :: v_dual_lshlrev_b32 v17, 3, v0
	v_mov_b32_e32 v18, 0
	s_cmp_eq_u32 s6, 0
	s_mov_b32 s27, s17
	s_cselect_b32 s25, -1, 0
	s_add_co_i32 s26, s16, s4
	s_wait_xcnt 0x0
	s_sub_co_i32 s0, s27, s17
	s_delay_alu instid0(SALU_CYCLE_1) | instskip(NEXT) | instid1(SALU_CYCLE_1)
	s_and_b32 s0, s0, 0x3ff
	s_cmp_lg_u32 s0, 0
	s_cbranch_scc1 .LBB31_17
.LBB31_14:
	s_sub_co_i32 s1, s24, s27
	v_dual_mov_b32 v13, 0 :: v_dual_mov_b32 v12, -1.0
	v_cmp_gt_u32_e32 vcc_lo, s1, v0
	v_mov_b32_e32 v7, -1
	s_and_saveexec_b32 s1, vcc_lo
	s_cbranch_execz .LBB31_16
; %bb.15:
	v_add_nc_u32_e32 v7, s27, v0
	s_wait_kmcnt 0x0
	s_clause 0x1
	global_load_b32 v14, v7, s[12:13] scale_offset
	global_load_b64 v[12:13], v7, s[14:15] scale_offset
	s_wait_loadcnt 0x1
	s_wait_xcnt 0x0
	v_subrev_nc_u32_e32 v7, s4, v14
.LBB31_16:
	s_or_b32 exec_lo, exec_lo, s1
	ds_store_b32 v1, v7
	s_wait_loadcnt 0x0
	ds_store_b64 v17, v[12:13]
.LBB31_17:                              ; =>This Loop Header: Depth=1
                                        ;     Child Loop BB31_53 Depth 2
                                        ;       Child Loop BB31_54 Depth 3
	s_lshl_b32 s1, s0, 3
	s_wait_dscnt 0x0
	v_mov_b32_e32 v7, s1
	s_barrier_signal -1
	s_barrier_wait -1
	s_lshl_b32 s0, s0, 2
	ds_load_b64 v[12:13], v7
	v_mov_b32_e32 v7, s0
	ds_load_b32 v7, v7 offset:8192
	s_wait_dscnt 0x1
	v_readfirstlane_b32 s1, v12
	v_readfirstlane_b32 s23, v13
	s_cmp_eq_f32 s1, 0
	s_wait_dscnt 0x0
	v_readfirstlane_b32 s0, v7
	s_cselect_b32 s22, -1, 0
	s_cmp_eq_f32 s23, 0
	s_cselect_b32 s28, -1, 0
	s_delay_alu instid0(SALU_CYCLE_1)
	s_and_b32 s29, s22, s28
	s_cmp_eq_u32 s0, s16
	s_cselect_b32 s28, -1, 0
	s_cmp_lg_u32 s0, s16
	s_cselect_b32 s22, -1, 0
	s_and_b32 s29, s29, s28
	s_delay_alu instid0(SALU_CYCLE_1) | instskip(NEXT) | instid1(SALU_CYCLE_1)
	s_and_b32 s29, s25, s29
	s_and_b32 s30, s3, s29
	s_and_b32 s29, s29, exec_lo
	s_cselect_b32 s23, 0, s23
	s_cselect_b32 s1, 1.0, s1
	s_delay_alu instid0(SALU_CYCLE_1)
	v_dual_mov_b32 v19, s23 :: v_dual_mov_b32 v20, s1
	s_and_saveexec_b32 s1, s30
	s_cbranch_execz .LBB31_21
; %bb.18:                               ;   in Loop: Header=BB31_17 Depth=1
	v_mbcnt_lo_u32_b32 v7, exec_lo, 0
	s_mov_b32 s23, exec_lo
	s_delay_alu instid0(VALU_DEP_1)
	v_cmpx_eq_u32_e32 0, v7
	s_cbranch_execz .LBB31_20
; %bb.19:                               ;   in Loop: Header=BB31_17 Depth=1
	v_mov_b32_e32 v7, s26
	s_wait_kmcnt 0x0
	global_atomic_min_i32 v6, v7, s[20:21] scope:SCOPE_DEV
.LBB31_20:                              ;   in Loop: Header=BB31_17 Depth=1
	s_wait_xcnt 0x0
	s_or_b32 exec_lo, exec_lo, s23
	v_dual_mov_b32 v20, 1.0 :: v_dual_mov_b32 v19, 0
.LBB31_21:                              ;   in Loop: Header=BB31_17 Depth=1
	s_or_b32 exec_lo, exec_lo, s1
	s_mov_b32 s29, -1
	s_mov_b32 s1, 0
	s_cmp_lt_i32 s5, 1
	s_mov_b32 s23, 0
                                        ; implicit-def: $vgpr12_vgpr13
                                        ; implicit-def: $vgpr14_vgpr15
                                        ; implicit-def: $vgpr16
	s_cbranch_scc0 .LBB31_28
; %bb.22:                               ;   in Loop: Header=BB31_17 Depth=1
	s_and_b32 vcc_lo, exec_lo, s29
	s_mov_b32 s28, 4
	s_cbranch_vccnz .LBB31_35
.LBB31_23:                              ;   in Loop: Header=BB31_17 Depth=1
	s_and_b32 vcc_lo, exec_lo, s23
	s_cbranch_vccnz .LBB31_40
.LBB31_24:                              ;   in Loop: Header=BB31_17 Depth=1
	s_and_b32 vcc_lo, exec_lo, s1
	s_cbranch_vccnz .LBB31_45
.LBB31_25:                              ;   in Loop: Header=BB31_17 Depth=1
	s_mov_b32 s0, -1
	s_cmp_gt_i32 s28, 3
	s_mov_b32 s1, -1
	s_cbranch_scc0 .LBB31_48
.LBB31_26:                              ;   in Loop: Header=BB31_17 Depth=1
	s_and_not1_b32 vcc_lo, exec_lo, s1
	s_cbranch_vccz .LBB31_49
.LBB31_27:                              ;   in Loop: Header=BB31_17 Depth=1
	s_and_not1_b32 vcc_lo, exec_lo, s0
	s_cbranch_vccnz .LBB31_50
	s_branch .LBB31_56
.LBB31_28:                              ;   in Loop: Header=BB31_17 Depth=1
	s_cmp_eq_u32 s5, 1
	s_mov_b32 s23, -1
                                        ; implicit-def: $vgpr12_vgpr13
                                        ; implicit-def: $vgpr14_vgpr15
                                        ; implicit-def: $vgpr16
	s_cbranch_scc0 .LBB31_34
; %bb.29:                               ;   in Loop: Header=BB31_17 Depth=1
	v_mov_b64_e32 v[12:13], v[10:11]
	v_mov_b64_e32 v[14:15], v[8:9]
	v_mov_b32_e32 v16, v18
	s_cmp_ge_i32 s0, s16
	s_mov_b32 s23, 0
	s_cbranch_scc0 .LBB31_34
; %bb.30:                               ;   in Loop: Header=BB31_17 Depth=1
	s_and_b32 vcc_lo, exec_lo, s28
	s_mov_b32 s23, -1
                                        ; implicit-def: $vgpr12_vgpr13
                                        ; implicit-def: $vgpr14_vgpr15
                                        ; implicit-def: $vgpr16
	s_cbranch_vccz .LBB31_34
; %bb.31:                               ;   in Loop: Header=BB31_17 Depth=1
	v_mov_b64_e32 v[12:13], v[10:11]
	v_mov_b64_e32 v[14:15], v[8:9]
	v_mov_b32_e32 v16, v18
	s_and_not1_b32 vcc_lo, exec_lo, s25
	s_cbranch_vccnz .LBB31_33
; %bb.32:                               ;   in Loop: Header=BB31_17 Depth=1
	v_mul_f32_e32 v7, v19, v19
	s_delay_alu instid0(VALU_DEP_1) | instskip(NEXT) | instid1(VALU_DEP_1)
	v_fmac_f32_e32 v7, v20, v20
	v_div_scale_f32 v12, null, v7, v7, 1.0
	v_div_scale_f32 v15, vcc_lo, 1.0, v7, 1.0
	s_delay_alu instid0(VALU_DEP_2) | instskip(SKIP_1) | instid1(TRANS32_DEP_1)
	v_rcp_f32_e32 v13, v12
	v_nop
	v_fma_f32 v14, -v12, v13, 1.0
	s_delay_alu instid0(VALU_DEP_1) | instskip(NEXT) | instid1(VALU_DEP_1)
	v_fmac_f32_e32 v13, v14, v13
	v_mul_f32_e32 v14, v15, v13
	s_delay_alu instid0(VALU_DEP_1) | instskip(NEXT) | instid1(VALU_DEP_1)
	v_fma_f32 v16, -v12, v14, v15
	v_fmac_f32_e32 v14, v16, v13
	s_delay_alu instid0(VALU_DEP_1) | instskip(NEXT) | instid1(VALU_DEP_1)
	v_fma_f32 v12, -v12, v14, v15
	v_div_fmas_f32 v12, v12, v13, v14
	v_dual_fma_f32 v13, 0, v19, v20 :: v_dual_mov_b32 v14, v8
	s_delay_alu instid0(VALU_DEP_2) | instskip(SKIP_1) | instid1(VALU_DEP_1)
	v_div_fixup_f32 v7, v12, v7, 1.0
	v_fma_f32 v12, v20, 0, -v19
	v_dual_mul_f32 v15, v13, v7 :: v_dual_mul_f32 v16, v12, v7
	s_delay_alu instid0(VALU_DEP_1)
	v_dual_mov_b32 v13, v11 :: v_dual_mov_b32 v12, v15
.LBB31_33:                              ;   in Loop: Header=BB31_17 Depth=1
	s_mov_b32 s23, 0
.LBB31_34:                              ;   in Loop: Header=BB31_17 Depth=1
	s_mov_b32 s28, 4
	s_branch .LBB31_23
.LBB31_35:                              ;   in Loop: Header=BB31_17 Depth=1
	s_cmp_eq_u32 s5, 0
	s_cbranch_scc1 .LBB31_37
; %bb.36:                               ;   in Loop: Header=BB31_17 Depth=1
	s_mov_b32 s23, -1
	s_branch .LBB31_39
.LBB31_37:                              ;   in Loop: Header=BB31_17 Depth=1
	s_cmp_le_i32 s0, s16
	s_mov_b32 s23, 0
	s_cbranch_scc0 .LBB31_39
; %bb.38:                               ;   in Loop: Header=BB31_17 Depth=1
	s_mov_b32 s1, -1
	s_mov_b32 s23, s22
.LBB31_39:                              ;   in Loop: Header=BB31_17 Depth=1
	v_mov_b64_e32 v[12:13], v[10:11]
	v_mov_b64_e32 v[14:15], v[8:9]
	v_mov_b32_e32 v16, v18
	s_mov_b32 s28, 2
	s_and_b32 vcc_lo, exec_lo, s23
	s_cbranch_vccz .LBB31_24
.LBB31_40:                              ;   in Loop: Header=BB31_17 Depth=1
	s_and_saveexec_b32 s1, s3
	s_cbranch_execz .LBB31_42
; %bb.41:                               ;   in Loop: Header=BB31_17 Depth=1
	s_add_co_i32 s22, s0, s7
	s_delay_alu instid0(SALU_CYCLE_1)
	v_mov_b32_e32 v7, s22
	global_load_b32 v7, v7, s[18:19] scale_offset scope:SCOPE_DEV
	s_wait_loadcnt 0x0
	v_cmp_ne_u32_e32 vcc_lo, 0, v7
	s_cbranch_vccz .LBB31_51
.LBB31_42:                              ;   in Loop: Header=BB31_17 Depth=1
	s_wait_xcnt 0x0
	s_or_b32 exec_lo, exec_lo, s1
	v_dual_mov_b32 v7, v9 :: v_dual_mov_b32 v12, v9
	v_mov_b32_e32 v13, v6
	s_wait_storecnt 0x0
	s_barrier_signal -1
	s_delay_alu instid0(VALU_DEP_2)
	v_mov_b64_e32 v[14:15], v[6:7]
	s_barrier_wait -1
	global_inv scope:SCOPE_DEV
	s_and_saveexec_b32 s22, s2
	s_cbranch_execz .LBB31_44
; %bb.43:                               ;   in Loop: Header=BB31_17 Depth=1
	s_ashr_i32 s1, s0, 31
	s_delay_alu instid0(SALU_CYCLE_1) | instskip(NEXT) | instid1(SALU_CYCLE_1)
	s_mul_u64 s[0:1], s[10:11], s[0:1]
	v_lshl_add_u64 v[12:13], s[0:1], 3, v[4:5]
	global_load_b64 v[22:23], v[12:13], off
	s_wait_loadcnt 0x0
	v_dual_mov_b32 v12, v9 :: v_dual_fma_f32 v13, -v20, v22, v11
	v_dual_fma_f32 v7, -v19, v22, v8 :: v_dual_mov_b32 v15, v9
	s_delay_alu instid0(VALU_DEP_1)
	v_dual_fmac_f32 v13, v19, v23 :: v_dual_fma_f32 v14, -v20, v23, v7
.LBB31_44:                              ;   in Loop: Header=BB31_17 Depth=1
	s_or_b32 exec_lo, exec_lo, s22
	v_mov_b32_e32 v16, v18
	s_mov_b32 s28, 0
	s_branch .LBB31_25
.LBB31_45:                              ;   in Loop: Header=BB31_17 Depth=1
	s_and_not1_b32 vcc_lo, exec_lo, s25
	s_cbranch_vccnz .LBB31_47
; %bb.46:                               ;   in Loop: Header=BB31_17 Depth=1
	v_mul_f32_e32 v7, v19, v19
	s_delay_alu instid0(VALU_DEP_1) | instskip(NEXT) | instid1(VALU_DEP_1)
	v_fmac_f32_e32 v7, v20, v20
	v_div_scale_f32 v9, null, v7, v7, 1.0
	v_div_scale_f32 v13, vcc_lo, 1.0, v7, 1.0
	s_delay_alu instid0(VALU_DEP_2) | instskip(SKIP_1) | instid1(TRANS32_DEP_1)
	v_rcp_f32_e32 v10, v9
	v_nop
	v_fma_f32 v12, -v9, v10, 1.0
	s_delay_alu instid0(VALU_DEP_1) | instskip(NEXT) | instid1(VALU_DEP_1)
	v_fmac_f32_e32 v10, v12, v10
	v_mul_f32_e32 v12, v13, v10
	s_delay_alu instid0(VALU_DEP_1) | instskip(NEXT) | instid1(VALU_DEP_1)
	v_fma_f32 v14, -v9, v12, v13
	v_fmac_f32_e32 v12, v14, v10
	s_delay_alu instid0(VALU_DEP_1) | instskip(NEXT) | instid1(VALU_DEP_1)
	v_fma_f32 v9, -v9, v12, v13
	v_div_fmas_f32 v9, v9, v10, v12
	v_fma_f32 v10, v20, 0, -v19
	s_delay_alu instid0(VALU_DEP_2) | instskip(SKIP_1) | instid1(VALU_DEP_1)
	v_div_fixup_f32 v7, v9, v7, 1.0
	v_fma_f32 v9, 0, v19, v20
	v_dual_mul_f32 v9, v9, v7 :: v_dual_mul_f32 v18, v10, v7
	s_delay_alu instid0(VALU_DEP_1)
	v_mov_b32_e32 v10, v9
.LBB31_47:                              ;   in Loop: Header=BB31_17 Depth=1
	v_mov_b64_e32 v[14:15], v[8:9]
	s_delay_alu instid0(VALU_DEP_2) | instskip(NEXT) | instid1(VALU_DEP_4)
	v_mov_b64_e32 v[12:13], v[10:11]
	v_mov_b32_e32 v16, v18
	s_mov_b32 s28, 2
	s_mov_b32 s0, -1
	s_cmp_gt_i32 s28, 3
	s_mov_b32 s1, -1
	s_cbranch_scc1 .LBB31_26
.LBB31_48:                              ;   in Loop: Header=BB31_17 Depth=1
	s_cmp_eq_u32 s28, 0
	s_cselect_b32 s1, -1, 0
	s_delay_alu instid0(SALU_CYCLE_1)
	s_and_not1_b32 vcc_lo, exec_lo, s1
	s_cbranch_vccnz .LBB31_27
.LBB31_49:                              ;   in Loop: Header=BB31_17 Depth=1
	s_add_co_i32 s27, s27, 1
	s_delay_alu instid0(SALU_CYCLE_1) | instskip(SKIP_1) | instid1(SALU_CYCLE_1)
	s_cmp_ge_i32 s27, s24
	s_cselect_b32 s0, -1, 0
	s_and_not1_b32 vcc_lo, exec_lo, s0
	s_cbranch_vccz .LBB31_56
.LBB31_50:                              ;   in Loop: Header=BB31_17 Depth=1
	v_mov_b32_e32 v18, v16
	v_mov_b64_e32 v[8:9], v[14:15]
	v_mov_b64_e32 v[10:11], v[12:13]
	s_sub_co_i32 s0, s27, s17
	s_delay_alu instid0(SALU_CYCLE_1) | instskip(NEXT) | instid1(SALU_CYCLE_1)
	s_and_b32 s0, s0, 0x3ff
	s_cmp_lg_u32 s0, 0
	s_cbranch_scc1 .LBB31_17
	s_branch .LBB31_14
.LBB31_51:                              ;   in Loop: Header=BB31_17 Depth=1
	s_ashr_i32 s23, s22, 31
	s_mov_b32 s28, 0
	s_lshl_b64 s[22:23], s[22:23], 2
	s_delay_alu instid0(SALU_CYCLE_1)
	s_add_nc_u64 s[22:23], s[18:19], s[22:23]
	s_branch .LBB31_53
.LBB31_52:                              ;   in Loop: Header=BB31_53 Depth=2
	global_load_b32 v7, v6, s[22:23] scope:SCOPE_DEV
	s_cmp_lt_u32 s28, 0xf43
	s_cselect_b32 s29, -1, 0
	s_delay_alu instid0(SALU_CYCLE_1)
	s_cmp_lg_u32 s29, 0
	s_add_co_ci_u32 s28, s28, 0
	s_wait_loadcnt 0x0
	v_cmp_ne_u32_e32 vcc_lo, 0, v7
	s_cbranch_vccnz .LBB31_42
.LBB31_53:                              ;   Parent Loop BB31_17 Depth=1
                                        ; =>  This Loop Header: Depth=2
                                        ;       Child Loop BB31_54 Depth 3
	s_cmp_eq_u32 s28, 0
	s_mov_b32 s29, s28
	s_cbranch_scc1 .LBB31_52
.LBB31_54:                              ;   Parent Loop BB31_17 Depth=1
                                        ;     Parent Loop BB31_53 Depth=2
                                        ; =>    This Inner Loop Header: Depth=3
	s_add_co_i32 s29, s29, -1
	s_sleep 1
	s_cmp_eq_u32 s29, 0
	s_cbranch_scc0 .LBB31_54
	s_branch .LBB31_52
.LBB31_55:
	s_delay_alu instid0(VALU_DEP_1)
	v_mov_b64_e32 v[12:13], v[10:11]
	v_mov_b64_e32 v[14:15], v[8:9]
	s_and_saveexec_b32 s0, s2
	s_cbranch_execnz .LBB31_57
	s_branch .LBB31_58
.LBB31_56:
	v_dual_mov_b32 v6, v14 :: v_dual_mov_b32 v7, v13
	s_and_saveexec_b32 s0, s2
	s_cbranch_execz .LBB31_58
.LBB31_57:
	s_cmp_eq_u32 s6, 0
	s_delay_alu instid0(VALU_DEP_1) | instskip(SKIP_3) | instid1(VALU_DEP_2)
	v_xor_b32_e32 v5, 0x80000000, v14
	s_cselect_b32 vcc_lo, -1, 0
	v_mov_b32_e32 v4, v13
	v_lshl_add_u64 v[2:3], v[2:3], 3, s[8:9]
	v_pk_mul_f32 v[4:5], v[16:17], v[4:5] op_sel_hi:[0,1]
	s_delay_alu instid0(VALU_DEP_1) | instskip(NEXT) | instid1(VALU_DEP_1)
	v_pk_fma_f32 v[4:5], v[14:15], v[12:13], v[4:5]
	v_dual_cndmask_b32 v9, v6, v4 :: v_dual_cndmask_b32 v8, v7, v5
	global_store_b64 v[2:3], v[8:9], off
.LBB31_58:
	s_wait_xcnt 0x0
	s_or_b32 exec_lo, exec_lo, s0
	global_wb scope:SCOPE_DEV
	s_wait_loadcnt 0x0
	s_wait_storecnt 0x0
	global_inv scope:SCOPE_DEV
	s_wait_loadcnt 0x0
	s_barrier_signal -1
	s_barrier_wait -1
	s_mov_b32 s0, exec_lo
	v_cmpx_eq_u32_e32 0, v0
	s_cbranch_execz .LBB31_60
; %bb.59:
	s_add_co_i32 s0, s16, s7
	s_delay_alu instid0(SALU_CYCLE_1)
	v_dual_mov_b32 v0, 1 :: v_dual_mov_b32 v1, s0
	global_store_b32 v1, v0, s[18:19] scale_offset scope:SCOPE_DEV
.LBB31_60:
	s_endpgm
	.section	.rodata,"a",@progbits
	.p2align	6, 0x0
	.amdhsa_kernel _ZN9rocsparseL5csrsmILj1024ELj64ELb1Eii21rocsparse_complex_numIfEEEv20rocsparse_operation_T3_S4_NS_24const_host_device_scalarIT4_EEPKT2_PKS4_PKS6_PS6_lPiSC_PS4_21rocsparse_index_base_20rocsparse_fill_mode_20rocsparse_diag_type_b
		.amdhsa_group_segment_fixed_size 12288
		.amdhsa_private_segment_fixed_size 0
		.amdhsa_kernarg_size 104
		.amdhsa_user_sgpr_count 2
		.amdhsa_user_sgpr_dispatch_ptr 0
		.amdhsa_user_sgpr_queue_ptr 0
		.amdhsa_user_sgpr_kernarg_segment_ptr 1
		.amdhsa_user_sgpr_dispatch_id 0
		.amdhsa_user_sgpr_kernarg_preload_length 0
		.amdhsa_user_sgpr_kernarg_preload_offset 0
		.amdhsa_user_sgpr_private_segment_size 0
		.amdhsa_wavefront_size32 1
		.amdhsa_uses_dynamic_stack 0
		.amdhsa_enable_private_segment 0
		.amdhsa_system_sgpr_workgroup_id_x 1
		.amdhsa_system_sgpr_workgroup_id_y 0
		.amdhsa_system_sgpr_workgroup_id_z 0
		.amdhsa_system_sgpr_workgroup_info 0
		.amdhsa_system_vgpr_workitem_id 0
		.amdhsa_next_free_vgpr 24
		.amdhsa_next_free_sgpr 31
		.amdhsa_named_barrier_count 0
		.amdhsa_reserve_vcc 1
		.amdhsa_float_round_mode_32 0
		.amdhsa_float_round_mode_16_64 0
		.amdhsa_float_denorm_mode_32 3
		.amdhsa_float_denorm_mode_16_64 3
		.amdhsa_fp16_overflow 0
		.amdhsa_memory_ordered 1
		.amdhsa_forward_progress 1
		.amdhsa_inst_pref_size 18
		.amdhsa_round_robin_scheduling 0
		.amdhsa_exception_fp_ieee_invalid_op 0
		.amdhsa_exception_fp_denorm_src 0
		.amdhsa_exception_fp_ieee_div_zero 0
		.amdhsa_exception_fp_ieee_overflow 0
		.amdhsa_exception_fp_ieee_underflow 0
		.amdhsa_exception_fp_ieee_inexact 0
		.amdhsa_exception_int_div_zero 0
	.end_amdhsa_kernel
	.section	.text._ZN9rocsparseL5csrsmILj1024ELj64ELb1Eii21rocsparse_complex_numIfEEEv20rocsparse_operation_T3_S4_NS_24const_host_device_scalarIT4_EEPKT2_PKS4_PKS6_PS6_lPiSC_PS4_21rocsparse_index_base_20rocsparse_fill_mode_20rocsparse_diag_type_b,"axG",@progbits,_ZN9rocsparseL5csrsmILj1024ELj64ELb1Eii21rocsparse_complex_numIfEEEv20rocsparse_operation_T3_S4_NS_24const_host_device_scalarIT4_EEPKT2_PKS4_PKS6_PS6_lPiSC_PS4_21rocsparse_index_base_20rocsparse_fill_mode_20rocsparse_diag_type_b,comdat
.Lfunc_end31:
	.size	_ZN9rocsparseL5csrsmILj1024ELj64ELb1Eii21rocsparse_complex_numIfEEEv20rocsparse_operation_T3_S4_NS_24const_host_device_scalarIT4_EEPKT2_PKS4_PKS6_PS6_lPiSC_PS4_21rocsparse_index_base_20rocsparse_fill_mode_20rocsparse_diag_type_b, .Lfunc_end31-_ZN9rocsparseL5csrsmILj1024ELj64ELb1Eii21rocsparse_complex_numIfEEEv20rocsparse_operation_T3_S4_NS_24const_host_device_scalarIT4_EEPKT2_PKS4_PKS6_PS6_lPiSC_PS4_21rocsparse_index_base_20rocsparse_fill_mode_20rocsparse_diag_type_b
                                        ; -- End function
	.set _ZN9rocsparseL5csrsmILj1024ELj64ELb1Eii21rocsparse_complex_numIfEEEv20rocsparse_operation_T3_S4_NS_24const_host_device_scalarIT4_EEPKT2_PKS4_PKS6_PS6_lPiSC_PS4_21rocsparse_index_base_20rocsparse_fill_mode_20rocsparse_diag_type_b.num_vgpr, 24
	.set _ZN9rocsparseL5csrsmILj1024ELj64ELb1Eii21rocsparse_complex_numIfEEEv20rocsparse_operation_T3_S4_NS_24const_host_device_scalarIT4_EEPKT2_PKS4_PKS6_PS6_lPiSC_PS4_21rocsparse_index_base_20rocsparse_fill_mode_20rocsparse_diag_type_b.num_agpr, 0
	.set _ZN9rocsparseL5csrsmILj1024ELj64ELb1Eii21rocsparse_complex_numIfEEEv20rocsparse_operation_T3_S4_NS_24const_host_device_scalarIT4_EEPKT2_PKS4_PKS6_PS6_lPiSC_PS4_21rocsparse_index_base_20rocsparse_fill_mode_20rocsparse_diag_type_b.numbered_sgpr, 31
	.set _ZN9rocsparseL5csrsmILj1024ELj64ELb1Eii21rocsparse_complex_numIfEEEv20rocsparse_operation_T3_S4_NS_24const_host_device_scalarIT4_EEPKT2_PKS4_PKS6_PS6_lPiSC_PS4_21rocsparse_index_base_20rocsparse_fill_mode_20rocsparse_diag_type_b.num_named_barrier, 0
	.set _ZN9rocsparseL5csrsmILj1024ELj64ELb1Eii21rocsparse_complex_numIfEEEv20rocsparse_operation_T3_S4_NS_24const_host_device_scalarIT4_EEPKT2_PKS4_PKS6_PS6_lPiSC_PS4_21rocsparse_index_base_20rocsparse_fill_mode_20rocsparse_diag_type_b.private_seg_size, 0
	.set _ZN9rocsparseL5csrsmILj1024ELj64ELb1Eii21rocsparse_complex_numIfEEEv20rocsparse_operation_T3_S4_NS_24const_host_device_scalarIT4_EEPKT2_PKS4_PKS6_PS6_lPiSC_PS4_21rocsparse_index_base_20rocsparse_fill_mode_20rocsparse_diag_type_b.uses_vcc, 1
	.set _ZN9rocsparseL5csrsmILj1024ELj64ELb1Eii21rocsparse_complex_numIfEEEv20rocsparse_operation_T3_S4_NS_24const_host_device_scalarIT4_EEPKT2_PKS4_PKS6_PS6_lPiSC_PS4_21rocsparse_index_base_20rocsparse_fill_mode_20rocsparse_diag_type_b.uses_flat_scratch, 0
	.set _ZN9rocsparseL5csrsmILj1024ELj64ELb1Eii21rocsparse_complex_numIfEEEv20rocsparse_operation_T3_S4_NS_24const_host_device_scalarIT4_EEPKT2_PKS4_PKS6_PS6_lPiSC_PS4_21rocsparse_index_base_20rocsparse_fill_mode_20rocsparse_diag_type_b.has_dyn_sized_stack, 0
	.set _ZN9rocsparseL5csrsmILj1024ELj64ELb1Eii21rocsparse_complex_numIfEEEv20rocsparse_operation_T3_S4_NS_24const_host_device_scalarIT4_EEPKT2_PKS4_PKS6_PS6_lPiSC_PS4_21rocsparse_index_base_20rocsparse_fill_mode_20rocsparse_diag_type_b.has_recursion, 0
	.set _ZN9rocsparseL5csrsmILj1024ELj64ELb1Eii21rocsparse_complex_numIfEEEv20rocsparse_operation_T3_S4_NS_24const_host_device_scalarIT4_EEPKT2_PKS4_PKS6_PS6_lPiSC_PS4_21rocsparse_index_base_20rocsparse_fill_mode_20rocsparse_diag_type_b.has_indirect_call, 0
	.section	.AMDGPU.csdata,"",@progbits
; Kernel info:
; codeLenInByte = 2196
; TotalNumSgprs: 33
; NumVgprs: 24
; ScratchSize: 0
; MemoryBound: 0
; FloatMode: 240
; IeeeMode: 1
; LDSByteSize: 12288 bytes/workgroup (compile time only)
; SGPRBlocks: 0
; VGPRBlocks: 1
; NumSGPRsForWavesPerEU: 33
; NumVGPRsForWavesPerEU: 24
; NamedBarCnt: 0
; Occupancy: 16
; WaveLimiterHint : 1
; COMPUTE_PGM_RSRC2:SCRATCH_EN: 0
; COMPUTE_PGM_RSRC2:USER_SGPR: 2
; COMPUTE_PGM_RSRC2:TRAP_HANDLER: 0
; COMPUTE_PGM_RSRC2:TGID_X_EN: 1
; COMPUTE_PGM_RSRC2:TGID_Y_EN: 0
; COMPUTE_PGM_RSRC2:TGID_Z_EN: 0
; COMPUTE_PGM_RSRC2:TIDIG_COMP_CNT: 0
	.section	.text._ZN9rocsparseL5csrsmILj1024ELj64ELb0Eii21rocsparse_complex_numIfEEEv20rocsparse_operation_T3_S4_NS_24const_host_device_scalarIT4_EEPKT2_PKS4_PKS6_PS6_lPiSC_PS4_21rocsparse_index_base_20rocsparse_fill_mode_20rocsparse_diag_type_b,"axG",@progbits,_ZN9rocsparseL5csrsmILj1024ELj64ELb0Eii21rocsparse_complex_numIfEEEv20rocsparse_operation_T3_S4_NS_24const_host_device_scalarIT4_EEPKT2_PKS4_PKS6_PS6_lPiSC_PS4_21rocsparse_index_base_20rocsparse_fill_mode_20rocsparse_diag_type_b,comdat
	.globl	_ZN9rocsparseL5csrsmILj1024ELj64ELb0Eii21rocsparse_complex_numIfEEEv20rocsparse_operation_T3_S4_NS_24const_host_device_scalarIT4_EEPKT2_PKS4_PKS6_PS6_lPiSC_PS4_21rocsparse_index_base_20rocsparse_fill_mode_20rocsparse_diag_type_b ; -- Begin function _ZN9rocsparseL5csrsmILj1024ELj64ELb0Eii21rocsparse_complex_numIfEEEv20rocsparse_operation_T3_S4_NS_24const_host_device_scalarIT4_EEPKT2_PKS4_PKS6_PS6_lPiSC_PS4_21rocsparse_index_base_20rocsparse_fill_mode_20rocsparse_diag_type_b
	.p2align	8
	.type	_ZN9rocsparseL5csrsmILj1024ELj64ELb0Eii21rocsparse_complex_numIfEEEv20rocsparse_operation_T3_S4_NS_24const_host_device_scalarIT4_EEPKT2_PKS4_PKS6_PS6_lPiSC_PS4_21rocsparse_index_base_20rocsparse_fill_mode_20rocsparse_diag_type_b,@function
_ZN9rocsparseL5csrsmILj1024ELj64ELb0Eii21rocsparse_complex_numIfEEEv20rocsparse_operation_T3_S4_NS_24const_host_device_scalarIT4_EEPKT2_PKS4_PKS6_PS6_lPiSC_PS4_21rocsparse_index_base_20rocsparse_fill_mode_20rocsparse_diag_type_b: ; @_ZN9rocsparseL5csrsmILj1024ELj64ELb0Eii21rocsparse_complex_numIfEEEv20rocsparse_operation_T3_S4_NS_24const_host_device_scalarIT4_EEPKT2_PKS4_PKS6_PS6_lPiSC_PS4_21rocsparse_index_base_20rocsparse_fill_mode_20rocsparse_diag_type_b
; %bb.0:
	s_clause 0x1
	s_load_b128 s[4:7], s[0:1], 0x58
	s_load_b64 s[2:3], s[0:1], 0x10
	s_wait_kmcnt 0x0
	s_bitcmp1_b32 s7, 0
	s_mov_b32 s15, s2
	s_cselect_b32 s8, -1, 0
	s_delay_alu instid0(SALU_CYCLE_1)
	s_xor_b32 s7, s8, -1
	s_and_b32 vcc_lo, exec_lo, s8
	s_cbranch_vccnz .LBB32_2
; %bb.1:
	s_load_b32 s15, s[2:3], 0x0
.LBB32_2:
	s_clause 0x1
	s_load_b64 s[18:19], s[0:1], 0x18
	s_load_b64 s[8:9], s[0:1], 0x48
	s_and_not1_b32 vcc_lo, exec_lo, s7
	s_cbranch_vccnz .LBB32_4
; %bb.3:
	s_wait_xcnt 0x0
	s_load_b32 s3, s[2:3], 0x4
.LBB32_4:
	s_nop 0
	s_load_b96 s[12:14], s[0:1], 0x0
	s_bfe_u32 s10, ttmp6, 0x4000c
	s_and_b32 s7, ttmp6, 15
	s_add_co_i32 s10, s10, 1
	s_getreg_b32 s11, hwreg(HW_REG_IB_STS2, 6, 4)
	s_mul_i32 s10, ttmp9, s10
	s_delay_alu instid0(SALU_CYCLE_1) | instskip(SKIP_3) | instid1(SALU_CYCLE_2)
	s_add_co_i32 s7, s7, s10
	s_wait_kmcnt 0x0
	s_cvt_f32_u32 s2, s13
	s_sub_co_i32 s16, 0, s13
	v_rcp_iflag_f32_e32 v1, s2
	v_nop
	s_delay_alu instid0(TRANS32_DEP_1) | instskip(SKIP_1) | instid1(SALU_CYCLE_3)
	v_readfirstlane_b32 s2, v1
	s_mul_f32 s2, s2, 0x4f7ffffe
	s_cvt_u32_f32 s2, s2
	s_delay_alu instid0(SALU_CYCLE_3) | instskip(NEXT) | instid1(SALU_CYCLE_1)
	s_mul_i32 s16, s16, s2
	s_mul_hi_u32 s16, s2, s16
	s_delay_alu instid0(SALU_CYCLE_1) | instskip(SKIP_2) | instid1(SALU_CYCLE_1)
	s_add_co_i32 s2, s2, s16
	s_cmp_eq_u32 s11, 0
	s_cselect_b32 s10, ttmp9, s7
	s_mul_hi_u32 s2, s10, s2
	s_delay_alu instid0(SALU_CYCLE_1) | instskip(SKIP_2) | instid1(SALU_CYCLE_1)
	s_mul_i32 s7, s2, s13
	s_add_co_i32 s11, s2, 1
	s_sub_co_i32 s7, s10, s7
	s_sub_co_i32 s16, s7, s13
	s_cmp_ge_u32 s7, s13
	s_cselect_b32 s2, s11, s2
	s_cselect_b32 s7, s16, s7
	s_add_co_i32 s11, s2, 1
	s_cmp_ge_u32 s7, s13
	s_cselect_b32 s2, s11, s2
	s_delay_alu instid0(SALU_CYCLE_1) | instskip(SKIP_2) | instid1(SALU_CYCLE_1)
	s_mul_i32 s7, s2, s13
	v_lshl_or_b32 v4, s2, 10, v0
	s_sub_co_i32 s10, s10, s7
	s_ashr_i32 s11, s10, 31
	s_delay_alu instid0(VALU_DEP_1) | instskip(SKIP_1) | instid1(SALU_CYCLE_1)
	v_ashrrev_i32_e32 v5, 31, v4
	s_lshl_b64 s[10:11], s[10:11], 2
	s_add_nc_u64 s[20:21], s[8:9], s[10:11]
	s_load_b32 s16, s[20:21], 0x0
	s_load_b128 s[8:11], s[0:1], 0x30
	s_wait_kmcnt 0x0
	s_ashr_i32 s17, s16, 31
	v_mad_nc_u64_u32 v[2:3], s10, s16, v[4:5]
	s_lshl_b64 s[20:21], s[16:17], 2
	s_mul_i32 s2, s10, s17
	s_add_nc_u64 s[18:19], s[18:19], s[20:21]
	s_mul_i32 s13, s11, s16
	s_load_b64 s[22:23], s[18:19], 0x0
	s_cmp_lg_u32 s12, 0x71
	s_delay_alu instid0(VALU_DEP_1)
	v_add3_u32 v3, s2, s13, v3
	v_cmp_gt_i32_e64 s2, s14, v4
	s_cbranch_scc0 .LBB32_8
; %bb.5:
	v_mov_b64_e32 v[6:7], 0
	s_and_saveexec_b32 s12, s2
	s_cbranch_execz .LBB32_7
; %bb.6:
	v_lshl_add_u64 v[6:7], v[2:3], 3, s[8:9]
	s_xor_b32 s13, s3, 0x80000000
	s_delay_alu instid0(SALU_CYCLE_1) | instskip(SKIP_4) | instid1(VALU_DEP_1)
	v_dual_mov_b32 v9, s15 :: v_dual_mov_b32 v11, s13
	v_dual_mov_b32 v10, s15 :: v_dual_mov_b32 v8, s3
	global_load_b64 v[6:7], v[6:7], off
	s_wait_loadcnt 0x0
	v_pk_mul_f32 v[10:11], v[6:7], v[10:11] op_sel:[1,0]
	v_pk_fma_f32 v[6:7], v[8:9], v[6:7], v[10:11] op_sel_hi:[1,0,1]
.LBB32_7:
	s_or_b32 exec_lo, exec_lo, s12
	s_wait_xcnt 0x0
	s_load_b64 s[18:19], s[0:1], 0x40
	s_cbranch_execz .LBB32_9
	s_branch .LBB32_12
.LBB32_8:
                                        ; implicit-def: $vgpr6_vgpr7
	s_wait_xcnt 0x0
	s_load_b64 s[18:19], s[0:1], 0x40
.LBB32_9:
	v_mov_b64_e32 v[6:7], 0
	s_and_saveexec_b32 s12, s2
	s_cbranch_execz .LBB32_11
; %bb.10:
	v_lshl_add_u64 v[6:7], v[2:3], 3, s[8:9]
	s_mov_b32 s14, s3
	s_delay_alu instid0(SALU_CYCLE_1) | instskip(SKIP_3) | instid1(VALU_DEP_1)
	v_mov_b64_e32 v[8:9], s[14:15]
	global_load_b64 v[6:7], v[6:7], off
	s_wait_loadcnt 0x0
	v_pk_mul_f32 v[10:11], v[6:7], v[8:9] op_sel:[1,0] neg_hi:[1,0]
	v_pk_fma_f32 v[6:7], v[8:9], v[6:7], v[10:11] op_sel:[0,0,1] op_sel_hi:[1,0,0]
.LBB32_11:
	s_or_b32 exec_lo, exec_lo, s12
.LBB32_12:
	s_delay_alu instid0(VALU_DEP_1) | instskip(NEXT) | instid1(VALU_DEP_2)
	v_dual_mov_b32 v9, 1.0 :: v_dual_mov_b32 v8, v6
	v_dual_mov_b32 v11, v7 :: v_dual_mov_b32 v16, 0
	v_cmp_eq_u32_e64 s3, 0, v0
	s_delay_alu instid0(VALU_DEP_3)
	v_mov_b32_e32 v10, v9
	s_wait_kmcnt 0x0
	s_cmp_ge_i32 s22, s23
	s_cbranch_scc1 .LBB32_53
; %bb.13:
	s_clause 0x1
	s_load_b64 s[20:21], s[0:1], 0x50
	s_load_b128 s[12:15], s[0:1], 0x20
	v_lshl_add_u64 v[4:5], v[4:5], 3, s[8:9]
	s_sub_co_i32 s17, s22, s4
	s_sub_co_i32 s24, s23, s4
	v_lshl_or_b32 v1, v0, 2, 0x2000
	v_dual_mov_b32 v6, 0 :: v_dual_lshlrev_b32 v17, 3, v0
	v_mov_b32_e32 v18, 0
	s_cmp_eq_u32 s6, 0
	s_mov_b32 s27, s17
	s_cselect_b32 s25, -1, 0
	s_add_co_i32 s26, s16, s4
	s_wait_xcnt 0x0
	s_sub_co_i32 s0, s27, s17
	s_delay_alu instid0(SALU_CYCLE_1) | instskip(NEXT) | instid1(SALU_CYCLE_1)
	s_and_b32 s0, s0, 0x3ff
	s_cmp_lg_u32 s0, 0
	s_cbranch_scc1 .LBB32_17
.LBB32_14:
	s_sub_co_i32 s1, s24, s27
	v_dual_mov_b32 v13, 0 :: v_dual_mov_b32 v12, -1.0
	v_cmp_gt_u32_e32 vcc_lo, s1, v0
	v_mov_b32_e32 v7, -1
	s_and_saveexec_b32 s1, vcc_lo
	s_cbranch_execz .LBB32_16
; %bb.15:
	v_add_nc_u32_e32 v7, s27, v0
	s_wait_kmcnt 0x0
	s_clause 0x1
	global_load_b32 v14, v7, s[12:13] scale_offset
	global_load_b64 v[12:13], v7, s[14:15] scale_offset
	s_wait_loadcnt 0x1
	s_wait_xcnt 0x0
	v_subrev_nc_u32_e32 v7, s4, v14
.LBB32_16:
	s_or_b32 exec_lo, exec_lo, s1
	ds_store_b32 v1, v7
	s_wait_loadcnt 0x0
	ds_store_b64 v17, v[12:13]
.LBB32_17:                              ; =>This Loop Header: Depth=1
                                        ;     Child Loop BB32_43 Depth 2
	s_lshl_b32 s1, s0, 3
	s_wait_dscnt 0x0
	v_mov_b32_e32 v7, s1
	s_barrier_signal -1
	s_barrier_wait -1
	s_lshl_b32 s0, s0, 2
	ds_load_b64 v[12:13], v7
	v_mov_b32_e32 v7, s0
	ds_load_b32 v7, v7 offset:8192
	s_wait_dscnt 0x1
	v_readfirstlane_b32 s1, v12
	v_readfirstlane_b32 s23, v13
	s_cmp_eq_f32 s1, 0
	s_wait_dscnt 0x0
	v_readfirstlane_b32 s0, v7
	s_cselect_b32 s22, -1, 0
	s_cmp_eq_f32 s23, 0
	s_cselect_b32 s28, -1, 0
	s_delay_alu instid0(SALU_CYCLE_1)
	s_and_b32 s29, s22, s28
	s_cmp_eq_u32 s0, s16
	s_cselect_b32 s28, -1, 0
	s_cmp_lg_u32 s0, s16
	s_cselect_b32 s22, -1, 0
	s_and_b32 s29, s29, s28
	s_delay_alu instid0(SALU_CYCLE_1) | instskip(NEXT) | instid1(SALU_CYCLE_1)
	s_and_b32 s29, s25, s29
	s_and_b32 s30, s3, s29
	s_and_b32 s29, s29, exec_lo
	s_cselect_b32 s23, 0, s23
	s_cselect_b32 s1, 1.0, s1
	s_delay_alu instid0(SALU_CYCLE_1)
	v_dual_mov_b32 v19, s23 :: v_dual_mov_b32 v20, s1
	s_and_saveexec_b32 s1, s30
	s_cbranch_execz .LBB32_21
; %bb.18:                               ;   in Loop: Header=BB32_17 Depth=1
	v_mbcnt_lo_u32_b32 v7, exec_lo, 0
	s_mov_b32 s23, exec_lo
	s_delay_alu instid0(VALU_DEP_1)
	v_cmpx_eq_u32_e32 0, v7
	s_cbranch_execz .LBB32_20
; %bb.19:                               ;   in Loop: Header=BB32_17 Depth=1
	v_mov_b32_e32 v7, s26
	s_wait_kmcnt 0x0
	global_atomic_min_i32 v6, v7, s[20:21] scope:SCOPE_DEV
.LBB32_20:                              ;   in Loop: Header=BB32_17 Depth=1
	s_wait_xcnt 0x0
	s_or_b32 exec_lo, exec_lo, s23
	v_dual_mov_b32 v20, 1.0 :: v_dual_mov_b32 v19, 0
.LBB32_21:                              ;   in Loop: Header=BB32_17 Depth=1
	s_or_b32 exec_lo, exec_lo, s1
	s_mov_b32 s29, -1
	s_mov_b32 s1, 0
	s_cmp_lt_i32 s5, 1
	s_mov_b32 s23, 0
                                        ; implicit-def: $vgpr12_vgpr13
                                        ; implicit-def: $vgpr14_vgpr15
                                        ; implicit-def: $vgpr16
	s_cbranch_scc0 .LBB32_28
; %bb.22:                               ;   in Loop: Header=BB32_17 Depth=1
	s_and_b32 vcc_lo, exec_lo, s29
	s_mov_b32 s28, 4
	s_cbranch_vccnz .LBB32_35
.LBB32_23:                              ;   in Loop: Header=BB32_17 Depth=1
	s_and_b32 vcc_lo, exec_lo, s23
	s_cbranch_vccnz .LBB32_40
.LBB32_24:                              ;   in Loop: Header=BB32_17 Depth=1
	s_and_b32 vcc_lo, exec_lo, s1
	s_cbranch_vccnz .LBB32_47
.LBB32_25:                              ;   in Loop: Header=BB32_17 Depth=1
	s_mov_b32 s0, -1
	s_cmp_gt_i32 s28, 3
	s_mov_b32 s1, -1
	s_cbranch_scc0 .LBB32_50
.LBB32_26:                              ;   in Loop: Header=BB32_17 Depth=1
	s_and_not1_b32 vcc_lo, exec_lo, s1
	s_cbranch_vccz .LBB32_51
.LBB32_27:                              ;   in Loop: Header=BB32_17 Depth=1
	s_and_not1_b32 vcc_lo, exec_lo, s0
	s_cbranch_vccnz .LBB32_52
	s_branch .LBB32_54
.LBB32_28:                              ;   in Loop: Header=BB32_17 Depth=1
	s_cmp_eq_u32 s5, 1
	s_mov_b32 s23, -1
                                        ; implicit-def: $vgpr12_vgpr13
                                        ; implicit-def: $vgpr14_vgpr15
                                        ; implicit-def: $vgpr16
	s_cbranch_scc0 .LBB32_34
; %bb.29:                               ;   in Loop: Header=BB32_17 Depth=1
	v_mov_b64_e32 v[12:13], v[10:11]
	v_mov_b64_e32 v[14:15], v[8:9]
	v_mov_b32_e32 v16, v18
	s_cmp_ge_i32 s0, s16
	s_mov_b32 s23, 0
	s_cbranch_scc0 .LBB32_34
; %bb.30:                               ;   in Loop: Header=BB32_17 Depth=1
	s_and_b32 vcc_lo, exec_lo, s28
	s_mov_b32 s23, -1
                                        ; implicit-def: $vgpr12_vgpr13
                                        ; implicit-def: $vgpr14_vgpr15
                                        ; implicit-def: $vgpr16
	s_cbranch_vccz .LBB32_34
; %bb.31:                               ;   in Loop: Header=BB32_17 Depth=1
	v_mov_b64_e32 v[12:13], v[10:11]
	v_mov_b64_e32 v[14:15], v[8:9]
	v_mov_b32_e32 v16, v18
	s_and_not1_b32 vcc_lo, exec_lo, s25
	s_cbranch_vccnz .LBB32_33
; %bb.32:                               ;   in Loop: Header=BB32_17 Depth=1
	v_mul_f32_e32 v7, v19, v19
	s_delay_alu instid0(VALU_DEP_1) | instskip(NEXT) | instid1(VALU_DEP_1)
	v_fmac_f32_e32 v7, v20, v20
	v_div_scale_f32 v12, null, v7, v7, 1.0
	v_div_scale_f32 v15, vcc_lo, 1.0, v7, 1.0
	s_delay_alu instid0(VALU_DEP_2) | instskip(SKIP_1) | instid1(TRANS32_DEP_1)
	v_rcp_f32_e32 v13, v12
	v_nop
	v_fma_f32 v14, -v12, v13, 1.0
	s_delay_alu instid0(VALU_DEP_1) | instskip(NEXT) | instid1(VALU_DEP_1)
	v_fmac_f32_e32 v13, v14, v13
	v_mul_f32_e32 v14, v15, v13
	s_delay_alu instid0(VALU_DEP_1) | instskip(NEXT) | instid1(VALU_DEP_1)
	v_fma_f32 v16, -v12, v14, v15
	v_fmac_f32_e32 v14, v16, v13
	s_delay_alu instid0(VALU_DEP_1) | instskip(NEXT) | instid1(VALU_DEP_1)
	v_fma_f32 v12, -v12, v14, v15
	v_div_fmas_f32 v12, v12, v13, v14
	v_dual_fma_f32 v13, 0, v19, v20 :: v_dual_mov_b32 v14, v8
	s_delay_alu instid0(VALU_DEP_2) | instskip(SKIP_1) | instid1(VALU_DEP_1)
	v_div_fixup_f32 v7, v12, v7, 1.0
	v_fma_f32 v12, v20, 0, -v19
	v_dual_mul_f32 v15, v13, v7 :: v_dual_mul_f32 v16, v12, v7
	s_delay_alu instid0(VALU_DEP_1)
	v_dual_mov_b32 v13, v11 :: v_dual_mov_b32 v12, v15
.LBB32_33:                              ;   in Loop: Header=BB32_17 Depth=1
	s_mov_b32 s23, 0
.LBB32_34:                              ;   in Loop: Header=BB32_17 Depth=1
	s_mov_b32 s28, 4
	s_branch .LBB32_23
.LBB32_35:                              ;   in Loop: Header=BB32_17 Depth=1
	s_cmp_eq_u32 s5, 0
	s_cbranch_scc1 .LBB32_37
; %bb.36:                               ;   in Loop: Header=BB32_17 Depth=1
	s_mov_b32 s23, -1
	s_branch .LBB32_39
.LBB32_37:                              ;   in Loop: Header=BB32_17 Depth=1
	s_cmp_le_i32 s0, s16
	s_mov_b32 s23, 0
	s_cbranch_scc0 .LBB32_39
; %bb.38:                               ;   in Loop: Header=BB32_17 Depth=1
	s_mov_b32 s1, -1
	s_mov_b32 s23, s22
.LBB32_39:                              ;   in Loop: Header=BB32_17 Depth=1
	v_mov_b64_e32 v[12:13], v[10:11]
	v_mov_b64_e32 v[14:15], v[8:9]
	v_mov_b32_e32 v16, v18
	s_mov_b32 s28, 2
	s_and_b32 vcc_lo, exec_lo, s23
	s_cbranch_vccz .LBB32_24
.LBB32_40:                              ;   in Loop: Header=BB32_17 Depth=1
	s_and_saveexec_b32 s1, s3
	s_cbranch_execz .LBB32_44
; %bb.41:                               ;   in Loop: Header=BB32_17 Depth=1
	s_add_co_i32 s22, s0, s7
	s_delay_alu instid0(SALU_CYCLE_1)
	v_mov_b32_e32 v7, s22
	global_load_b32 v7, v7, s[18:19] scale_offset scope:SCOPE_DEV
	s_wait_loadcnt 0x0
	v_cmp_ne_u32_e32 vcc_lo, 0, v7
	s_cbranch_vccnz .LBB32_44
; %bb.42:                               ;   in Loop: Header=BB32_17 Depth=1
	s_ashr_i32 s23, s22, 31
	s_delay_alu instid0(SALU_CYCLE_1) | instskip(NEXT) | instid1(SALU_CYCLE_1)
	s_lshl_b64 s[22:23], s[22:23], 2
	s_add_nc_u64 s[22:23], s[18:19], s[22:23]
.LBB32_43:                              ;   Parent Loop BB32_17 Depth=1
                                        ; =>  This Inner Loop Header: Depth=2
	global_load_b32 v7, v6, s[22:23] scope:SCOPE_DEV
	s_wait_loadcnt 0x0
	v_cmp_eq_u32_e32 vcc_lo, 0, v7
	s_cbranch_vccnz .LBB32_43
.LBB32_44:                              ;   in Loop: Header=BB32_17 Depth=1
	s_wait_xcnt 0x0
	s_or_b32 exec_lo, exec_lo, s1
	v_dual_mov_b32 v7, v9 :: v_dual_mov_b32 v12, v9
	v_mov_b32_e32 v13, v6
	s_wait_storecnt 0x0
	s_barrier_signal -1
	s_delay_alu instid0(VALU_DEP_2)
	v_mov_b64_e32 v[14:15], v[6:7]
	s_barrier_wait -1
	global_inv scope:SCOPE_DEV
	s_and_saveexec_b32 s22, s2
	s_cbranch_execz .LBB32_46
; %bb.45:                               ;   in Loop: Header=BB32_17 Depth=1
	s_ashr_i32 s1, s0, 31
	s_delay_alu instid0(SALU_CYCLE_1) | instskip(NEXT) | instid1(SALU_CYCLE_1)
	s_mul_u64 s[0:1], s[10:11], s[0:1]
	v_lshl_add_u64 v[12:13], s[0:1], 3, v[4:5]
	global_load_b64 v[22:23], v[12:13], off
	s_wait_loadcnt 0x0
	v_dual_mov_b32 v12, v9 :: v_dual_fma_f32 v13, -v20, v22, v11
	v_dual_fma_f32 v7, -v19, v22, v8 :: v_dual_mov_b32 v15, v9
	s_delay_alu instid0(VALU_DEP_1)
	v_dual_fmac_f32 v13, v19, v23 :: v_dual_fma_f32 v14, -v20, v23, v7
.LBB32_46:                              ;   in Loop: Header=BB32_17 Depth=1
	s_or_b32 exec_lo, exec_lo, s22
	v_mov_b32_e32 v16, v18
	s_mov_b32 s28, 0
	s_branch .LBB32_25
.LBB32_47:                              ;   in Loop: Header=BB32_17 Depth=1
	s_and_not1_b32 vcc_lo, exec_lo, s25
	s_cbranch_vccnz .LBB32_49
; %bb.48:                               ;   in Loop: Header=BB32_17 Depth=1
	v_mul_f32_e32 v7, v19, v19
	s_delay_alu instid0(VALU_DEP_1) | instskip(NEXT) | instid1(VALU_DEP_1)
	v_fmac_f32_e32 v7, v20, v20
	v_div_scale_f32 v9, null, v7, v7, 1.0
	v_div_scale_f32 v13, vcc_lo, 1.0, v7, 1.0
	s_delay_alu instid0(VALU_DEP_2) | instskip(SKIP_1) | instid1(TRANS32_DEP_1)
	v_rcp_f32_e32 v10, v9
	v_nop
	v_fma_f32 v12, -v9, v10, 1.0
	s_delay_alu instid0(VALU_DEP_1) | instskip(NEXT) | instid1(VALU_DEP_1)
	v_fmac_f32_e32 v10, v12, v10
	v_mul_f32_e32 v12, v13, v10
	s_delay_alu instid0(VALU_DEP_1) | instskip(NEXT) | instid1(VALU_DEP_1)
	v_fma_f32 v14, -v9, v12, v13
	v_fmac_f32_e32 v12, v14, v10
	s_delay_alu instid0(VALU_DEP_1) | instskip(NEXT) | instid1(VALU_DEP_1)
	v_fma_f32 v9, -v9, v12, v13
	v_div_fmas_f32 v9, v9, v10, v12
	v_fma_f32 v10, v20, 0, -v19
	s_delay_alu instid0(VALU_DEP_2) | instskip(SKIP_1) | instid1(VALU_DEP_1)
	v_div_fixup_f32 v7, v9, v7, 1.0
	v_fma_f32 v9, 0, v19, v20
	v_dual_mul_f32 v9, v9, v7 :: v_dual_mul_f32 v18, v10, v7
	s_delay_alu instid0(VALU_DEP_1)
	v_mov_b32_e32 v10, v9
.LBB32_49:                              ;   in Loop: Header=BB32_17 Depth=1
	v_mov_b64_e32 v[14:15], v[8:9]
	s_delay_alu instid0(VALU_DEP_2) | instskip(NEXT) | instid1(VALU_DEP_4)
	v_mov_b64_e32 v[12:13], v[10:11]
	v_mov_b32_e32 v16, v18
	s_mov_b32 s28, 2
	s_mov_b32 s0, -1
	s_cmp_gt_i32 s28, 3
	s_mov_b32 s1, -1
	s_cbranch_scc1 .LBB32_26
.LBB32_50:                              ;   in Loop: Header=BB32_17 Depth=1
	s_cmp_eq_u32 s28, 0
	s_cselect_b32 s1, -1, 0
	s_delay_alu instid0(SALU_CYCLE_1)
	s_and_not1_b32 vcc_lo, exec_lo, s1
	s_cbranch_vccnz .LBB32_27
.LBB32_51:                              ;   in Loop: Header=BB32_17 Depth=1
	s_add_co_i32 s27, s27, 1
	s_delay_alu instid0(SALU_CYCLE_1) | instskip(SKIP_1) | instid1(SALU_CYCLE_1)
	s_cmp_ge_i32 s27, s24
	s_cselect_b32 s0, -1, 0
	s_and_not1_b32 vcc_lo, exec_lo, s0
	s_cbranch_vccz .LBB32_54
.LBB32_52:                              ;   in Loop: Header=BB32_17 Depth=1
	v_mov_b32_e32 v18, v16
	v_mov_b64_e32 v[8:9], v[14:15]
	v_mov_b64_e32 v[10:11], v[12:13]
	s_sub_co_i32 s0, s27, s17
	s_delay_alu instid0(SALU_CYCLE_1) | instskip(NEXT) | instid1(SALU_CYCLE_1)
	s_and_b32 s0, s0, 0x3ff
	s_cmp_lg_u32 s0, 0
	s_cbranch_scc1 .LBB32_17
	s_branch .LBB32_14
.LBB32_53:
	s_delay_alu instid0(VALU_DEP_1)
	v_mov_b64_e32 v[12:13], v[10:11]
	v_mov_b64_e32 v[14:15], v[8:9]
	s_and_saveexec_b32 s0, s2
	s_cbranch_execnz .LBB32_55
	s_branch .LBB32_56
.LBB32_54:
	v_dual_mov_b32 v6, v14 :: v_dual_mov_b32 v7, v13
	s_and_saveexec_b32 s0, s2
	s_cbranch_execz .LBB32_56
.LBB32_55:
	s_cmp_eq_u32 s6, 0
	s_delay_alu instid0(VALU_DEP_1) | instskip(SKIP_3) | instid1(VALU_DEP_2)
	v_xor_b32_e32 v5, 0x80000000, v14
	s_cselect_b32 vcc_lo, -1, 0
	v_mov_b32_e32 v4, v13
	v_lshl_add_u64 v[2:3], v[2:3], 3, s[8:9]
	v_pk_mul_f32 v[4:5], v[16:17], v[4:5] op_sel_hi:[0,1]
	s_delay_alu instid0(VALU_DEP_1) | instskip(NEXT) | instid1(VALU_DEP_1)
	v_pk_fma_f32 v[4:5], v[14:15], v[12:13], v[4:5]
	v_dual_cndmask_b32 v9, v6, v4 :: v_dual_cndmask_b32 v8, v7, v5
	global_store_b64 v[2:3], v[8:9], off
.LBB32_56:
	s_wait_xcnt 0x0
	s_or_b32 exec_lo, exec_lo, s0
	global_wb scope:SCOPE_DEV
	s_wait_loadcnt 0x0
	s_wait_storecnt 0x0
	global_inv scope:SCOPE_DEV
	s_wait_loadcnt 0x0
	s_barrier_signal -1
	s_barrier_wait -1
	s_mov_b32 s0, exec_lo
	v_cmpx_eq_u32_e32 0, v0
	s_cbranch_execz .LBB32_58
; %bb.57:
	s_add_co_i32 s0, s16, s7
	s_delay_alu instid0(SALU_CYCLE_1)
	v_dual_mov_b32 v0, 1 :: v_dual_mov_b32 v1, s0
	global_store_b32 v1, v0, s[18:19] scale_offset scope:SCOPE_DEV
.LBB32_58:
	s_endpgm
	.section	.rodata,"a",@progbits
	.p2align	6, 0x0
	.amdhsa_kernel _ZN9rocsparseL5csrsmILj1024ELj64ELb0Eii21rocsparse_complex_numIfEEEv20rocsparse_operation_T3_S4_NS_24const_host_device_scalarIT4_EEPKT2_PKS4_PKS6_PS6_lPiSC_PS4_21rocsparse_index_base_20rocsparse_fill_mode_20rocsparse_diag_type_b
		.amdhsa_group_segment_fixed_size 12288
		.amdhsa_private_segment_fixed_size 0
		.amdhsa_kernarg_size 104
		.amdhsa_user_sgpr_count 2
		.amdhsa_user_sgpr_dispatch_ptr 0
		.amdhsa_user_sgpr_queue_ptr 0
		.amdhsa_user_sgpr_kernarg_segment_ptr 1
		.amdhsa_user_sgpr_dispatch_id 0
		.amdhsa_user_sgpr_kernarg_preload_length 0
		.amdhsa_user_sgpr_kernarg_preload_offset 0
		.amdhsa_user_sgpr_private_segment_size 0
		.amdhsa_wavefront_size32 1
		.amdhsa_uses_dynamic_stack 0
		.amdhsa_enable_private_segment 0
		.amdhsa_system_sgpr_workgroup_id_x 1
		.amdhsa_system_sgpr_workgroup_id_y 0
		.amdhsa_system_sgpr_workgroup_id_z 0
		.amdhsa_system_sgpr_workgroup_info 0
		.amdhsa_system_vgpr_workitem_id 0
		.amdhsa_next_free_vgpr 24
		.amdhsa_next_free_sgpr 31
		.amdhsa_named_barrier_count 0
		.amdhsa_reserve_vcc 1
		.amdhsa_float_round_mode_32 0
		.amdhsa_float_round_mode_16_64 0
		.amdhsa_float_denorm_mode_32 3
		.amdhsa_float_denorm_mode_16_64 3
		.amdhsa_fp16_overflow 0
		.amdhsa_memory_ordered 1
		.amdhsa_forward_progress 1
		.amdhsa_inst_pref_size 17
		.amdhsa_round_robin_scheduling 0
		.amdhsa_exception_fp_ieee_invalid_op 0
		.amdhsa_exception_fp_denorm_src 0
		.amdhsa_exception_fp_ieee_div_zero 0
		.amdhsa_exception_fp_ieee_overflow 0
		.amdhsa_exception_fp_ieee_underflow 0
		.amdhsa_exception_fp_ieee_inexact 0
		.amdhsa_exception_int_div_zero 0
	.end_amdhsa_kernel
	.section	.text._ZN9rocsparseL5csrsmILj1024ELj64ELb0Eii21rocsparse_complex_numIfEEEv20rocsparse_operation_T3_S4_NS_24const_host_device_scalarIT4_EEPKT2_PKS4_PKS6_PS6_lPiSC_PS4_21rocsparse_index_base_20rocsparse_fill_mode_20rocsparse_diag_type_b,"axG",@progbits,_ZN9rocsparseL5csrsmILj1024ELj64ELb0Eii21rocsparse_complex_numIfEEEv20rocsparse_operation_T3_S4_NS_24const_host_device_scalarIT4_EEPKT2_PKS4_PKS6_PS6_lPiSC_PS4_21rocsparse_index_base_20rocsparse_fill_mode_20rocsparse_diag_type_b,comdat
.Lfunc_end32:
	.size	_ZN9rocsparseL5csrsmILj1024ELj64ELb0Eii21rocsparse_complex_numIfEEEv20rocsparse_operation_T3_S4_NS_24const_host_device_scalarIT4_EEPKT2_PKS4_PKS6_PS6_lPiSC_PS4_21rocsparse_index_base_20rocsparse_fill_mode_20rocsparse_diag_type_b, .Lfunc_end32-_ZN9rocsparseL5csrsmILj1024ELj64ELb0Eii21rocsparse_complex_numIfEEEv20rocsparse_operation_T3_S4_NS_24const_host_device_scalarIT4_EEPKT2_PKS4_PKS6_PS6_lPiSC_PS4_21rocsparse_index_base_20rocsparse_fill_mode_20rocsparse_diag_type_b
                                        ; -- End function
	.set _ZN9rocsparseL5csrsmILj1024ELj64ELb0Eii21rocsparse_complex_numIfEEEv20rocsparse_operation_T3_S4_NS_24const_host_device_scalarIT4_EEPKT2_PKS4_PKS6_PS6_lPiSC_PS4_21rocsparse_index_base_20rocsparse_fill_mode_20rocsparse_diag_type_b.num_vgpr, 24
	.set _ZN9rocsparseL5csrsmILj1024ELj64ELb0Eii21rocsparse_complex_numIfEEEv20rocsparse_operation_T3_S4_NS_24const_host_device_scalarIT4_EEPKT2_PKS4_PKS6_PS6_lPiSC_PS4_21rocsparse_index_base_20rocsparse_fill_mode_20rocsparse_diag_type_b.num_agpr, 0
	.set _ZN9rocsparseL5csrsmILj1024ELj64ELb0Eii21rocsparse_complex_numIfEEEv20rocsparse_operation_T3_S4_NS_24const_host_device_scalarIT4_EEPKT2_PKS4_PKS6_PS6_lPiSC_PS4_21rocsparse_index_base_20rocsparse_fill_mode_20rocsparse_diag_type_b.numbered_sgpr, 31
	.set _ZN9rocsparseL5csrsmILj1024ELj64ELb0Eii21rocsparse_complex_numIfEEEv20rocsparse_operation_T3_S4_NS_24const_host_device_scalarIT4_EEPKT2_PKS4_PKS6_PS6_lPiSC_PS4_21rocsparse_index_base_20rocsparse_fill_mode_20rocsparse_diag_type_b.num_named_barrier, 0
	.set _ZN9rocsparseL5csrsmILj1024ELj64ELb0Eii21rocsparse_complex_numIfEEEv20rocsparse_operation_T3_S4_NS_24const_host_device_scalarIT4_EEPKT2_PKS4_PKS6_PS6_lPiSC_PS4_21rocsparse_index_base_20rocsparse_fill_mode_20rocsparse_diag_type_b.private_seg_size, 0
	.set _ZN9rocsparseL5csrsmILj1024ELj64ELb0Eii21rocsparse_complex_numIfEEEv20rocsparse_operation_T3_S4_NS_24const_host_device_scalarIT4_EEPKT2_PKS4_PKS6_PS6_lPiSC_PS4_21rocsparse_index_base_20rocsparse_fill_mode_20rocsparse_diag_type_b.uses_vcc, 1
	.set _ZN9rocsparseL5csrsmILj1024ELj64ELb0Eii21rocsparse_complex_numIfEEEv20rocsparse_operation_T3_S4_NS_24const_host_device_scalarIT4_EEPKT2_PKS4_PKS6_PS6_lPiSC_PS4_21rocsparse_index_base_20rocsparse_fill_mode_20rocsparse_diag_type_b.uses_flat_scratch, 0
	.set _ZN9rocsparseL5csrsmILj1024ELj64ELb0Eii21rocsparse_complex_numIfEEEv20rocsparse_operation_T3_S4_NS_24const_host_device_scalarIT4_EEPKT2_PKS4_PKS6_PS6_lPiSC_PS4_21rocsparse_index_base_20rocsparse_fill_mode_20rocsparse_diag_type_b.has_dyn_sized_stack, 0
	.set _ZN9rocsparseL5csrsmILj1024ELj64ELb0Eii21rocsparse_complex_numIfEEEv20rocsparse_operation_T3_S4_NS_24const_host_device_scalarIT4_EEPKT2_PKS4_PKS6_PS6_lPiSC_PS4_21rocsparse_index_base_20rocsparse_fill_mode_20rocsparse_diag_type_b.has_recursion, 0
	.set _ZN9rocsparseL5csrsmILj1024ELj64ELb0Eii21rocsparse_complex_numIfEEEv20rocsparse_operation_T3_S4_NS_24const_host_device_scalarIT4_EEPKT2_PKS4_PKS6_PS6_lPiSC_PS4_21rocsparse_index_base_20rocsparse_fill_mode_20rocsparse_diag_type_b.has_indirect_call, 0
	.section	.AMDGPU.csdata,"",@progbits
; Kernel info:
; codeLenInByte = 2132
; TotalNumSgprs: 33
; NumVgprs: 24
; ScratchSize: 0
; MemoryBound: 0
; FloatMode: 240
; IeeeMode: 1
; LDSByteSize: 12288 bytes/workgroup (compile time only)
; SGPRBlocks: 0
; VGPRBlocks: 1
; NumSGPRsForWavesPerEU: 33
; NumVGPRsForWavesPerEU: 24
; NamedBarCnt: 0
; Occupancy: 16
; WaveLimiterHint : 1
; COMPUTE_PGM_RSRC2:SCRATCH_EN: 0
; COMPUTE_PGM_RSRC2:USER_SGPR: 2
; COMPUTE_PGM_RSRC2:TRAP_HANDLER: 0
; COMPUTE_PGM_RSRC2:TGID_X_EN: 1
; COMPUTE_PGM_RSRC2:TGID_Y_EN: 0
; COMPUTE_PGM_RSRC2:TGID_Z_EN: 0
; COMPUTE_PGM_RSRC2:TIDIG_COMP_CNT: 0
	.section	.text._ZN9rocsparseL23csrsm_solve_copy_y_to_BILj1024E21rocsparse_complex_numIdEEEvlPT0_lPKS3_,"axG",@progbits,_ZN9rocsparseL23csrsm_solve_copy_y_to_BILj1024E21rocsparse_complex_numIdEEEvlPT0_lPKS3_,comdat
	.globl	_ZN9rocsparseL23csrsm_solve_copy_y_to_BILj1024E21rocsparse_complex_numIdEEEvlPT0_lPKS3_ ; -- Begin function _ZN9rocsparseL23csrsm_solve_copy_y_to_BILj1024E21rocsparse_complex_numIdEEEvlPT0_lPKS3_
	.p2align	8
	.type	_ZN9rocsparseL23csrsm_solve_copy_y_to_BILj1024E21rocsparse_complex_numIdEEEvlPT0_lPKS3_,@function
_ZN9rocsparseL23csrsm_solve_copy_y_to_BILj1024E21rocsparse_complex_numIdEEEvlPT0_lPKS3_: ; @_ZN9rocsparseL23csrsm_solve_copy_y_to_BILj1024E21rocsparse_complex_numIdEEEvlPT0_lPKS3_
; %bb.0:
	s_load_b256 s[4:11], s[0:1], 0x0
	s_wait_xcnt 0x0
	s_bfe_u32 s0, ttmp6, 0x4000c
	s_and_b32 s1, ttmp6, 15
	s_add_co_i32 s0, s0, 1
	s_getreg_b32 s2, hwreg(HW_REG_IB_STS2, 6, 4)
	s_mul_i32 s0, ttmp9, s0
	v_mov_b32_e32 v1, 0
	s_add_co_i32 s1, s1, s0
	s_cmp_eq_u32 s2, 0
	s_cselect_b32 s0, ttmp9, s1
	s_delay_alu instid0(SALU_CYCLE_1) | instskip(SKIP_2) | instid1(VALU_DEP_1)
	v_lshl_or_b32 v0, s0, 10, v0
	s_mov_b32 s0, exec_lo
	s_wait_kmcnt 0x0
	v_cmpx_gt_u64_e64 s[4:5], v[0:1]
	s_cbranch_execz .LBB33_2
; %bb.1:
	v_lshl_add_u64 v[2:3], v[0:1], 4, s[10:11]
	v_mul_u64_e32 v[0:1], s[8:9], v[0:1]
	global_load_b128 v[2:5], v[2:3], off
	v_lshl_add_u64 v[0:1], v[0:1], 4, s[6:7]
	s_wait_loadcnt 0x0
	global_store_b128 v[0:1], v[2:5], off
.LBB33_2:
	s_endpgm
	.section	.rodata,"a",@progbits
	.p2align	6, 0x0
	.amdhsa_kernel _ZN9rocsparseL23csrsm_solve_copy_y_to_BILj1024E21rocsparse_complex_numIdEEEvlPT0_lPKS3_
		.amdhsa_group_segment_fixed_size 0
		.amdhsa_private_segment_fixed_size 0
		.amdhsa_kernarg_size 32
		.amdhsa_user_sgpr_count 2
		.amdhsa_user_sgpr_dispatch_ptr 0
		.amdhsa_user_sgpr_queue_ptr 0
		.amdhsa_user_sgpr_kernarg_segment_ptr 1
		.amdhsa_user_sgpr_dispatch_id 0
		.amdhsa_user_sgpr_kernarg_preload_length 0
		.amdhsa_user_sgpr_kernarg_preload_offset 0
		.amdhsa_user_sgpr_private_segment_size 0
		.amdhsa_wavefront_size32 1
		.amdhsa_uses_dynamic_stack 0
		.amdhsa_enable_private_segment 0
		.amdhsa_system_sgpr_workgroup_id_x 1
		.amdhsa_system_sgpr_workgroup_id_y 0
		.amdhsa_system_sgpr_workgroup_id_z 0
		.amdhsa_system_sgpr_workgroup_info 0
		.amdhsa_system_vgpr_workitem_id 0
		.amdhsa_next_free_vgpr 6
		.amdhsa_next_free_sgpr 12
		.amdhsa_named_barrier_count 0
		.amdhsa_reserve_vcc 0
		.amdhsa_float_round_mode_32 0
		.amdhsa_float_round_mode_16_64 0
		.amdhsa_float_denorm_mode_32 3
		.amdhsa_float_denorm_mode_16_64 3
		.amdhsa_fp16_overflow 0
		.amdhsa_memory_ordered 1
		.amdhsa_forward_progress 1
		.amdhsa_inst_pref_size 2
		.amdhsa_round_robin_scheduling 0
		.amdhsa_exception_fp_ieee_invalid_op 0
		.amdhsa_exception_fp_denorm_src 0
		.amdhsa_exception_fp_ieee_div_zero 0
		.amdhsa_exception_fp_ieee_overflow 0
		.amdhsa_exception_fp_ieee_underflow 0
		.amdhsa_exception_fp_ieee_inexact 0
		.amdhsa_exception_int_div_zero 0
	.end_amdhsa_kernel
	.section	.text._ZN9rocsparseL23csrsm_solve_copy_y_to_BILj1024E21rocsparse_complex_numIdEEEvlPT0_lPKS3_,"axG",@progbits,_ZN9rocsparseL23csrsm_solve_copy_y_to_BILj1024E21rocsparse_complex_numIdEEEvlPT0_lPKS3_,comdat
.Lfunc_end33:
	.size	_ZN9rocsparseL23csrsm_solve_copy_y_to_BILj1024E21rocsparse_complex_numIdEEEvlPT0_lPKS3_, .Lfunc_end33-_ZN9rocsparseL23csrsm_solve_copy_y_to_BILj1024E21rocsparse_complex_numIdEEEvlPT0_lPKS3_
                                        ; -- End function
	.set _ZN9rocsparseL23csrsm_solve_copy_y_to_BILj1024E21rocsparse_complex_numIdEEEvlPT0_lPKS3_.num_vgpr, 6
	.set _ZN9rocsparseL23csrsm_solve_copy_y_to_BILj1024E21rocsparse_complex_numIdEEEvlPT0_lPKS3_.num_agpr, 0
	.set _ZN9rocsparseL23csrsm_solve_copy_y_to_BILj1024E21rocsparse_complex_numIdEEEvlPT0_lPKS3_.numbered_sgpr, 12
	.set _ZN9rocsparseL23csrsm_solve_copy_y_to_BILj1024E21rocsparse_complex_numIdEEEvlPT0_lPKS3_.num_named_barrier, 0
	.set _ZN9rocsparseL23csrsm_solve_copy_y_to_BILj1024E21rocsparse_complex_numIdEEEvlPT0_lPKS3_.private_seg_size, 0
	.set _ZN9rocsparseL23csrsm_solve_copy_y_to_BILj1024E21rocsparse_complex_numIdEEEvlPT0_lPKS3_.uses_vcc, 0
	.set _ZN9rocsparseL23csrsm_solve_copy_y_to_BILj1024E21rocsparse_complex_numIdEEEvlPT0_lPKS3_.uses_flat_scratch, 0
	.set _ZN9rocsparseL23csrsm_solve_copy_y_to_BILj1024E21rocsparse_complex_numIdEEEvlPT0_lPKS3_.has_dyn_sized_stack, 0
	.set _ZN9rocsparseL23csrsm_solve_copy_y_to_BILj1024E21rocsparse_complex_numIdEEEvlPT0_lPKS3_.has_recursion, 0
	.set _ZN9rocsparseL23csrsm_solve_copy_y_to_BILj1024E21rocsparse_complex_numIdEEEvlPT0_lPKS3_.has_indirect_call, 0
	.section	.AMDGPU.csdata,"",@progbits
; Kernel info:
; codeLenInByte = 136
; TotalNumSgprs: 12
; NumVgprs: 6
; ScratchSize: 0
; MemoryBound: 0
; FloatMode: 240
; IeeeMode: 1
; LDSByteSize: 0 bytes/workgroup (compile time only)
; SGPRBlocks: 0
; VGPRBlocks: 0
; NumSGPRsForWavesPerEU: 12
; NumVGPRsForWavesPerEU: 6
; NamedBarCnt: 0
; Occupancy: 16
; WaveLimiterHint : 0
; COMPUTE_PGM_RSRC2:SCRATCH_EN: 0
; COMPUTE_PGM_RSRC2:USER_SGPR: 2
; COMPUTE_PGM_RSRC2:TRAP_HANDLER: 0
; COMPUTE_PGM_RSRC2:TGID_X_EN: 1
; COMPUTE_PGM_RSRC2:TGID_Y_EN: 0
; COMPUTE_PGM_RSRC2:TGID_Z_EN: 0
; COMPUTE_PGM_RSRC2:TIDIG_COMP_CNT: 0
	.section	.text._ZN9rocsparseL5csrsmILj64ELj64ELb1Eii21rocsparse_complex_numIdEEEv20rocsparse_operation_T3_S4_NS_24const_host_device_scalarIT4_EEPKT2_PKS4_PKS6_PS6_lPiSC_PS4_21rocsparse_index_base_20rocsparse_fill_mode_20rocsparse_diag_type_b,"axG",@progbits,_ZN9rocsparseL5csrsmILj64ELj64ELb1Eii21rocsparse_complex_numIdEEEv20rocsparse_operation_T3_S4_NS_24const_host_device_scalarIT4_EEPKT2_PKS4_PKS6_PS6_lPiSC_PS4_21rocsparse_index_base_20rocsparse_fill_mode_20rocsparse_diag_type_b,comdat
	.globl	_ZN9rocsparseL5csrsmILj64ELj64ELb1Eii21rocsparse_complex_numIdEEEv20rocsparse_operation_T3_S4_NS_24const_host_device_scalarIT4_EEPKT2_PKS4_PKS6_PS6_lPiSC_PS4_21rocsparse_index_base_20rocsparse_fill_mode_20rocsparse_diag_type_b ; -- Begin function _ZN9rocsparseL5csrsmILj64ELj64ELb1Eii21rocsparse_complex_numIdEEEv20rocsparse_operation_T3_S4_NS_24const_host_device_scalarIT4_EEPKT2_PKS4_PKS6_PS6_lPiSC_PS4_21rocsparse_index_base_20rocsparse_fill_mode_20rocsparse_diag_type_b
	.p2align	8
	.type	_ZN9rocsparseL5csrsmILj64ELj64ELb1Eii21rocsparse_complex_numIdEEEv20rocsparse_operation_T3_S4_NS_24const_host_device_scalarIT4_EEPKT2_PKS4_PKS6_PS6_lPiSC_PS4_21rocsparse_index_base_20rocsparse_fill_mode_20rocsparse_diag_type_b,@function
_ZN9rocsparseL5csrsmILj64ELj64ELb1Eii21rocsparse_complex_numIdEEEv20rocsparse_operation_T3_S4_NS_24const_host_device_scalarIT4_EEPKT2_PKS4_PKS6_PS6_lPiSC_PS4_21rocsparse_index_base_20rocsparse_fill_mode_20rocsparse_diag_type_b: ; @_ZN9rocsparseL5csrsmILj64ELj64ELb1Eii21rocsparse_complex_numIdEEEv20rocsparse_operation_T3_S4_NS_24const_host_device_scalarIT4_EEPKT2_PKS4_PKS6_PS6_lPiSC_PS4_21rocsparse_index_base_20rocsparse_fill_mode_20rocsparse_diag_type_b
; %bb.0:
	s_clause 0x1
	s_load_b128 s[4:7], s[0:1], 0x60
	s_load_b128 s[8:11], s[0:1], 0x10
	v_mbcnt_lo_u32_b32 v1, -1, 0
	s_clause 0x1
	s_load_b64 s[2:3], s[0:1], 0x20
	s_load_b64 s[16:17], s[0:1], 0x50
	s_delay_alu instid0(VALU_DEP_1) | instskip(NEXT) | instid1(VALU_DEP_1)
	v_dual_mov_b32 v2, 0 :: v_dual_lshlrev_b32 v3, 20, v1
	v_add_nc_u64_e32 v[2:3], src_flat_scratch_base_lo, v[2:3]
	s_wait_kmcnt 0x0
	s_bitcmp1_b32 s7, 0
	v_mov_b64_e32 v[4:5], s[8:9]
	s_cselect_b32 vcc_lo, -1, 0
	v_mov_b64_e32 v[8:9], s[10:11]
	s_delay_alu instid0(VALU_DEP_3)
	v_cndmask_b32_e32 v3, s9, v3, vcc_lo
	v_cndmask_b32_e32 v2, s8, v2, vcc_lo
	s_and_b32 vcc_lo, exec_lo, vcc_lo
	scratch_store_b64 off, v[4:5], off
	flat_load_b64 v[6:7], v[2:3]
	s_cbranch_vccnz .LBB34_2
; %bb.1:
	v_mov_b32_e32 v1, 0
	flat_load_b64 v[8:9], v1, s[8:9] offset:8
.LBB34_2:
	s_load_b96 s[12:14], s[0:1], 0x0
	s_bfe_u32 s9, ttmp6, 0x4000c
	s_and_b32 s8, ttmp6, 15
	s_add_co_i32 s9, s9, 1
	s_getreg_b32 s11, hwreg(HW_REG_IB_STS2, 6, 4)
	s_mul_i32 s9, ttmp9, s9
	s_delay_alu instid0(SALU_CYCLE_1) | instskip(SKIP_3) | instid1(SALU_CYCLE_2)
	s_add_co_i32 s8, s8, s9
	s_wait_kmcnt 0x0
	s_cvt_f32_u32 s7, s13
	s_sub_co_i32 s10, 0, s13
	v_rcp_iflag_f32_e32 v1, s7
	v_nop
	s_delay_alu instid0(TRANS32_DEP_1) | instskip(SKIP_1) | instid1(SALU_CYCLE_3)
	v_readfirstlane_b32 s7, v1
	s_mul_f32 s7, s7, 0x4f7ffffe
	s_cvt_u32_f32 s7, s7
	s_delay_alu instid0(SALU_CYCLE_3) | instskip(NEXT) | instid1(SALU_CYCLE_1)
	s_mul_i32 s10, s10, s7
	s_mul_hi_u32 s10, s7, s10
	s_delay_alu instid0(SALU_CYCLE_1) | instskip(SKIP_2) | instid1(SALU_CYCLE_1)
	s_add_co_i32 s7, s7, s10
	s_cmp_eq_u32 s11, 0
	s_cselect_b32 s8, ttmp9, s8
	s_mul_hi_u32 s7, s8, s7
	s_delay_alu instid0(SALU_CYCLE_1) | instskip(SKIP_2) | instid1(SALU_CYCLE_1)
	s_mul_i32 s9, s7, s13
	s_add_co_i32 s10, s7, 1
	s_sub_co_i32 s9, s8, s9
	s_sub_co_i32 s11, s9, s13
	s_cmp_ge_u32 s9, s13
	s_cselect_b32 s7, s10, s7
	s_cselect_b32 s9, s11, s9
	s_add_co_i32 s10, s7, 1
	s_cmp_ge_u32 s9, s13
	s_cselect_b32 s15, s10, s7
	s_delay_alu instid0(SALU_CYCLE_1) | instskip(SKIP_2) | instid1(SALU_CYCLE_1)
	s_mul_i32 s7, s15, s13
	v_lshl_or_b32 v10, s15, 6, v0
	s_sub_co_i32 s8, s8, s7
	s_ashr_i32 s9, s8, 31
	s_delay_alu instid0(VALU_DEP_1) | instskip(SKIP_1) | instid1(SALU_CYCLE_1)
	v_ashrrev_i32_e32 v11, 31, v10
	s_lshl_b64 s[8:9], s[8:9], 2
	s_add_nc_u64 s[18:19], s[16:17], s[8:9]
	s_load_b32 s16, s[18:19], 0x0
	s_load_b128 s[8:11], s[0:1], 0x38
	s_wait_kmcnt 0x0
	s_ashr_i32 s17, s16, 31
	s_delay_alu instid0(SALU_CYCLE_1)
	s_lshl_b64 s[18:19], s[16:17], 2
	s_cmp_lg_u32 s12, 0x71
	s_add_nc_u64 s[2:3], s[2:3], s[18:19]
	s_mul_u64 s[18:19], s[10:11], s[16:17]
	s_load_b64 s[22:23], s[2:3], 0x0
	v_add_nc_u64_e32 v[12:13], s[18:19], v[10:11]
	s_wait_xcnt 0x0
	v_cmp_gt_i32_e64 s2, s14, v10
	s_cbranch_scc0 .LBB34_49
; %bb.3:
	v_mov_b64_e32 v[4:5], 0
	v_mov_b64_e32 v[2:3], 0
	s_and_saveexec_b32 s3, s2
	s_cbranch_execz .LBB34_5
; %bb.4:
	v_lshl_add_u64 v[2:3], v[12:13], 4, s[8:9]
	global_load_b128 v[14:17], v[2:3], off
	s_wait_loadcnt_dscnt 0x0
	v_mul_f64_e64 v[2:3], v[16:17], -v[8:9]
	v_mul_f64_e32 v[4:5], v[6:7], v[16:17]
	s_delay_alu instid0(VALU_DEP_2) | instskip(NEXT) | instid1(VALU_DEP_2)
	v_fmac_f64_e32 v[2:3], v[6:7], v[14:15]
	v_fmac_f64_e32 v[4:5], v[8:9], v[14:15]
.LBB34_5:
	s_or_b32 exec_lo, exec_lo, s3
	s_load_b64 s[20:21], s[0:1], 0x48
	s_cbranch_execz .LBB34_50
; %bb.6:
	v_lshl_add_u64 v[10:11], v[10:11], 4, s[8:9]
	v_cmp_eq_u32_e64 s3, 0, v0
	s_wait_kmcnt 0x0
	s_cmp_ge_i32 s22, s23
	s_cbranch_scc1 .LBB34_53
.LBB34_7:
	s_clause 0x1
	s_load_b64 s[8:9], s[0:1], 0x58
	s_load_b128 s[12:15], s[0:1], 0x28
	v_mov_b64_e32 v[14:15], 1.0
	v_mov_b64_e32 v[12:13], 0
	s_sub_co_i32 s17, s22, s4
	s_sub_co_i32 s24, s23, s4
	v_lshl_or_b32 v1, v0, 2, 0x400
	v_dual_mov_b32 v25, 0 :: v_dual_lshlrev_b32 v24, 4, v0
	s_cmp_eq_u32 s6, 0
	s_mov_b32 s27, s17
	s_cselect_b32 s25, -1, 0
	s_add_co_i32 s26, s16, s4
	s_wait_xcnt 0x0
	s_sub_co_i32 s0, s27, s17
	s_delay_alu instid0(SALU_CYCLE_1) | instskip(NEXT) | instid1(SALU_CYCLE_1)
	s_and_b32 s1, s0, 63
	s_cmp_lg_u32 s1, 0
	s_cbranch_scc1 .LBB34_11
.LBB34_8:
	s_sub_co_i32 s0, s24, s27
	s_wait_loadcnt_dscnt 0x0
	v_mov_b64_e32 v[6:7], -1.0
	v_mov_b64_e32 v[8:9], 0
	v_cmp_gt_u32_e32 vcc_lo, s0, v0
	v_mov_b32_e32 v16, -1
	s_and_saveexec_b32 s0, vcc_lo
	s_cbranch_execz .LBB34_10
; %bb.9:
	v_add_nc_u32_e32 v16, s27, v0
	s_wait_kmcnt 0x0
	s_clause 0x1
	global_load_b32 v17, v16, s[12:13] scale_offset
	global_load_b128 v[6:9], v16, s[14:15] scale_offset
	s_wait_loadcnt 0x1
	s_wait_xcnt 0x0
	v_subrev_nc_u32_e32 v16, s4, v17
.LBB34_10:
	s_or_b32 exec_lo, exec_lo, s0
	ds_store_b32 v1, v16
	s_wait_loadcnt 0x0
	ds_store_b128 v24, v[6:9]
.LBB34_11:                              ; =>This Loop Header: Depth=1
                                        ;     Child Loop BB34_47 Depth 2
                                        ;       Child Loop BB34_48 Depth 3
	s_lshl_b32 s0, s1, 4
	s_wait_storecnt 0x0
	s_wait_loadcnt_dscnt 0x0
	v_mov_b32_e32 v6, s0
	s_barrier_signal -1
	s_barrier_wait -1
	s_lshl_b32 s1, s1, 2
	ds_load_b128 v[16:19], v6
	v_mov_b32_e32 v6, s1
	ds_load_b32 v6, v6 offset:1024
	s_wait_dscnt 0x1
	v_cmp_eq_f64_e32 vcc_lo, 0, v[16:17]
	v_cmp_eq_f64_e64 s0, 0, v[18:19]
	s_wait_dscnt 0x0
	v_readfirstlane_b32 s22, v6
	s_and_b32 s0, vcc_lo, s0
	s_cmp_eq_u32 s22, s16
	s_cselect_b32 s28, -1, 0
	s_cmp_lg_u32 s22, s16
	s_cselect_b32 s1, -1, 0
	s_and_b32 s0, s0, s28
	s_delay_alu instid0(SALU_CYCLE_1) | instskip(NEXT) | instid1(SALU_CYCLE_1)
	s_and_b32 s0, s25, s0
	v_cndmask_b32_e64 v7, v19, 0, s0
	v_cndmask_b32_e64 v6, v18, 0, s0
	;; [unrolled: 1-line block ×4, first 2 shown]
	s_and_b32 s23, s3, s0
	s_delay_alu instid0(SALU_CYCLE_1)
	s_and_saveexec_b32 s0, s23
	s_cbranch_execz .LBB34_15
; %bb.12:                               ;   in Loop: Header=BB34_11 Depth=1
	v_mbcnt_lo_u32_b32 v6, exec_lo, 0
	s_mov_b32 s23, exec_lo
	s_delay_alu instid0(VALU_DEP_1)
	v_cmpx_eq_u32_e32 0, v6
	s_cbranch_execz .LBB34_14
; %bb.13:                               ;   in Loop: Header=BB34_11 Depth=1
	v_mov_b32_e32 v6, s26
	s_wait_kmcnt 0x0
	global_atomic_min_i32 v25, v6, s[8:9] scope:SCOPE_DEV
.LBB34_14:                              ;   in Loop: Header=BB34_11 Depth=1
	s_wait_xcnt 0x0
	s_or_b32 exec_lo, exec_lo, s23
	v_mov_b64_e32 v[8:9], 1.0
	v_mov_b64_e32 v[6:7], 0
.LBB34_15:                              ;   in Loop: Header=BB34_11 Depth=1
	s_or_b32 exec_lo, exec_lo, s0
	s_mov_b32 s29, -1
	s_mov_b32 s0, 0
	s_cmp_lt_i32 s5, 1
	s_mov_b32 s23, 0
                                        ; implicit-def: $vgpr16_vgpr17
                                        ; implicit-def: $vgpr18_vgpr19
	s_cbranch_scc0 .LBB34_22
; %bb.16:                               ;   in Loop: Header=BB34_11 Depth=1
	s_and_b32 vcc_lo, exec_lo, s29
	s_mov_b32 s28, 4
	s_cbranch_vccnz .LBB34_29
.LBB34_17:                              ;   in Loop: Header=BB34_11 Depth=1
	v_mov_b64_e32 v[22:23], v[4:5]
	v_mov_b64_e32 v[20:21], v[2:3]
	s_and_b32 vcc_lo, exec_lo, s23
	s_cbranch_vccnz .LBB34_34
.LBB34_18:                              ;   in Loop: Header=BB34_11 Depth=1
	s_and_b32 vcc_lo, exec_lo, s0
	s_cbranch_vccnz .LBB34_39
.LBB34_19:                              ;   in Loop: Header=BB34_11 Depth=1
	s_mov_b32 s0, -1
	s_cmp_gt_i32 s28, 3
	s_mov_b32 s1, -1
	s_cbranch_scc0 .LBB34_42
.LBB34_20:                              ;   in Loop: Header=BB34_11 Depth=1
	s_and_not1_b32 vcc_lo, exec_lo, s1
	s_cbranch_vccz .LBB34_43
.LBB34_21:                              ;   in Loop: Header=BB34_11 Depth=1
	s_delay_alu instid0(VALU_DEP_1) | instskip(NEXT) | instid1(VALU_DEP_2)
	v_mov_b64_e32 v[4:5], v[22:23]
	v_mov_b64_e32 v[2:3], v[20:21]
	s_and_not1_b32 vcc_lo, exec_lo, s0
	s_cbranch_vccnz .LBB34_44
	s_branch .LBB34_54
.LBB34_22:                              ;   in Loop: Header=BB34_11 Depth=1
	s_cmp_eq_u32 s5, 1
	s_mov_b32 s23, -1
                                        ; implicit-def: $vgpr16_vgpr17
                                        ; implicit-def: $vgpr18_vgpr19
	s_cbranch_scc0 .LBB34_28
; %bb.23:                               ;   in Loop: Header=BB34_11 Depth=1
	v_mov_b64_e32 v[16:17], v[12:13]
	v_mov_b64_e32 v[18:19], v[14:15]
	s_cmp_ge_i32 s22, s16
	s_mov_b32 s23, 0
	s_cbranch_scc0 .LBB34_28
; %bb.24:                               ;   in Loop: Header=BB34_11 Depth=1
	s_and_b32 vcc_lo, exec_lo, s28
	s_mov_b32 s23, -1
                                        ; implicit-def: $vgpr16_vgpr17
                                        ; implicit-def: $vgpr18_vgpr19
	s_cbranch_vccz .LBB34_28
; %bb.25:                               ;   in Loop: Header=BB34_11 Depth=1
	v_mov_b64_e32 v[16:17], v[12:13]
	v_mov_b64_e32 v[18:19], v[14:15]
	s_and_not1_b32 vcc_lo, exec_lo, s25
	s_cbranch_vccnz .LBB34_27
; %bb.26:                               ;   in Loop: Header=BB34_11 Depth=1
	v_mul_f64_e32 v[16:17], v[6:7], v[6:7]
	s_delay_alu instid0(VALU_DEP_1) | instskip(NEXT) | instid1(VALU_DEP_1)
	v_fmac_f64_e32 v[16:17], v[8:9], v[8:9]
	v_div_scale_f64 v[18:19], null, v[16:17], v[16:17], 1.0
	v_div_scale_f64 v[26:27], vcc_lo, 1.0, v[16:17], 1.0
	s_delay_alu instid0(VALU_DEP_2) | instskip(SKIP_1) | instid1(TRANS32_DEP_1)
	v_rcp_f64_e32 v[20:21], v[18:19]
	v_nop
	v_fma_f64 v[22:23], -v[18:19], v[20:21], 1.0
	s_delay_alu instid0(VALU_DEP_1) | instskip(NEXT) | instid1(VALU_DEP_1)
	v_fmac_f64_e32 v[20:21], v[20:21], v[22:23]
	v_fma_f64 v[22:23], -v[18:19], v[20:21], 1.0
	s_delay_alu instid0(VALU_DEP_1) | instskip(NEXT) | instid1(VALU_DEP_1)
	v_fmac_f64_e32 v[20:21], v[20:21], v[22:23]
	v_mul_f64_e32 v[22:23], v[26:27], v[20:21]
	s_delay_alu instid0(VALU_DEP_1) | instskip(NEXT) | instid1(VALU_DEP_1)
	v_fma_f64 v[18:19], -v[18:19], v[22:23], v[26:27]
	v_div_fmas_f64 v[18:19], v[18:19], v[20:21], v[22:23]
	v_fma_f64 v[20:21], 0, v[6:7], v[8:9]
	v_fma_f64 v[22:23], v[8:9], 0, -v[6:7]
	s_delay_alu instid0(VALU_DEP_3) | instskip(NEXT) | instid1(VALU_DEP_1)
	v_div_fixup_f64 v[16:17], v[18:19], v[16:17], 1.0
	v_mul_f64_e32 v[18:19], v[20:21], v[16:17]
	s_delay_alu instid0(VALU_DEP_3)
	v_mul_f64_e32 v[16:17], v[22:23], v[16:17]
.LBB34_27:                              ;   in Loop: Header=BB34_11 Depth=1
	s_mov_b32 s23, 0
.LBB34_28:                              ;   in Loop: Header=BB34_11 Depth=1
	s_mov_b32 s28, 4
	s_branch .LBB34_17
.LBB34_29:                              ;   in Loop: Header=BB34_11 Depth=1
	s_cmp_eq_u32 s5, 0
	s_cbranch_scc1 .LBB34_31
; %bb.30:                               ;   in Loop: Header=BB34_11 Depth=1
	s_mov_b32 s23, -1
	s_branch .LBB34_33
.LBB34_31:                              ;   in Loop: Header=BB34_11 Depth=1
	s_cmp_le_i32 s22, s16
	s_mov_b32 s23, 0
	s_cbranch_scc0 .LBB34_33
; %bb.32:                               ;   in Loop: Header=BB34_11 Depth=1
	s_mov_b32 s0, -1
	s_mov_b32 s23, s1
.LBB34_33:                              ;   in Loop: Header=BB34_11 Depth=1
	v_mov_b64_e32 v[16:17], v[12:13]
	v_mov_b64_e32 v[18:19], v[14:15]
	s_mov_b32 s28, 2
	v_mov_b64_e32 v[22:23], v[4:5]
	v_mov_b64_e32 v[20:21], v[2:3]
	s_and_b32 vcc_lo, exec_lo, s23
	s_cbranch_vccz .LBB34_18
.LBB34_34:                              ;   in Loop: Header=BB34_11 Depth=1
	s_and_saveexec_b32 s23, s3
	s_cbranch_execz .LBB34_36
; %bb.35:                               ;   in Loop: Header=BB34_11 Depth=1
	s_add_co_i32 s0, s22, s7
	s_delay_alu instid0(SALU_CYCLE_1)
	v_mov_b32_e32 v16, s0
	global_load_b32 v16, v16, s[20:21] scale_offset scope:SCOPE_DEV
	s_wait_loadcnt 0x0
	v_cmp_ne_u32_e32 vcc_lo, 0, v16
	s_cbranch_vccz .LBB34_45
.LBB34_36:                              ;   in Loop: Header=BB34_11 Depth=1
	s_wait_xcnt 0x0
	s_or_b32 exec_lo, exec_lo, s23
	v_mov_b64_e32 v[22:23], 0
	v_mov_b64_e32 v[20:21], 0
	s_wait_storecnt 0x0
	s_barrier_signal -1
	s_barrier_wait -1
	global_inv scope:SCOPE_DEV
	s_and_saveexec_b32 s0, s2
	s_cbranch_execz .LBB34_38
; %bb.37:                               ;   in Loop: Header=BB34_11 Depth=1
	s_ashr_i32 s23, s22, 31
	s_delay_alu instid0(SALU_CYCLE_1) | instskip(NEXT) | instid1(SALU_CYCLE_1)
	s_mul_u64 s[22:23], s[10:11], s[22:23]
	v_lshl_add_u64 v[16:17], s[22:23], 4, v[10:11]
	global_load_b128 v[16:19], v[16:17], off
	s_wait_loadcnt 0x0
	v_fma_f64 v[20:21], -v[8:9], v[16:17], v[2:3]
	v_fma_f64 v[16:17], -v[6:7], v[16:17], v[4:5]
	s_delay_alu instid0(VALU_DEP_2) | instskip(NEXT) | instid1(VALU_DEP_2)
	v_fmac_f64_e32 v[20:21], v[6:7], v[18:19]
	v_fma_f64 v[22:23], -v[8:9], v[18:19], v[16:17]
.LBB34_38:                              ;   in Loop: Header=BB34_11 Depth=1
	s_or_b32 exec_lo, exec_lo, s0
	v_mov_b64_e32 v[16:17], v[12:13]
	v_mov_b64_e32 v[18:19], v[14:15]
	s_mov_b32 s28, 0
	s_branch .LBB34_19
.LBB34_39:                              ;   in Loop: Header=BB34_11 Depth=1
	s_and_not1_b32 vcc_lo, exec_lo, s25
	s_cbranch_vccnz .LBB34_41
; %bb.40:                               ;   in Loop: Header=BB34_11 Depth=1
	v_mul_f64_e32 v[12:13], v[6:7], v[6:7]
	s_delay_alu instid0(VALU_DEP_1) | instskip(NEXT) | instid1(VALU_DEP_1)
	v_fmac_f64_e32 v[12:13], v[8:9], v[8:9]
	v_div_scale_f64 v[14:15], null, v[12:13], v[12:13], 1.0
	v_div_scale_f64 v[20:21], vcc_lo, 1.0, v[12:13], 1.0
	s_delay_alu instid0(VALU_DEP_2) | instskip(SKIP_1) | instid1(TRANS32_DEP_1)
	v_rcp_f64_e32 v[16:17], v[14:15]
	v_nop
	v_fma_f64 v[18:19], -v[14:15], v[16:17], 1.0
	s_delay_alu instid0(VALU_DEP_1) | instskip(NEXT) | instid1(VALU_DEP_1)
	v_fmac_f64_e32 v[16:17], v[16:17], v[18:19]
	v_fma_f64 v[18:19], -v[14:15], v[16:17], 1.0
	s_delay_alu instid0(VALU_DEP_1) | instskip(NEXT) | instid1(VALU_DEP_1)
	v_fmac_f64_e32 v[16:17], v[16:17], v[18:19]
	v_mul_f64_e32 v[18:19], v[20:21], v[16:17]
	s_delay_alu instid0(VALU_DEP_1) | instskip(NEXT) | instid1(VALU_DEP_1)
	v_fma_f64 v[14:15], -v[14:15], v[18:19], v[20:21]
	v_div_fmas_f64 v[14:15], v[14:15], v[16:17], v[18:19]
	v_fma_f64 v[16:17], 0, v[6:7], v[8:9]
	v_fma_f64 v[6:7], v[8:9], 0, -v[6:7]
	s_delay_alu instid0(VALU_DEP_3) | instskip(NEXT) | instid1(VALU_DEP_1)
	v_div_fixup_f64 v[12:13], v[14:15], v[12:13], 1.0
	v_mul_f64_e32 v[14:15], v[16:17], v[12:13]
	s_delay_alu instid0(VALU_DEP_3)
	v_mul_f64_e32 v[12:13], v[6:7], v[12:13]
.LBB34_41:                              ;   in Loop: Header=BB34_11 Depth=1
	s_delay_alu instid0(VALU_DEP_2) | instskip(NEXT) | instid1(VALU_DEP_2)
	v_mov_b64_e32 v[18:19], v[14:15]
	v_mov_b64_e32 v[16:17], v[12:13]
	;; [unrolled: 1-line block ×4, first 2 shown]
	s_mov_b32 s28, 2
	s_mov_b32 s0, -1
	s_cmp_gt_i32 s28, 3
	s_mov_b32 s1, -1
	s_cbranch_scc1 .LBB34_20
.LBB34_42:                              ;   in Loop: Header=BB34_11 Depth=1
	s_cmp_eq_u32 s28, 0
	s_cselect_b32 s1, -1, 0
	s_delay_alu instid0(SALU_CYCLE_1)
	s_and_not1_b32 vcc_lo, exec_lo, s1
	s_cbranch_vccnz .LBB34_21
.LBB34_43:                              ;   in Loop: Header=BB34_11 Depth=1
	s_add_co_i32 s27, s27, 1
	s_delay_alu instid0(SALU_CYCLE_1) | instskip(SKIP_1) | instid1(VALU_DEP_1)
	s_cmp_ge_i32 s27, s24
	s_cselect_b32 s0, -1, 0
	v_mov_b64_e32 v[4:5], v[22:23]
	s_delay_alu instid0(VALU_DEP_2)
	v_mov_b64_e32 v[2:3], v[20:21]
	s_and_not1_b32 vcc_lo, exec_lo, s0
	s_cbranch_vccz .LBB34_54
.LBB34_44:                              ;   in Loop: Header=BB34_11 Depth=1
	s_delay_alu instid0(VALU_DEP_4) | instskip(NEXT) | instid1(VALU_DEP_4)
	v_mov_b64_e32 v[12:13], v[16:17]
	v_mov_b64_e32 v[14:15], v[18:19]
	s_sub_co_i32 s0, s27, s17
	s_delay_alu instid0(SALU_CYCLE_1) | instskip(NEXT) | instid1(SALU_CYCLE_1)
	s_and_b32 s1, s0, 63
	s_cmp_lg_u32 s1, 0
	s_cbranch_scc1 .LBB34_11
	s_branch .LBB34_8
.LBB34_45:                              ;   in Loop: Header=BB34_11 Depth=1
	s_ashr_i32 s1, s0, 31
	s_mov_b32 s28, 0
	s_lshl_b64 s[0:1], s[0:1], 2
	s_delay_alu instid0(SALU_CYCLE_1)
	s_add_nc_u64 s[0:1], s[20:21], s[0:1]
	s_branch .LBB34_47
.LBB34_46:                              ;   in Loop: Header=BB34_47 Depth=2
	global_load_b32 v16, v25, s[0:1] scope:SCOPE_DEV
	s_cmp_lt_u32 s28, 0xf43
	s_cselect_b32 s29, -1, 0
	s_delay_alu instid0(SALU_CYCLE_1)
	s_cmp_lg_u32 s29, 0
	s_add_co_ci_u32 s28, s28, 0
	s_wait_loadcnt 0x0
	v_cmp_ne_u32_e32 vcc_lo, 0, v16
	s_cbranch_vccnz .LBB34_36
.LBB34_47:                              ;   Parent Loop BB34_11 Depth=1
                                        ; =>  This Loop Header: Depth=2
                                        ;       Child Loop BB34_48 Depth 3
	s_cmp_eq_u32 s28, 0
	s_mov_b32 s29, s28
	s_cbranch_scc1 .LBB34_46
.LBB34_48:                              ;   Parent Loop BB34_11 Depth=1
                                        ;     Parent Loop BB34_47 Depth=2
                                        ; =>    This Inner Loop Header: Depth=3
	s_add_co_i32 s29, s29, -1
	s_sleep 1
	s_cmp_eq_u32 s29, 0
	s_cbranch_scc0 .LBB34_48
	s_branch .LBB34_46
.LBB34_49:
                                        ; implicit-def: $vgpr4_vgpr5
	s_load_b64 s[20:21], s[0:1], 0x48
.LBB34_50:
	v_mov_b64_e32 v[4:5], 0
	v_mov_b64_e32 v[2:3], 0
	s_and_saveexec_b32 s3, s2
	s_cbranch_execz .LBB34_52
; %bb.51:
	v_lshl_add_u64 v[2:3], v[12:13], 4, s[8:9]
	global_load_b128 v[12:15], v[2:3], off
	s_wait_loadcnt_dscnt 0x0
	v_mul_f64_e32 v[2:3], v[8:9], v[14:15]
	v_mul_f64_e64 v[4:5], v[6:7], -v[14:15]
	s_delay_alu instid0(VALU_DEP_2) | instskip(NEXT) | instid1(VALU_DEP_2)
	v_fmac_f64_e32 v[2:3], v[6:7], v[12:13]
	v_fmac_f64_e32 v[4:5], v[8:9], v[12:13]
.LBB34_52:
	s_or_b32 exec_lo, exec_lo, s3
	v_lshl_add_u64 v[10:11], v[10:11], 4, s[8:9]
	v_cmp_eq_u32_e64 s3, 0, v0
	s_wait_kmcnt 0x0
	s_cmp_ge_i32 s22, s23
	s_cbranch_scc0 .LBB34_7
.LBB34_53:
	v_mov_b64_e32 v[18:19], 1.0
	v_mov_b64_e32 v[16:17], 0
.LBB34_54:
	s_cmp_lg_u32 s6, 0
	s_cbranch_scc0 .LBB34_60
; %bb.55:
	s_and_saveexec_b32 s0, s2
	s_cbranch_execz .LBB34_57
.LBB34_56:
	s_wait_loadcnt_dscnt 0x0
	v_lshl_add_u64 v[6:7], s[18:19], 4, v[10:11]
	global_store_b128 v[6:7], v[2:5], off
.LBB34_57:
	s_wait_xcnt 0x0
	s_or_b32 exec_lo, exec_lo, s0
	global_wb scope:SCOPE_DEV
	s_wait_storecnt 0x0
	s_wait_loadcnt_dscnt 0x0
	global_inv scope:SCOPE_DEV
	s_wait_loadcnt 0x0
	s_barrier_signal -1
	s_barrier_wait -1
	s_mov_b32 s0, exec_lo
	v_cmpx_eq_u32_e32 0, v0
	s_cbranch_execz .LBB34_59
; %bb.58:
	s_add_co_i32 s0, s16, s7
	s_delay_alu instid0(SALU_CYCLE_1)
	v_dual_mov_b32 v0, 1 :: v_dual_mov_b32 v1, s0
	global_store_b32 v1, v0, s[20:21] scale_offset scope:SCOPE_DEV
.LBB34_59:
	s_endpgm
.LBB34_60:
	s_wait_loadcnt_dscnt 0x0
	s_delay_alu instid0(VALU_DEP_1) | instskip(SKIP_1) | instid1(VALU_DEP_2)
	v_mul_f64_e64 v[6:7], v[16:17], -v[4:5]
	v_mul_f64_e32 v[8:9], v[16:17], v[2:3]
	v_fmac_f64_e32 v[6:7], v[2:3], v[18:19]
	s_delay_alu instid0(VALU_DEP_2) | instskip(NEXT) | instid1(VALU_DEP_2)
	v_fmac_f64_e32 v[8:9], v[4:5], v[18:19]
	v_mov_b64_e32 v[2:3], v[6:7]
	s_delay_alu instid0(VALU_DEP_2)
	v_mov_b64_e32 v[4:5], v[8:9]
	s_and_saveexec_b32 s0, s2
	s_cbranch_execnz .LBB34_56
	s_branch .LBB34_57
	.section	.rodata,"a",@progbits
	.p2align	6, 0x0
	.amdhsa_kernel _ZN9rocsparseL5csrsmILj64ELj64ELb1Eii21rocsparse_complex_numIdEEEv20rocsparse_operation_T3_S4_NS_24const_host_device_scalarIT4_EEPKT2_PKS4_PKS6_PS6_lPiSC_PS4_21rocsparse_index_base_20rocsparse_fill_mode_20rocsparse_diag_type_b
		.amdhsa_group_segment_fixed_size 1280
		.amdhsa_private_segment_fixed_size 16
		.amdhsa_kernarg_size 112
		.amdhsa_user_sgpr_count 2
		.amdhsa_user_sgpr_dispatch_ptr 0
		.amdhsa_user_sgpr_queue_ptr 0
		.amdhsa_user_sgpr_kernarg_segment_ptr 1
		.amdhsa_user_sgpr_dispatch_id 0
		.amdhsa_user_sgpr_kernarg_preload_length 0
		.amdhsa_user_sgpr_kernarg_preload_offset 0
		.amdhsa_user_sgpr_private_segment_size 0
		.amdhsa_wavefront_size32 1
		.amdhsa_uses_dynamic_stack 0
		.amdhsa_enable_private_segment 1
		.amdhsa_system_sgpr_workgroup_id_x 1
		.amdhsa_system_sgpr_workgroup_id_y 0
		.amdhsa_system_sgpr_workgroup_id_z 0
		.amdhsa_system_sgpr_workgroup_info 0
		.amdhsa_system_vgpr_workitem_id 0
		.amdhsa_next_free_vgpr 28
		.amdhsa_next_free_sgpr 30
		.amdhsa_named_barrier_count 0
		.amdhsa_reserve_vcc 1
		.amdhsa_float_round_mode_32 0
		.amdhsa_float_round_mode_16_64 0
		.amdhsa_float_denorm_mode_32 3
		.amdhsa_float_denorm_mode_16_64 3
		.amdhsa_fp16_overflow 0
		.amdhsa_memory_ordered 1
		.amdhsa_forward_progress 1
		.amdhsa_inst_pref_size 18
		.amdhsa_round_robin_scheduling 0
		.amdhsa_exception_fp_ieee_invalid_op 0
		.amdhsa_exception_fp_denorm_src 0
		.amdhsa_exception_fp_ieee_div_zero 0
		.amdhsa_exception_fp_ieee_overflow 0
		.amdhsa_exception_fp_ieee_underflow 0
		.amdhsa_exception_fp_ieee_inexact 0
		.amdhsa_exception_int_div_zero 0
	.end_amdhsa_kernel
	.section	.text._ZN9rocsparseL5csrsmILj64ELj64ELb1Eii21rocsparse_complex_numIdEEEv20rocsparse_operation_T3_S4_NS_24const_host_device_scalarIT4_EEPKT2_PKS4_PKS6_PS6_lPiSC_PS4_21rocsparse_index_base_20rocsparse_fill_mode_20rocsparse_diag_type_b,"axG",@progbits,_ZN9rocsparseL5csrsmILj64ELj64ELb1Eii21rocsparse_complex_numIdEEEv20rocsparse_operation_T3_S4_NS_24const_host_device_scalarIT4_EEPKT2_PKS4_PKS6_PS6_lPiSC_PS4_21rocsparse_index_base_20rocsparse_fill_mode_20rocsparse_diag_type_b,comdat
.Lfunc_end34:
	.size	_ZN9rocsparseL5csrsmILj64ELj64ELb1Eii21rocsparse_complex_numIdEEEv20rocsparse_operation_T3_S4_NS_24const_host_device_scalarIT4_EEPKT2_PKS4_PKS6_PS6_lPiSC_PS4_21rocsparse_index_base_20rocsparse_fill_mode_20rocsparse_diag_type_b, .Lfunc_end34-_ZN9rocsparseL5csrsmILj64ELj64ELb1Eii21rocsparse_complex_numIdEEEv20rocsparse_operation_T3_S4_NS_24const_host_device_scalarIT4_EEPKT2_PKS4_PKS6_PS6_lPiSC_PS4_21rocsparse_index_base_20rocsparse_fill_mode_20rocsparse_diag_type_b
                                        ; -- End function
	.set _ZN9rocsparseL5csrsmILj64ELj64ELb1Eii21rocsparse_complex_numIdEEEv20rocsparse_operation_T3_S4_NS_24const_host_device_scalarIT4_EEPKT2_PKS4_PKS6_PS6_lPiSC_PS4_21rocsparse_index_base_20rocsparse_fill_mode_20rocsparse_diag_type_b.num_vgpr, 28
	.set _ZN9rocsparseL5csrsmILj64ELj64ELb1Eii21rocsparse_complex_numIdEEEv20rocsparse_operation_T3_S4_NS_24const_host_device_scalarIT4_EEPKT2_PKS4_PKS6_PS6_lPiSC_PS4_21rocsparse_index_base_20rocsparse_fill_mode_20rocsparse_diag_type_b.num_agpr, 0
	.set _ZN9rocsparseL5csrsmILj64ELj64ELb1Eii21rocsparse_complex_numIdEEEv20rocsparse_operation_T3_S4_NS_24const_host_device_scalarIT4_EEPKT2_PKS4_PKS6_PS6_lPiSC_PS4_21rocsparse_index_base_20rocsparse_fill_mode_20rocsparse_diag_type_b.numbered_sgpr, 30
	.set _ZN9rocsparseL5csrsmILj64ELj64ELb1Eii21rocsparse_complex_numIdEEEv20rocsparse_operation_T3_S4_NS_24const_host_device_scalarIT4_EEPKT2_PKS4_PKS6_PS6_lPiSC_PS4_21rocsparse_index_base_20rocsparse_fill_mode_20rocsparse_diag_type_b.num_named_barrier, 0
	.set _ZN9rocsparseL5csrsmILj64ELj64ELb1Eii21rocsparse_complex_numIdEEEv20rocsparse_operation_T3_S4_NS_24const_host_device_scalarIT4_EEPKT2_PKS4_PKS6_PS6_lPiSC_PS4_21rocsparse_index_base_20rocsparse_fill_mode_20rocsparse_diag_type_b.private_seg_size, 16
	.set _ZN9rocsparseL5csrsmILj64ELj64ELb1Eii21rocsparse_complex_numIdEEEv20rocsparse_operation_T3_S4_NS_24const_host_device_scalarIT4_EEPKT2_PKS4_PKS6_PS6_lPiSC_PS4_21rocsparse_index_base_20rocsparse_fill_mode_20rocsparse_diag_type_b.uses_vcc, 1
	.set _ZN9rocsparseL5csrsmILj64ELj64ELb1Eii21rocsparse_complex_numIdEEEv20rocsparse_operation_T3_S4_NS_24const_host_device_scalarIT4_EEPKT2_PKS4_PKS6_PS6_lPiSC_PS4_21rocsparse_index_base_20rocsparse_fill_mode_20rocsparse_diag_type_b.uses_flat_scratch, 0
	.set _ZN9rocsparseL5csrsmILj64ELj64ELb1Eii21rocsparse_complex_numIdEEEv20rocsparse_operation_T3_S4_NS_24const_host_device_scalarIT4_EEPKT2_PKS4_PKS6_PS6_lPiSC_PS4_21rocsparse_index_base_20rocsparse_fill_mode_20rocsparse_diag_type_b.has_dyn_sized_stack, 0
	.set _ZN9rocsparseL5csrsmILj64ELj64ELb1Eii21rocsparse_complex_numIdEEEv20rocsparse_operation_T3_S4_NS_24const_host_device_scalarIT4_EEPKT2_PKS4_PKS6_PS6_lPiSC_PS4_21rocsparse_index_base_20rocsparse_fill_mode_20rocsparse_diag_type_b.has_recursion, 0
	.set _ZN9rocsparseL5csrsmILj64ELj64ELb1Eii21rocsparse_complex_numIdEEEv20rocsparse_operation_T3_S4_NS_24const_host_device_scalarIT4_EEPKT2_PKS4_PKS6_PS6_lPiSC_PS4_21rocsparse_index_base_20rocsparse_fill_mode_20rocsparse_diag_type_b.has_indirect_call, 0
	.section	.AMDGPU.csdata,"",@progbits
; Kernel info:
; codeLenInByte = 2184
; TotalNumSgprs: 32
; NumVgprs: 28
; ScratchSize: 16
; MemoryBound: 0
; FloatMode: 240
; IeeeMode: 1
; LDSByteSize: 1280 bytes/workgroup (compile time only)
; SGPRBlocks: 0
; VGPRBlocks: 1
; NumSGPRsForWavesPerEU: 32
; NumVGPRsForWavesPerEU: 28
; NamedBarCnt: 0
; Occupancy: 16
; WaveLimiterHint : 1
; COMPUTE_PGM_RSRC2:SCRATCH_EN: 1
; COMPUTE_PGM_RSRC2:USER_SGPR: 2
; COMPUTE_PGM_RSRC2:TRAP_HANDLER: 0
; COMPUTE_PGM_RSRC2:TGID_X_EN: 1
; COMPUTE_PGM_RSRC2:TGID_Y_EN: 0
; COMPUTE_PGM_RSRC2:TGID_Z_EN: 0
; COMPUTE_PGM_RSRC2:TIDIG_COMP_CNT: 0
	.section	.text._ZN9rocsparseL5csrsmILj64ELj64ELb0Eii21rocsparse_complex_numIdEEEv20rocsparse_operation_T3_S4_NS_24const_host_device_scalarIT4_EEPKT2_PKS4_PKS6_PS6_lPiSC_PS4_21rocsparse_index_base_20rocsparse_fill_mode_20rocsparse_diag_type_b,"axG",@progbits,_ZN9rocsparseL5csrsmILj64ELj64ELb0Eii21rocsparse_complex_numIdEEEv20rocsparse_operation_T3_S4_NS_24const_host_device_scalarIT4_EEPKT2_PKS4_PKS6_PS6_lPiSC_PS4_21rocsparse_index_base_20rocsparse_fill_mode_20rocsparse_diag_type_b,comdat
	.globl	_ZN9rocsparseL5csrsmILj64ELj64ELb0Eii21rocsparse_complex_numIdEEEv20rocsparse_operation_T3_S4_NS_24const_host_device_scalarIT4_EEPKT2_PKS4_PKS6_PS6_lPiSC_PS4_21rocsparse_index_base_20rocsparse_fill_mode_20rocsparse_diag_type_b ; -- Begin function _ZN9rocsparseL5csrsmILj64ELj64ELb0Eii21rocsparse_complex_numIdEEEv20rocsparse_operation_T3_S4_NS_24const_host_device_scalarIT4_EEPKT2_PKS4_PKS6_PS6_lPiSC_PS4_21rocsparse_index_base_20rocsparse_fill_mode_20rocsparse_diag_type_b
	.p2align	8
	.type	_ZN9rocsparseL5csrsmILj64ELj64ELb0Eii21rocsparse_complex_numIdEEEv20rocsparse_operation_T3_S4_NS_24const_host_device_scalarIT4_EEPKT2_PKS4_PKS6_PS6_lPiSC_PS4_21rocsparse_index_base_20rocsparse_fill_mode_20rocsparse_diag_type_b,@function
_ZN9rocsparseL5csrsmILj64ELj64ELb0Eii21rocsparse_complex_numIdEEEv20rocsparse_operation_T3_S4_NS_24const_host_device_scalarIT4_EEPKT2_PKS4_PKS6_PS6_lPiSC_PS4_21rocsparse_index_base_20rocsparse_fill_mode_20rocsparse_diag_type_b: ; @_ZN9rocsparseL5csrsmILj64ELj64ELb0Eii21rocsparse_complex_numIdEEEv20rocsparse_operation_T3_S4_NS_24const_host_device_scalarIT4_EEPKT2_PKS4_PKS6_PS6_lPiSC_PS4_21rocsparse_index_base_20rocsparse_fill_mode_20rocsparse_diag_type_b
; %bb.0:
	s_clause 0x1
	s_load_b128 s[4:7], s[0:1], 0x60
	s_load_b128 s[8:11], s[0:1], 0x10
	v_mbcnt_lo_u32_b32 v1, -1, 0
	s_clause 0x1
	s_load_b64 s[2:3], s[0:1], 0x20
	s_load_b64 s[16:17], s[0:1], 0x50
	s_delay_alu instid0(VALU_DEP_1) | instskip(NEXT) | instid1(VALU_DEP_1)
	v_dual_mov_b32 v2, 0 :: v_dual_lshlrev_b32 v3, 20, v1
	v_add_nc_u64_e32 v[2:3], src_flat_scratch_base_lo, v[2:3]
	s_wait_kmcnt 0x0
	s_bitcmp1_b32 s7, 0
	v_mov_b64_e32 v[4:5], s[8:9]
	s_cselect_b32 vcc_lo, -1, 0
	v_mov_b64_e32 v[8:9], s[10:11]
	s_delay_alu instid0(VALU_DEP_3)
	v_cndmask_b32_e32 v3, s9, v3, vcc_lo
	v_cndmask_b32_e32 v2, s8, v2, vcc_lo
	s_and_b32 vcc_lo, exec_lo, vcc_lo
	scratch_store_b64 off, v[4:5], off
	flat_load_b64 v[6:7], v[2:3]
	s_cbranch_vccnz .LBB35_2
; %bb.1:
	v_mov_b32_e32 v1, 0
	flat_load_b64 v[8:9], v1, s[8:9] offset:8
.LBB35_2:
	s_load_b96 s[12:14], s[0:1], 0x0
	s_bfe_u32 s9, ttmp6, 0x4000c
	s_and_b32 s8, ttmp6, 15
	s_add_co_i32 s9, s9, 1
	s_getreg_b32 s11, hwreg(HW_REG_IB_STS2, 6, 4)
	s_mul_i32 s9, ttmp9, s9
	s_delay_alu instid0(SALU_CYCLE_1) | instskip(SKIP_3) | instid1(SALU_CYCLE_2)
	s_add_co_i32 s8, s8, s9
	s_wait_kmcnt 0x0
	s_cvt_f32_u32 s7, s13
	s_sub_co_i32 s10, 0, s13
	v_rcp_iflag_f32_e32 v1, s7
	v_nop
	s_delay_alu instid0(TRANS32_DEP_1) | instskip(SKIP_1) | instid1(SALU_CYCLE_3)
	v_readfirstlane_b32 s7, v1
	s_mul_f32 s7, s7, 0x4f7ffffe
	s_cvt_u32_f32 s7, s7
	s_delay_alu instid0(SALU_CYCLE_3) | instskip(NEXT) | instid1(SALU_CYCLE_1)
	s_mul_i32 s10, s10, s7
	s_mul_hi_u32 s10, s7, s10
	s_delay_alu instid0(SALU_CYCLE_1) | instskip(SKIP_2) | instid1(SALU_CYCLE_1)
	s_add_co_i32 s7, s7, s10
	s_cmp_eq_u32 s11, 0
	s_cselect_b32 s8, ttmp9, s8
	s_mul_hi_u32 s7, s8, s7
	s_delay_alu instid0(SALU_CYCLE_1) | instskip(SKIP_2) | instid1(SALU_CYCLE_1)
	s_mul_i32 s9, s7, s13
	s_add_co_i32 s10, s7, 1
	s_sub_co_i32 s9, s8, s9
	s_sub_co_i32 s11, s9, s13
	s_cmp_ge_u32 s9, s13
	s_cselect_b32 s7, s10, s7
	s_cselect_b32 s9, s11, s9
	s_add_co_i32 s10, s7, 1
	s_cmp_ge_u32 s9, s13
	s_cselect_b32 s15, s10, s7
	s_delay_alu instid0(SALU_CYCLE_1) | instskip(SKIP_2) | instid1(SALU_CYCLE_1)
	s_mul_i32 s7, s15, s13
	v_lshl_or_b32 v10, s15, 6, v0
	s_sub_co_i32 s8, s8, s7
	s_ashr_i32 s9, s8, 31
	s_delay_alu instid0(VALU_DEP_1) | instskip(SKIP_1) | instid1(SALU_CYCLE_1)
	v_ashrrev_i32_e32 v11, 31, v10
	s_lshl_b64 s[8:9], s[8:9], 2
	s_add_nc_u64 s[18:19], s[16:17], s[8:9]
	s_load_b32 s16, s[18:19], 0x0
	s_load_b128 s[8:11], s[0:1], 0x38
	s_wait_kmcnt 0x0
	s_ashr_i32 s17, s16, 31
	s_delay_alu instid0(SALU_CYCLE_1)
	s_lshl_b64 s[18:19], s[16:17], 2
	s_cmp_lg_u32 s12, 0x71
	s_add_nc_u64 s[2:3], s[2:3], s[18:19]
	s_mul_u64 s[18:19], s[10:11], s[16:17]
	s_load_b64 s[22:23], s[2:3], 0x0
	v_add_nc_u64_e32 v[12:13], s[18:19], v[10:11]
	s_wait_xcnt 0x0
	v_cmp_gt_i32_e64 s2, s14, v10
	s_cbranch_scc0 .LBB35_47
; %bb.3:
	v_mov_b64_e32 v[4:5], 0
	v_mov_b64_e32 v[2:3], 0
	s_and_saveexec_b32 s3, s2
	s_cbranch_execz .LBB35_5
; %bb.4:
	v_lshl_add_u64 v[2:3], v[12:13], 4, s[8:9]
	global_load_b128 v[14:17], v[2:3], off
	s_wait_loadcnt_dscnt 0x0
	v_mul_f64_e64 v[2:3], v[16:17], -v[8:9]
	v_mul_f64_e32 v[4:5], v[6:7], v[16:17]
	s_delay_alu instid0(VALU_DEP_2) | instskip(NEXT) | instid1(VALU_DEP_2)
	v_fmac_f64_e32 v[2:3], v[6:7], v[14:15]
	v_fmac_f64_e32 v[4:5], v[8:9], v[14:15]
.LBB35_5:
	s_or_b32 exec_lo, exec_lo, s3
	s_load_b64 s[20:21], s[0:1], 0x48
	s_cbranch_execz .LBB35_48
; %bb.6:
	v_lshl_add_u64 v[10:11], v[10:11], 4, s[8:9]
	v_cmp_eq_u32_e64 s3, 0, v0
	s_wait_kmcnt 0x0
	s_cmp_ge_i32 s22, s23
	s_cbranch_scc1 .LBB35_51
.LBB35_7:
	s_clause 0x1
	s_load_b64 s[8:9], s[0:1], 0x58
	s_load_b128 s[12:15], s[0:1], 0x28
	v_mov_b64_e32 v[14:15], 1.0
	v_mov_b64_e32 v[12:13], 0
	s_sub_co_i32 s17, s22, s4
	s_sub_co_i32 s24, s23, s4
	v_lshl_or_b32 v1, v0, 2, 0x400
	v_dual_mov_b32 v25, 0 :: v_dual_lshlrev_b32 v24, 4, v0
	s_cmp_eq_u32 s6, 0
	s_mov_b32 s27, s17
	s_cselect_b32 s25, -1, 0
	s_add_co_i32 s26, s16, s4
	s_wait_xcnt 0x0
	s_sub_co_i32 s0, s27, s17
	s_delay_alu instid0(SALU_CYCLE_1) | instskip(NEXT) | instid1(SALU_CYCLE_1)
	s_and_b32 s1, s0, 63
	s_cmp_lg_u32 s1, 0
	s_cbranch_scc1 .LBB35_11
.LBB35_8:
	s_sub_co_i32 s0, s24, s27
	s_wait_loadcnt_dscnt 0x0
	v_mov_b64_e32 v[6:7], -1.0
	v_mov_b64_e32 v[8:9], 0
	v_cmp_gt_u32_e32 vcc_lo, s0, v0
	v_mov_b32_e32 v16, -1
	s_and_saveexec_b32 s0, vcc_lo
	s_cbranch_execz .LBB35_10
; %bb.9:
	v_add_nc_u32_e32 v16, s27, v0
	s_wait_kmcnt 0x0
	s_clause 0x1
	global_load_b32 v17, v16, s[12:13] scale_offset
	global_load_b128 v[6:9], v16, s[14:15] scale_offset
	s_wait_loadcnt 0x1
	s_wait_xcnt 0x0
	v_subrev_nc_u32_e32 v16, s4, v17
.LBB35_10:
	s_or_b32 exec_lo, exec_lo, s0
	ds_store_b32 v1, v16
	s_wait_loadcnt 0x0
	ds_store_b128 v24, v[6:9]
.LBB35_11:                              ; =>This Loop Header: Depth=1
                                        ;     Child Loop BB35_37 Depth 2
	s_lshl_b32 s0, s1, 4
	s_wait_storecnt 0x0
	s_wait_loadcnt_dscnt 0x0
	v_mov_b32_e32 v6, s0
	s_barrier_signal -1
	s_barrier_wait -1
	s_lshl_b32 s1, s1, 2
	ds_load_b128 v[16:19], v6
	v_mov_b32_e32 v6, s1
	ds_load_b32 v6, v6 offset:1024
	s_wait_dscnt 0x1
	v_cmp_eq_f64_e32 vcc_lo, 0, v[16:17]
	v_cmp_eq_f64_e64 s0, 0, v[18:19]
	s_wait_dscnt 0x0
	v_readfirstlane_b32 s22, v6
	s_and_b32 s0, vcc_lo, s0
	s_cmp_eq_u32 s22, s16
	s_cselect_b32 s28, -1, 0
	s_cmp_lg_u32 s22, s16
	s_cselect_b32 s1, -1, 0
	s_and_b32 s0, s0, s28
	s_delay_alu instid0(SALU_CYCLE_1) | instskip(NEXT) | instid1(SALU_CYCLE_1)
	s_and_b32 s0, s25, s0
	v_cndmask_b32_e64 v7, v19, 0, s0
	v_cndmask_b32_e64 v6, v18, 0, s0
	;; [unrolled: 1-line block ×4, first 2 shown]
	s_and_b32 s23, s3, s0
	s_delay_alu instid0(SALU_CYCLE_1)
	s_and_saveexec_b32 s0, s23
	s_cbranch_execz .LBB35_15
; %bb.12:                               ;   in Loop: Header=BB35_11 Depth=1
	v_mbcnt_lo_u32_b32 v6, exec_lo, 0
	s_mov_b32 s23, exec_lo
	s_delay_alu instid0(VALU_DEP_1)
	v_cmpx_eq_u32_e32 0, v6
	s_cbranch_execz .LBB35_14
; %bb.13:                               ;   in Loop: Header=BB35_11 Depth=1
	v_mov_b32_e32 v6, s26
	s_wait_kmcnt 0x0
	global_atomic_min_i32 v25, v6, s[8:9] scope:SCOPE_DEV
.LBB35_14:                              ;   in Loop: Header=BB35_11 Depth=1
	s_wait_xcnt 0x0
	s_or_b32 exec_lo, exec_lo, s23
	v_mov_b64_e32 v[8:9], 1.0
	v_mov_b64_e32 v[6:7], 0
.LBB35_15:                              ;   in Loop: Header=BB35_11 Depth=1
	s_or_b32 exec_lo, exec_lo, s0
	s_mov_b32 s29, -1
	s_mov_b32 s0, 0
	s_cmp_lt_i32 s5, 1
	s_mov_b32 s23, 0
                                        ; implicit-def: $vgpr16_vgpr17
                                        ; implicit-def: $vgpr18_vgpr19
	s_cbranch_scc0 .LBB35_22
; %bb.16:                               ;   in Loop: Header=BB35_11 Depth=1
	s_and_b32 vcc_lo, exec_lo, s29
	s_mov_b32 s28, 4
	s_cbranch_vccnz .LBB35_29
.LBB35_17:                              ;   in Loop: Header=BB35_11 Depth=1
	v_mov_b64_e32 v[22:23], v[4:5]
	v_mov_b64_e32 v[20:21], v[2:3]
	s_and_b32 vcc_lo, exec_lo, s23
	s_cbranch_vccnz .LBB35_34
.LBB35_18:                              ;   in Loop: Header=BB35_11 Depth=1
	s_and_b32 vcc_lo, exec_lo, s0
	s_cbranch_vccnz .LBB35_41
.LBB35_19:                              ;   in Loop: Header=BB35_11 Depth=1
	s_mov_b32 s0, -1
	s_cmp_gt_i32 s28, 3
	s_mov_b32 s1, -1
	s_cbranch_scc0 .LBB35_44
.LBB35_20:                              ;   in Loop: Header=BB35_11 Depth=1
	s_and_not1_b32 vcc_lo, exec_lo, s1
	s_cbranch_vccz .LBB35_45
.LBB35_21:                              ;   in Loop: Header=BB35_11 Depth=1
	s_delay_alu instid0(VALU_DEP_1) | instskip(NEXT) | instid1(VALU_DEP_2)
	v_mov_b64_e32 v[4:5], v[22:23]
	v_mov_b64_e32 v[2:3], v[20:21]
	s_and_not1_b32 vcc_lo, exec_lo, s0
	s_cbranch_vccnz .LBB35_46
	s_branch .LBB35_52
.LBB35_22:                              ;   in Loop: Header=BB35_11 Depth=1
	s_cmp_eq_u32 s5, 1
	s_mov_b32 s23, -1
                                        ; implicit-def: $vgpr16_vgpr17
                                        ; implicit-def: $vgpr18_vgpr19
	s_cbranch_scc0 .LBB35_28
; %bb.23:                               ;   in Loop: Header=BB35_11 Depth=1
	v_mov_b64_e32 v[16:17], v[12:13]
	v_mov_b64_e32 v[18:19], v[14:15]
	s_cmp_ge_i32 s22, s16
	s_mov_b32 s23, 0
	s_cbranch_scc0 .LBB35_28
; %bb.24:                               ;   in Loop: Header=BB35_11 Depth=1
	s_and_b32 vcc_lo, exec_lo, s28
	s_mov_b32 s23, -1
                                        ; implicit-def: $vgpr16_vgpr17
                                        ; implicit-def: $vgpr18_vgpr19
	s_cbranch_vccz .LBB35_28
; %bb.25:                               ;   in Loop: Header=BB35_11 Depth=1
	v_mov_b64_e32 v[16:17], v[12:13]
	v_mov_b64_e32 v[18:19], v[14:15]
	s_and_not1_b32 vcc_lo, exec_lo, s25
	s_cbranch_vccnz .LBB35_27
; %bb.26:                               ;   in Loop: Header=BB35_11 Depth=1
	v_mul_f64_e32 v[16:17], v[6:7], v[6:7]
	s_delay_alu instid0(VALU_DEP_1) | instskip(NEXT) | instid1(VALU_DEP_1)
	v_fmac_f64_e32 v[16:17], v[8:9], v[8:9]
	v_div_scale_f64 v[18:19], null, v[16:17], v[16:17], 1.0
	v_div_scale_f64 v[26:27], vcc_lo, 1.0, v[16:17], 1.0
	s_delay_alu instid0(VALU_DEP_2) | instskip(SKIP_1) | instid1(TRANS32_DEP_1)
	v_rcp_f64_e32 v[20:21], v[18:19]
	v_nop
	v_fma_f64 v[22:23], -v[18:19], v[20:21], 1.0
	s_delay_alu instid0(VALU_DEP_1) | instskip(NEXT) | instid1(VALU_DEP_1)
	v_fmac_f64_e32 v[20:21], v[20:21], v[22:23]
	v_fma_f64 v[22:23], -v[18:19], v[20:21], 1.0
	s_delay_alu instid0(VALU_DEP_1) | instskip(NEXT) | instid1(VALU_DEP_1)
	v_fmac_f64_e32 v[20:21], v[20:21], v[22:23]
	v_mul_f64_e32 v[22:23], v[26:27], v[20:21]
	s_delay_alu instid0(VALU_DEP_1) | instskip(NEXT) | instid1(VALU_DEP_1)
	v_fma_f64 v[18:19], -v[18:19], v[22:23], v[26:27]
	v_div_fmas_f64 v[18:19], v[18:19], v[20:21], v[22:23]
	v_fma_f64 v[20:21], 0, v[6:7], v[8:9]
	v_fma_f64 v[22:23], v[8:9], 0, -v[6:7]
	s_delay_alu instid0(VALU_DEP_3) | instskip(NEXT) | instid1(VALU_DEP_1)
	v_div_fixup_f64 v[16:17], v[18:19], v[16:17], 1.0
	v_mul_f64_e32 v[18:19], v[20:21], v[16:17]
	s_delay_alu instid0(VALU_DEP_3)
	v_mul_f64_e32 v[16:17], v[22:23], v[16:17]
.LBB35_27:                              ;   in Loop: Header=BB35_11 Depth=1
	s_mov_b32 s23, 0
.LBB35_28:                              ;   in Loop: Header=BB35_11 Depth=1
	s_mov_b32 s28, 4
	s_branch .LBB35_17
.LBB35_29:                              ;   in Loop: Header=BB35_11 Depth=1
	s_cmp_eq_u32 s5, 0
	s_cbranch_scc1 .LBB35_31
; %bb.30:                               ;   in Loop: Header=BB35_11 Depth=1
	s_mov_b32 s23, -1
	s_branch .LBB35_33
.LBB35_31:                              ;   in Loop: Header=BB35_11 Depth=1
	s_cmp_le_i32 s22, s16
	s_mov_b32 s23, 0
	s_cbranch_scc0 .LBB35_33
; %bb.32:                               ;   in Loop: Header=BB35_11 Depth=1
	s_mov_b32 s0, -1
	s_mov_b32 s23, s1
.LBB35_33:                              ;   in Loop: Header=BB35_11 Depth=1
	v_mov_b64_e32 v[16:17], v[12:13]
	v_mov_b64_e32 v[18:19], v[14:15]
	s_mov_b32 s28, 2
	v_mov_b64_e32 v[22:23], v[4:5]
	v_mov_b64_e32 v[20:21], v[2:3]
	s_and_b32 vcc_lo, exec_lo, s23
	s_cbranch_vccz .LBB35_18
.LBB35_34:                              ;   in Loop: Header=BB35_11 Depth=1
	s_and_saveexec_b32 s23, s3
	s_cbranch_execz .LBB35_38
; %bb.35:                               ;   in Loop: Header=BB35_11 Depth=1
	s_add_co_i32 s0, s22, s7
	s_delay_alu instid0(SALU_CYCLE_1)
	v_mov_b32_e32 v16, s0
	global_load_b32 v16, v16, s[20:21] scale_offset scope:SCOPE_DEV
	s_wait_loadcnt 0x0
	v_cmp_ne_u32_e32 vcc_lo, 0, v16
	s_cbranch_vccnz .LBB35_38
; %bb.36:                               ;   in Loop: Header=BB35_11 Depth=1
	s_ashr_i32 s1, s0, 31
	s_delay_alu instid0(SALU_CYCLE_1) | instskip(NEXT) | instid1(SALU_CYCLE_1)
	s_lshl_b64 s[0:1], s[0:1], 2
	s_add_nc_u64 s[0:1], s[20:21], s[0:1]
.LBB35_37:                              ;   Parent Loop BB35_11 Depth=1
                                        ; =>  This Inner Loop Header: Depth=2
	global_load_b32 v16, v25, s[0:1] scope:SCOPE_DEV
	s_wait_loadcnt 0x0
	v_cmp_eq_u32_e32 vcc_lo, 0, v16
	s_cbranch_vccnz .LBB35_37
.LBB35_38:                              ;   in Loop: Header=BB35_11 Depth=1
	s_wait_xcnt 0x0
	s_or_b32 exec_lo, exec_lo, s23
	v_mov_b64_e32 v[22:23], 0
	v_mov_b64_e32 v[20:21], 0
	s_wait_storecnt 0x0
	s_barrier_signal -1
	s_barrier_wait -1
	global_inv scope:SCOPE_DEV
	s_and_saveexec_b32 s0, s2
	s_cbranch_execz .LBB35_40
; %bb.39:                               ;   in Loop: Header=BB35_11 Depth=1
	s_ashr_i32 s23, s22, 31
	s_delay_alu instid0(SALU_CYCLE_1) | instskip(NEXT) | instid1(SALU_CYCLE_1)
	s_mul_u64 s[22:23], s[10:11], s[22:23]
	v_lshl_add_u64 v[16:17], s[22:23], 4, v[10:11]
	global_load_b128 v[16:19], v[16:17], off
	s_wait_loadcnt 0x0
	v_fma_f64 v[20:21], -v[8:9], v[16:17], v[2:3]
	v_fma_f64 v[16:17], -v[6:7], v[16:17], v[4:5]
	s_delay_alu instid0(VALU_DEP_2) | instskip(NEXT) | instid1(VALU_DEP_2)
	v_fmac_f64_e32 v[20:21], v[6:7], v[18:19]
	v_fma_f64 v[22:23], -v[8:9], v[18:19], v[16:17]
.LBB35_40:                              ;   in Loop: Header=BB35_11 Depth=1
	s_or_b32 exec_lo, exec_lo, s0
	v_mov_b64_e32 v[16:17], v[12:13]
	v_mov_b64_e32 v[18:19], v[14:15]
	s_mov_b32 s28, 0
	s_branch .LBB35_19
.LBB35_41:                              ;   in Loop: Header=BB35_11 Depth=1
	s_and_not1_b32 vcc_lo, exec_lo, s25
	s_cbranch_vccnz .LBB35_43
; %bb.42:                               ;   in Loop: Header=BB35_11 Depth=1
	v_mul_f64_e32 v[12:13], v[6:7], v[6:7]
	s_delay_alu instid0(VALU_DEP_1) | instskip(NEXT) | instid1(VALU_DEP_1)
	v_fmac_f64_e32 v[12:13], v[8:9], v[8:9]
	v_div_scale_f64 v[14:15], null, v[12:13], v[12:13], 1.0
	v_div_scale_f64 v[20:21], vcc_lo, 1.0, v[12:13], 1.0
	s_delay_alu instid0(VALU_DEP_2) | instskip(SKIP_1) | instid1(TRANS32_DEP_1)
	v_rcp_f64_e32 v[16:17], v[14:15]
	v_nop
	v_fma_f64 v[18:19], -v[14:15], v[16:17], 1.0
	s_delay_alu instid0(VALU_DEP_1) | instskip(NEXT) | instid1(VALU_DEP_1)
	v_fmac_f64_e32 v[16:17], v[16:17], v[18:19]
	v_fma_f64 v[18:19], -v[14:15], v[16:17], 1.0
	s_delay_alu instid0(VALU_DEP_1) | instskip(NEXT) | instid1(VALU_DEP_1)
	v_fmac_f64_e32 v[16:17], v[16:17], v[18:19]
	v_mul_f64_e32 v[18:19], v[20:21], v[16:17]
	s_delay_alu instid0(VALU_DEP_1) | instskip(NEXT) | instid1(VALU_DEP_1)
	v_fma_f64 v[14:15], -v[14:15], v[18:19], v[20:21]
	v_div_fmas_f64 v[14:15], v[14:15], v[16:17], v[18:19]
	v_fma_f64 v[16:17], 0, v[6:7], v[8:9]
	v_fma_f64 v[6:7], v[8:9], 0, -v[6:7]
	s_delay_alu instid0(VALU_DEP_3) | instskip(NEXT) | instid1(VALU_DEP_1)
	v_div_fixup_f64 v[12:13], v[14:15], v[12:13], 1.0
	v_mul_f64_e32 v[14:15], v[16:17], v[12:13]
	s_delay_alu instid0(VALU_DEP_3)
	v_mul_f64_e32 v[12:13], v[6:7], v[12:13]
.LBB35_43:                              ;   in Loop: Header=BB35_11 Depth=1
	s_delay_alu instid0(VALU_DEP_2) | instskip(NEXT) | instid1(VALU_DEP_2)
	v_mov_b64_e32 v[18:19], v[14:15]
	v_mov_b64_e32 v[16:17], v[12:13]
	;; [unrolled: 1-line block ×4, first 2 shown]
	s_mov_b32 s28, 2
	s_mov_b32 s0, -1
	s_cmp_gt_i32 s28, 3
	s_mov_b32 s1, -1
	s_cbranch_scc1 .LBB35_20
.LBB35_44:                              ;   in Loop: Header=BB35_11 Depth=1
	s_cmp_eq_u32 s28, 0
	s_cselect_b32 s1, -1, 0
	s_delay_alu instid0(SALU_CYCLE_1)
	s_and_not1_b32 vcc_lo, exec_lo, s1
	s_cbranch_vccnz .LBB35_21
.LBB35_45:                              ;   in Loop: Header=BB35_11 Depth=1
	s_add_co_i32 s27, s27, 1
	s_delay_alu instid0(SALU_CYCLE_1) | instskip(SKIP_1) | instid1(VALU_DEP_1)
	s_cmp_ge_i32 s27, s24
	s_cselect_b32 s0, -1, 0
	v_mov_b64_e32 v[4:5], v[22:23]
	s_delay_alu instid0(VALU_DEP_2)
	v_mov_b64_e32 v[2:3], v[20:21]
	s_and_not1_b32 vcc_lo, exec_lo, s0
	s_cbranch_vccz .LBB35_52
.LBB35_46:                              ;   in Loop: Header=BB35_11 Depth=1
	s_delay_alu instid0(VALU_DEP_4) | instskip(NEXT) | instid1(VALU_DEP_4)
	v_mov_b64_e32 v[12:13], v[16:17]
	v_mov_b64_e32 v[14:15], v[18:19]
	s_sub_co_i32 s0, s27, s17
	s_delay_alu instid0(SALU_CYCLE_1) | instskip(NEXT) | instid1(SALU_CYCLE_1)
	s_and_b32 s1, s0, 63
	s_cmp_lg_u32 s1, 0
	s_cbranch_scc1 .LBB35_11
	s_branch .LBB35_8
.LBB35_47:
                                        ; implicit-def: $vgpr4_vgpr5
	s_load_b64 s[20:21], s[0:1], 0x48
.LBB35_48:
	v_mov_b64_e32 v[4:5], 0
	v_mov_b64_e32 v[2:3], 0
	s_and_saveexec_b32 s3, s2
	s_cbranch_execz .LBB35_50
; %bb.49:
	v_lshl_add_u64 v[2:3], v[12:13], 4, s[8:9]
	global_load_b128 v[12:15], v[2:3], off
	s_wait_loadcnt_dscnt 0x0
	v_mul_f64_e32 v[2:3], v[8:9], v[14:15]
	v_mul_f64_e64 v[4:5], v[6:7], -v[14:15]
	s_delay_alu instid0(VALU_DEP_2) | instskip(NEXT) | instid1(VALU_DEP_2)
	v_fmac_f64_e32 v[2:3], v[6:7], v[12:13]
	v_fmac_f64_e32 v[4:5], v[8:9], v[12:13]
.LBB35_50:
	s_or_b32 exec_lo, exec_lo, s3
	v_lshl_add_u64 v[10:11], v[10:11], 4, s[8:9]
	v_cmp_eq_u32_e64 s3, 0, v0
	s_wait_kmcnt 0x0
	s_cmp_ge_i32 s22, s23
	s_cbranch_scc0 .LBB35_7
.LBB35_51:
	v_mov_b64_e32 v[18:19], 1.0
	v_mov_b64_e32 v[16:17], 0
.LBB35_52:
	s_cmp_lg_u32 s6, 0
	s_cbranch_scc0 .LBB35_58
; %bb.53:
	s_and_saveexec_b32 s0, s2
	s_cbranch_execz .LBB35_55
.LBB35_54:
	s_wait_loadcnt_dscnt 0x0
	v_lshl_add_u64 v[6:7], s[18:19], 4, v[10:11]
	global_store_b128 v[6:7], v[2:5], off
.LBB35_55:
	s_wait_xcnt 0x0
	s_or_b32 exec_lo, exec_lo, s0
	global_wb scope:SCOPE_DEV
	s_wait_storecnt 0x0
	s_wait_loadcnt_dscnt 0x0
	global_inv scope:SCOPE_DEV
	s_wait_loadcnt 0x0
	s_barrier_signal -1
	s_barrier_wait -1
	s_mov_b32 s0, exec_lo
	v_cmpx_eq_u32_e32 0, v0
	s_cbranch_execz .LBB35_57
; %bb.56:
	s_add_co_i32 s0, s16, s7
	s_delay_alu instid0(SALU_CYCLE_1)
	v_dual_mov_b32 v0, 1 :: v_dual_mov_b32 v1, s0
	global_store_b32 v1, v0, s[20:21] scale_offset scope:SCOPE_DEV
.LBB35_57:
	s_endpgm
.LBB35_58:
	s_wait_loadcnt_dscnt 0x0
	s_delay_alu instid0(VALU_DEP_1) | instskip(SKIP_1) | instid1(VALU_DEP_2)
	v_mul_f64_e64 v[6:7], v[16:17], -v[4:5]
	v_mul_f64_e32 v[8:9], v[16:17], v[2:3]
	v_fmac_f64_e32 v[6:7], v[2:3], v[18:19]
	s_delay_alu instid0(VALU_DEP_2) | instskip(NEXT) | instid1(VALU_DEP_2)
	v_fmac_f64_e32 v[8:9], v[4:5], v[18:19]
	v_mov_b64_e32 v[2:3], v[6:7]
	s_delay_alu instid0(VALU_DEP_2)
	v_mov_b64_e32 v[4:5], v[8:9]
	s_and_saveexec_b32 s0, s2
	s_cbranch_execnz .LBB35_54
	s_branch .LBB35_55
	.section	.rodata,"a",@progbits
	.p2align	6, 0x0
	.amdhsa_kernel _ZN9rocsparseL5csrsmILj64ELj64ELb0Eii21rocsparse_complex_numIdEEEv20rocsparse_operation_T3_S4_NS_24const_host_device_scalarIT4_EEPKT2_PKS4_PKS6_PS6_lPiSC_PS4_21rocsparse_index_base_20rocsparse_fill_mode_20rocsparse_diag_type_b
		.amdhsa_group_segment_fixed_size 1280
		.amdhsa_private_segment_fixed_size 16
		.amdhsa_kernarg_size 112
		.amdhsa_user_sgpr_count 2
		.amdhsa_user_sgpr_dispatch_ptr 0
		.amdhsa_user_sgpr_queue_ptr 0
		.amdhsa_user_sgpr_kernarg_segment_ptr 1
		.amdhsa_user_sgpr_dispatch_id 0
		.amdhsa_user_sgpr_kernarg_preload_length 0
		.amdhsa_user_sgpr_kernarg_preload_offset 0
		.amdhsa_user_sgpr_private_segment_size 0
		.amdhsa_wavefront_size32 1
		.amdhsa_uses_dynamic_stack 0
		.amdhsa_enable_private_segment 1
		.amdhsa_system_sgpr_workgroup_id_x 1
		.amdhsa_system_sgpr_workgroup_id_y 0
		.amdhsa_system_sgpr_workgroup_id_z 0
		.amdhsa_system_sgpr_workgroup_info 0
		.amdhsa_system_vgpr_workitem_id 0
		.amdhsa_next_free_vgpr 28
		.amdhsa_next_free_sgpr 30
		.amdhsa_named_barrier_count 0
		.amdhsa_reserve_vcc 1
		.amdhsa_float_round_mode_32 0
		.amdhsa_float_round_mode_16_64 0
		.amdhsa_float_denorm_mode_32 3
		.amdhsa_float_denorm_mode_16_64 3
		.amdhsa_fp16_overflow 0
		.amdhsa_memory_ordered 1
		.amdhsa_forward_progress 1
		.amdhsa_inst_pref_size 17
		.amdhsa_round_robin_scheduling 0
		.amdhsa_exception_fp_ieee_invalid_op 0
		.amdhsa_exception_fp_denorm_src 0
		.amdhsa_exception_fp_ieee_div_zero 0
		.amdhsa_exception_fp_ieee_overflow 0
		.amdhsa_exception_fp_ieee_underflow 0
		.amdhsa_exception_fp_ieee_inexact 0
		.amdhsa_exception_int_div_zero 0
	.end_amdhsa_kernel
	.section	.text._ZN9rocsparseL5csrsmILj64ELj64ELb0Eii21rocsparse_complex_numIdEEEv20rocsparse_operation_T3_S4_NS_24const_host_device_scalarIT4_EEPKT2_PKS4_PKS6_PS6_lPiSC_PS4_21rocsparse_index_base_20rocsparse_fill_mode_20rocsparse_diag_type_b,"axG",@progbits,_ZN9rocsparseL5csrsmILj64ELj64ELb0Eii21rocsparse_complex_numIdEEEv20rocsparse_operation_T3_S4_NS_24const_host_device_scalarIT4_EEPKT2_PKS4_PKS6_PS6_lPiSC_PS4_21rocsparse_index_base_20rocsparse_fill_mode_20rocsparse_diag_type_b,comdat
.Lfunc_end35:
	.size	_ZN9rocsparseL5csrsmILj64ELj64ELb0Eii21rocsparse_complex_numIdEEEv20rocsparse_operation_T3_S4_NS_24const_host_device_scalarIT4_EEPKT2_PKS4_PKS6_PS6_lPiSC_PS4_21rocsparse_index_base_20rocsparse_fill_mode_20rocsparse_diag_type_b, .Lfunc_end35-_ZN9rocsparseL5csrsmILj64ELj64ELb0Eii21rocsparse_complex_numIdEEEv20rocsparse_operation_T3_S4_NS_24const_host_device_scalarIT4_EEPKT2_PKS4_PKS6_PS6_lPiSC_PS4_21rocsparse_index_base_20rocsparse_fill_mode_20rocsparse_diag_type_b
                                        ; -- End function
	.set _ZN9rocsparseL5csrsmILj64ELj64ELb0Eii21rocsparse_complex_numIdEEEv20rocsparse_operation_T3_S4_NS_24const_host_device_scalarIT4_EEPKT2_PKS4_PKS6_PS6_lPiSC_PS4_21rocsparse_index_base_20rocsparse_fill_mode_20rocsparse_diag_type_b.num_vgpr, 28
	.set _ZN9rocsparseL5csrsmILj64ELj64ELb0Eii21rocsparse_complex_numIdEEEv20rocsparse_operation_T3_S4_NS_24const_host_device_scalarIT4_EEPKT2_PKS4_PKS6_PS6_lPiSC_PS4_21rocsparse_index_base_20rocsparse_fill_mode_20rocsparse_diag_type_b.num_agpr, 0
	.set _ZN9rocsparseL5csrsmILj64ELj64ELb0Eii21rocsparse_complex_numIdEEEv20rocsparse_operation_T3_S4_NS_24const_host_device_scalarIT4_EEPKT2_PKS4_PKS6_PS6_lPiSC_PS4_21rocsparse_index_base_20rocsparse_fill_mode_20rocsparse_diag_type_b.numbered_sgpr, 30
	.set _ZN9rocsparseL5csrsmILj64ELj64ELb0Eii21rocsparse_complex_numIdEEEv20rocsparse_operation_T3_S4_NS_24const_host_device_scalarIT4_EEPKT2_PKS4_PKS6_PS6_lPiSC_PS4_21rocsparse_index_base_20rocsparse_fill_mode_20rocsparse_diag_type_b.num_named_barrier, 0
	.set _ZN9rocsparseL5csrsmILj64ELj64ELb0Eii21rocsparse_complex_numIdEEEv20rocsparse_operation_T3_S4_NS_24const_host_device_scalarIT4_EEPKT2_PKS4_PKS6_PS6_lPiSC_PS4_21rocsparse_index_base_20rocsparse_fill_mode_20rocsparse_diag_type_b.private_seg_size, 16
	.set _ZN9rocsparseL5csrsmILj64ELj64ELb0Eii21rocsparse_complex_numIdEEEv20rocsparse_operation_T3_S4_NS_24const_host_device_scalarIT4_EEPKT2_PKS4_PKS6_PS6_lPiSC_PS4_21rocsparse_index_base_20rocsparse_fill_mode_20rocsparse_diag_type_b.uses_vcc, 1
	.set _ZN9rocsparseL5csrsmILj64ELj64ELb0Eii21rocsparse_complex_numIdEEEv20rocsparse_operation_T3_S4_NS_24const_host_device_scalarIT4_EEPKT2_PKS4_PKS6_PS6_lPiSC_PS4_21rocsparse_index_base_20rocsparse_fill_mode_20rocsparse_diag_type_b.uses_flat_scratch, 0
	.set _ZN9rocsparseL5csrsmILj64ELj64ELb0Eii21rocsparse_complex_numIdEEEv20rocsparse_operation_T3_S4_NS_24const_host_device_scalarIT4_EEPKT2_PKS4_PKS6_PS6_lPiSC_PS4_21rocsparse_index_base_20rocsparse_fill_mode_20rocsparse_diag_type_b.has_dyn_sized_stack, 0
	.set _ZN9rocsparseL5csrsmILj64ELj64ELb0Eii21rocsparse_complex_numIdEEEv20rocsparse_operation_T3_S4_NS_24const_host_device_scalarIT4_EEPKT2_PKS4_PKS6_PS6_lPiSC_PS4_21rocsparse_index_base_20rocsparse_fill_mode_20rocsparse_diag_type_b.has_recursion, 0
	.set _ZN9rocsparseL5csrsmILj64ELj64ELb0Eii21rocsparse_complex_numIdEEEv20rocsparse_operation_T3_S4_NS_24const_host_device_scalarIT4_EEPKT2_PKS4_PKS6_PS6_lPiSC_PS4_21rocsparse_index_base_20rocsparse_fill_mode_20rocsparse_diag_type_b.has_indirect_call, 0
	.section	.AMDGPU.csdata,"",@progbits
; Kernel info:
; codeLenInByte = 2120
; TotalNumSgprs: 32
; NumVgprs: 28
; ScratchSize: 16
; MemoryBound: 0
; FloatMode: 240
; IeeeMode: 1
; LDSByteSize: 1280 bytes/workgroup (compile time only)
; SGPRBlocks: 0
; VGPRBlocks: 1
; NumSGPRsForWavesPerEU: 32
; NumVGPRsForWavesPerEU: 28
; NamedBarCnt: 0
; Occupancy: 16
; WaveLimiterHint : 1
; COMPUTE_PGM_RSRC2:SCRATCH_EN: 1
; COMPUTE_PGM_RSRC2:USER_SGPR: 2
; COMPUTE_PGM_RSRC2:TRAP_HANDLER: 0
; COMPUTE_PGM_RSRC2:TGID_X_EN: 1
; COMPUTE_PGM_RSRC2:TGID_Y_EN: 0
; COMPUTE_PGM_RSRC2:TGID_Z_EN: 0
; COMPUTE_PGM_RSRC2:TIDIG_COMP_CNT: 0
	.section	.text._ZN9rocsparseL5csrsmILj128ELj64ELb1Eii21rocsparse_complex_numIdEEEv20rocsparse_operation_T3_S4_NS_24const_host_device_scalarIT4_EEPKT2_PKS4_PKS6_PS6_lPiSC_PS4_21rocsparse_index_base_20rocsparse_fill_mode_20rocsparse_diag_type_b,"axG",@progbits,_ZN9rocsparseL5csrsmILj128ELj64ELb1Eii21rocsparse_complex_numIdEEEv20rocsparse_operation_T3_S4_NS_24const_host_device_scalarIT4_EEPKT2_PKS4_PKS6_PS6_lPiSC_PS4_21rocsparse_index_base_20rocsparse_fill_mode_20rocsparse_diag_type_b,comdat
	.globl	_ZN9rocsparseL5csrsmILj128ELj64ELb1Eii21rocsparse_complex_numIdEEEv20rocsparse_operation_T3_S4_NS_24const_host_device_scalarIT4_EEPKT2_PKS4_PKS6_PS6_lPiSC_PS4_21rocsparse_index_base_20rocsparse_fill_mode_20rocsparse_diag_type_b ; -- Begin function _ZN9rocsparseL5csrsmILj128ELj64ELb1Eii21rocsparse_complex_numIdEEEv20rocsparse_operation_T3_S4_NS_24const_host_device_scalarIT4_EEPKT2_PKS4_PKS6_PS6_lPiSC_PS4_21rocsparse_index_base_20rocsparse_fill_mode_20rocsparse_diag_type_b
	.p2align	8
	.type	_ZN9rocsparseL5csrsmILj128ELj64ELb1Eii21rocsparse_complex_numIdEEEv20rocsparse_operation_T3_S4_NS_24const_host_device_scalarIT4_EEPKT2_PKS4_PKS6_PS6_lPiSC_PS4_21rocsparse_index_base_20rocsparse_fill_mode_20rocsparse_diag_type_b,@function
_ZN9rocsparseL5csrsmILj128ELj64ELb1Eii21rocsparse_complex_numIdEEEv20rocsparse_operation_T3_S4_NS_24const_host_device_scalarIT4_EEPKT2_PKS4_PKS6_PS6_lPiSC_PS4_21rocsparse_index_base_20rocsparse_fill_mode_20rocsparse_diag_type_b: ; @_ZN9rocsparseL5csrsmILj128ELj64ELb1Eii21rocsparse_complex_numIdEEEv20rocsparse_operation_T3_S4_NS_24const_host_device_scalarIT4_EEPKT2_PKS4_PKS6_PS6_lPiSC_PS4_21rocsparse_index_base_20rocsparse_fill_mode_20rocsparse_diag_type_b
; %bb.0:
	s_clause 0x1
	s_load_b128 s[4:7], s[0:1], 0x60
	s_load_b128 s[8:11], s[0:1], 0x10
	v_mbcnt_lo_u32_b32 v1, -1, 0
	s_clause 0x1
	s_load_b64 s[2:3], s[0:1], 0x20
	s_load_b64 s[16:17], s[0:1], 0x50
	s_delay_alu instid0(VALU_DEP_1) | instskip(NEXT) | instid1(VALU_DEP_1)
	v_dual_mov_b32 v2, 0 :: v_dual_lshlrev_b32 v3, 20, v1
	v_add_nc_u64_e32 v[2:3], src_flat_scratch_base_lo, v[2:3]
	s_wait_kmcnt 0x0
	s_bitcmp1_b32 s7, 0
	v_mov_b64_e32 v[4:5], s[8:9]
	s_cselect_b32 vcc_lo, -1, 0
	v_mov_b64_e32 v[8:9], s[10:11]
	s_delay_alu instid0(VALU_DEP_3)
	v_cndmask_b32_e32 v3, s9, v3, vcc_lo
	v_cndmask_b32_e32 v2, s8, v2, vcc_lo
	s_and_b32 vcc_lo, exec_lo, vcc_lo
	scratch_store_b64 off, v[4:5], off
	flat_load_b64 v[6:7], v[2:3]
	s_cbranch_vccnz .LBB36_2
; %bb.1:
	v_mov_b32_e32 v1, 0
	flat_load_b64 v[8:9], v1, s[8:9] offset:8
.LBB36_2:
	s_load_b96 s[12:14], s[0:1], 0x0
	s_bfe_u32 s9, ttmp6, 0x4000c
	s_and_b32 s8, ttmp6, 15
	s_add_co_i32 s9, s9, 1
	s_getreg_b32 s11, hwreg(HW_REG_IB_STS2, 6, 4)
	s_mul_i32 s9, ttmp9, s9
	s_delay_alu instid0(SALU_CYCLE_1) | instskip(SKIP_3) | instid1(SALU_CYCLE_2)
	s_add_co_i32 s8, s8, s9
	s_wait_kmcnt 0x0
	s_cvt_f32_u32 s7, s13
	s_sub_co_i32 s10, 0, s13
	v_rcp_iflag_f32_e32 v1, s7
	v_nop
	s_delay_alu instid0(TRANS32_DEP_1) | instskip(SKIP_1) | instid1(SALU_CYCLE_3)
	v_readfirstlane_b32 s7, v1
	s_mul_f32 s7, s7, 0x4f7ffffe
	s_cvt_u32_f32 s7, s7
	s_delay_alu instid0(SALU_CYCLE_3) | instskip(NEXT) | instid1(SALU_CYCLE_1)
	s_mul_i32 s10, s10, s7
	s_mul_hi_u32 s10, s7, s10
	s_delay_alu instid0(SALU_CYCLE_1) | instskip(SKIP_2) | instid1(SALU_CYCLE_1)
	s_add_co_i32 s7, s7, s10
	s_cmp_eq_u32 s11, 0
	s_cselect_b32 s8, ttmp9, s8
	s_mul_hi_u32 s7, s8, s7
	s_delay_alu instid0(SALU_CYCLE_1) | instskip(SKIP_2) | instid1(SALU_CYCLE_1)
	s_mul_i32 s9, s7, s13
	s_add_co_i32 s10, s7, 1
	s_sub_co_i32 s9, s8, s9
	s_sub_co_i32 s11, s9, s13
	s_cmp_ge_u32 s9, s13
	s_cselect_b32 s7, s10, s7
	s_cselect_b32 s9, s11, s9
	s_add_co_i32 s10, s7, 1
	s_cmp_ge_u32 s9, s13
	s_cselect_b32 s15, s10, s7
	s_delay_alu instid0(SALU_CYCLE_1) | instskip(SKIP_2) | instid1(SALU_CYCLE_1)
	s_mul_i32 s7, s15, s13
	v_lshl_or_b32 v10, s15, 7, v0
	s_sub_co_i32 s8, s8, s7
	s_ashr_i32 s9, s8, 31
	s_delay_alu instid0(VALU_DEP_1) | instskip(SKIP_1) | instid1(SALU_CYCLE_1)
	v_ashrrev_i32_e32 v11, 31, v10
	s_lshl_b64 s[8:9], s[8:9], 2
	s_add_nc_u64 s[18:19], s[16:17], s[8:9]
	s_load_b32 s16, s[18:19], 0x0
	s_load_b128 s[8:11], s[0:1], 0x38
	s_wait_kmcnt 0x0
	s_ashr_i32 s17, s16, 31
	s_delay_alu instid0(SALU_CYCLE_1)
	s_lshl_b64 s[18:19], s[16:17], 2
	s_cmp_lg_u32 s12, 0x71
	s_add_nc_u64 s[2:3], s[2:3], s[18:19]
	s_mul_u64 s[18:19], s[10:11], s[16:17]
	s_load_b64 s[22:23], s[2:3], 0x0
	v_add_nc_u64_e32 v[12:13], s[18:19], v[10:11]
	s_wait_xcnt 0x0
	v_cmp_gt_i32_e64 s2, s14, v10
	s_cbranch_scc0 .LBB36_49
; %bb.3:
	v_mov_b64_e32 v[4:5], 0
	v_mov_b64_e32 v[2:3], 0
	s_and_saveexec_b32 s3, s2
	s_cbranch_execz .LBB36_5
; %bb.4:
	v_lshl_add_u64 v[2:3], v[12:13], 4, s[8:9]
	global_load_b128 v[14:17], v[2:3], off
	s_wait_loadcnt_dscnt 0x0
	v_mul_f64_e64 v[2:3], v[16:17], -v[8:9]
	v_mul_f64_e32 v[4:5], v[6:7], v[16:17]
	s_delay_alu instid0(VALU_DEP_2) | instskip(NEXT) | instid1(VALU_DEP_2)
	v_fmac_f64_e32 v[2:3], v[6:7], v[14:15]
	v_fmac_f64_e32 v[4:5], v[8:9], v[14:15]
.LBB36_5:
	s_or_b32 exec_lo, exec_lo, s3
	s_load_b64 s[20:21], s[0:1], 0x48
	s_cbranch_execz .LBB36_50
; %bb.6:
	v_lshl_add_u64 v[10:11], v[10:11], 4, s[8:9]
	v_cmp_eq_u32_e64 s3, 0, v0
	s_wait_kmcnt 0x0
	s_cmp_ge_i32 s22, s23
	s_cbranch_scc1 .LBB36_53
.LBB36_7:
	s_clause 0x1
	s_load_b64 s[8:9], s[0:1], 0x58
	s_load_b128 s[12:15], s[0:1], 0x28
	v_mov_b64_e32 v[14:15], 1.0
	v_mov_b64_e32 v[12:13], 0
	s_sub_co_i32 s17, s22, s4
	s_sub_co_i32 s24, s23, s4
	v_lshl_or_b32 v1, v0, 2, 0x800
	v_dual_mov_b32 v25, 0 :: v_dual_lshlrev_b32 v24, 4, v0
	s_cmp_eq_u32 s6, 0
	s_mov_b32 s27, s17
	s_cselect_b32 s25, -1, 0
	s_add_co_i32 s26, s16, s4
	s_wait_xcnt 0x0
	s_sub_co_i32 s0, s27, s17
	s_delay_alu instid0(SALU_CYCLE_1) | instskip(NEXT) | instid1(SALU_CYCLE_1)
	s_and_b32 s1, s0, 0x7f
	s_cmp_lg_u32 s1, 0
	s_cbranch_scc1 .LBB36_11
.LBB36_8:
	s_sub_co_i32 s0, s24, s27
	s_wait_loadcnt_dscnt 0x0
	v_mov_b64_e32 v[6:7], -1.0
	v_mov_b64_e32 v[8:9], 0
	v_cmp_gt_u32_e32 vcc_lo, s0, v0
	v_mov_b32_e32 v16, -1
	s_and_saveexec_b32 s0, vcc_lo
	s_cbranch_execz .LBB36_10
; %bb.9:
	v_add_nc_u32_e32 v16, s27, v0
	s_wait_kmcnt 0x0
	s_clause 0x1
	global_load_b32 v17, v16, s[12:13] scale_offset
	global_load_b128 v[6:9], v16, s[14:15] scale_offset
	s_wait_loadcnt 0x1
	s_wait_xcnt 0x0
	v_subrev_nc_u32_e32 v16, s4, v17
.LBB36_10:
	s_or_b32 exec_lo, exec_lo, s0
	ds_store_b32 v1, v16
	s_wait_loadcnt 0x0
	ds_store_b128 v24, v[6:9]
.LBB36_11:                              ; =>This Loop Header: Depth=1
                                        ;     Child Loop BB36_47 Depth 2
                                        ;       Child Loop BB36_48 Depth 3
	s_lshl_b32 s0, s1, 4
	s_wait_storecnt 0x0
	s_wait_loadcnt_dscnt 0x0
	v_mov_b32_e32 v6, s0
	s_barrier_signal -1
	s_barrier_wait -1
	s_lshl_b32 s1, s1, 2
	ds_load_b128 v[16:19], v6
	v_mov_b32_e32 v6, s1
	ds_load_b32 v6, v6 offset:2048
	s_wait_dscnt 0x1
	v_cmp_eq_f64_e32 vcc_lo, 0, v[16:17]
	v_cmp_eq_f64_e64 s0, 0, v[18:19]
	s_wait_dscnt 0x0
	v_readfirstlane_b32 s22, v6
	s_and_b32 s0, vcc_lo, s0
	s_cmp_eq_u32 s22, s16
	s_cselect_b32 s28, -1, 0
	s_cmp_lg_u32 s22, s16
	s_cselect_b32 s1, -1, 0
	s_and_b32 s0, s0, s28
	s_delay_alu instid0(SALU_CYCLE_1) | instskip(NEXT) | instid1(SALU_CYCLE_1)
	s_and_b32 s0, s25, s0
	v_cndmask_b32_e64 v7, v19, 0, s0
	v_cndmask_b32_e64 v6, v18, 0, s0
	;; [unrolled: 1-line block ×4, first 2 shown]
	s_and_b32 s23, s3, s0
	s_delay_alu instid0(SALU_CYCLE_1)
	s_and_saveexec_b32 s0, s23
	s_cbranch_execz .LBB36_15
; %bb.12:                               ;   in Loop: Header=BB36_11 Depth=1
	v_mbcnt_lo_u32_b32 v6, exec_lo, 0
	s_mov_b32 s23, exec_lo
	s_delay_alu instid0(VALU_DEP_1)
	v_cmpx_eq_u32_e32 0, v6
	s_cbranch_execz .LBB36_14
; %bb.13:                               ;   in Loop: Header=BB36_11 Depth=1
	v_mov_b32_e32 v6, s26
	s_wait_kmcnt 0x0
	global_atomic_min_i32 v25, v6, s[8:9] scope:SCOPE_DEV
.LBB36_14:                              ;   in Loop: Header=BB36_11 Depth=1
	s_wait_xcnt 0x0
	s_or_b32 exec_lo, exec_lo, s23
	v_mov_b64_e32 v[8:9], 1.0
	v_mov_b64_e32 v[6:7], 0
.LBB36_15:                              ;   in Loop: Header=BB36_11 Depth=1
	s_or_b32 exec_lo, exec_lo, s0
	s_mov_b32 s29, -1
	s_mov_b32 s0, 0
	s_cmp_lt_i32 s5, 1
	s_mov_b32 s23, 0
                                        ; implicit-def: $vgpr16_vgpr17
                                        ; implicit-def: $vgpr18_vgpr19
	s_cbranch_scc0 .LBB36_22
; %bb.16:                               ;   in Loop: Header=BB36_11 Depth=1
	s_and_b32 vcc_lo, exec_lo, s29
	s_mov_b32 s28, 4
	s_cbranch_vccnz .LBB36_29
.LBB36_17:                              ;   in Loop: Header=BB36_11 Depth=1
	v_mov_b64_e32 v[22:23], v[4:5]
	v_mov_b64_e32 v[20:21], v[2:3]
	s_and_b32 vcc_lo, exec_lo, s23
	s_cbranch_vccnz .LBB36_34
.LBB36_18:                              ;   in Loop: Header=BB36_11 Depth=1
	s_and_b32 vcc_lo, exec_lo, s0
	s_cbranch_vccnz .LBB36_39
.LBB36_19:                              ;   in Loop: Header=BB36_11 Depth=1
	s_mov_b32 s0, -1
	s_cmp_gt_i32 s28, 3
	s_mov_b32 s1, -1
	s_cbranch_scc0 .LBB36_42
.LBB36_20:                              ;   in Loop: Header=BB36_11 Depth=1
	s_and_not1_b32 vcc_lo, exec_lo, s1
	s_cbranch_vccz .LBB36_43
.LBB36_21:                              ;   in Loop: Header=BB36_11 Depth=1
	s_delay_alu instid0(VALU_DEP_1) | instskip(NEXT) | instid1(VALU_DEP_2)
	v_mov_b64_e32 v[4:5], v[22:23]
	v_mov_b64_e32 v[2:3], v[20:21]
	s_and_not1_b32 vcc_lo, exec_lo, s0
	s_cbranch_vccnz .LBB36_44
	s_branch .LBB36_54
.LBB36_22:                              ;   in Loop: Header=BB36_11 Depth=1
	s_cmp_eq_u32 s5, 1
	s_mov_b32 s23, -1
                                        ; implicit-def: $vgpr16_vgpr17
                                        ; implicit-def: $vgpr18_vgpr19
	s_cbranch_scc0 .LBB36_28
; %bb.23:                               ;   in Loop: Header=BB36_11 Depth=1
	v_mov_b64_e32 v[16:17], v[12:13]
	v_mov_b64_e32 v[18:19], v[14:15]
	s_cmp_ge_i32 s22, s16
	s_mov_b32 s23, 0
	s_cbranch_scc0 .LBB36_28
; %bb.24:                               ;   in Loop: Header=BB36_11 Depth=1
	s_and_b32 vcc_lo, exec_lo, s28
	s_mov_b32 s23, -1
                                        ; implicit-def: $vgpr16_vgpr17
                                        ; implicit-def: $vgpr18_vgpr19
	s_cbranch_vccz .LBB36_28
; %bb.25:                               ;   in Loop: Header=BB36_11 Depth=1
	v_mov_b64_e32 v[16:17], v[12:13]
	v_mov_b64_e32 v[18:19], v[14:15]
	s_and_not1_b32 vcc_lo, exec_lo, s25
	s_cbranch_vccnz .LBB36_27
; %bb.26:                               ;   in Loop: Header=BB36_11 Depth=1
	v_mul_f64_e32 v[16:17], v[6:7], v[6:7]
	s_delay_alu instid0(VALU_DEP_1) | instskip(NEXT) | instid1(VALU_DEP_1)
	v_fmac_f64_e32 v[16:17], v[8:9], v[8:9]
	v_div_scale_f64 v[18:19], null, v[16:17], v[16:17], 1.0
	v_div_scale_f64 v[26:27], vcc_lo, 1.0, v[16:17], 1.0
	s_delay_alu instid0(VALU_DEP_2) | instskip(SKIP_1) | instid1(TRANS32_DEP_1)
	v_rcp_f64_e32 v[20:21], v[18:19]
	v_nop
	v_fma_f64 v[22:23], -v[18:19], v[20:21], 1.0
	s_delay_alu instid0(VALU_DEP_1) | instskip(NEXT) | instid1(VALU_DEP_1)
	v_fmac_f64_e32 v[20:21], v[20:21], v[22:23]
	v_fma_f64 v[22:23], -v[18:19], v[20:21], 1.0
	s_delay_alu instid0(VALU_DEP_1) | instskip(NEXT) | instid1(VALU_DEP_1)
	v_fmac_f64_e32 v[20:21], v[20:21], v[22:23]
	v_mul_f64_e32 v[22:23], v[26:27], v[20:21]
	s_delay_alu instid0(VALU_DEP_1) | instskip(NEXT) | instid1(VALU_DEP_1)
	v_fma_f64 v[18:19], -v[18:19], v[22:23], v[26:27]
	v_div_fmas_f64 v[18:19], v[18:19], v[20:21], v[22:23]
	v_fma_f64 v[20:21], 0, v[6:7], v[8:9]
	v_fma_f64 v[22:23], v[8:9], 0, -v[6:7]
	s_delay_alu instid0(VALU_DEP_3) | instskip(NEXT) | instid1(VALU_DEP_1)
	v_div_fixup_f64 v[16:17], v[18:19], v[16:17], 1.0
	v_mul_f64_e32 v[18:19], v[20:21], v[16:17]
	s_delay_alu instid0(VALU_DEP_3)
	v_mul_f64_e32 v[16:17], v[22:23], v[16:17]
.LBB36_27:                              ;   in Loop: Header=BB36_11 Depth=1
	s_mov_b32 s23, 0
.LBB36_28:                              ;   in Loop: Header=BB36_11 Depth=1
	s_mov_b32 s28, 4
	s_branch .LBB36_17
.LBB36_29:                              ;   in Loop: Header=BB36_11 Depth=1
	s_cmp_eq_u32 s5, 0
	s_cbranch_scc1 .LBB36_31
; %bb.30:                               ;   in Loop: Header=BB36_11 Depth=1
	s_mov_b32 s23, -1
	s_branch .LBB36_33
.LBB36_31:                              ;   in Loop: Header=BB36_11 Depth=1
	s_cmp_le_i32 s22, s16
	s_mov_b32 s23, 0
	s_cbranch_scc0 .LBB36_33
; %bb.32:                               ;   in Loop: Header=BB36_11 Depth=1
	s_mov_b32 s0, -1
	s_mov_b32 s23, s1
.LBB36_33:                              ;   in Loop: Header=BB36_11 Depth=1
	v_mov_b64_e32 v[16:17], v[12:13]
	v_mov_b64_e32 v[18:19], v[14:15]
	s_mov_b32 s28, 2
	v_mov_b64_e32 v[22:23], v[4:5]
	v_mov_b64_e32 v[20:21], v[2:3]
	s_and_b32 vcc_lo, exec_lo, s23
	s_cbranch_vccz .LBB36_18
.LBB36_34:                              ;   in Loop: Header=BB36_11 Depth=1
	s_and_saveexec_b32 s23, s3
	s_cbranch_execz .LBB36_36
; %bb.35:                               ;   in Loop: Header=BB36_11 Depth=1
	s_add_co_i32 s0, s22, s7
	s_delay_alu instid0(SALU_CYCLE_1)
	v_mov_b32_e32 v16, s0
	global_load_b32 v16, v16, s[20:21] scale_offset scope:SCOPE_DEV
	s_wait_loadcnt 0x0
	v_cmp_ne_u32_e32 vcc_lo, 0, v16
	s_cbranch_vccz .LBB36_45
.LBB36_36:                              ;   in Loop: Header=BB36_11 Depth=1
	s_wait_xcnt 0x0
	s_or_b32 exec_lo, exec_lo, s23
	v_mov_b64_e32 v[22:23], 0
	v_mov_b64_e32 v[20:21], 0
	s_wait_storecnt 0x0
	s_barrier_signal -1
	s_barrier_wait -1
	global_inv scope:SCOPE_DEV
	s_and_saveexec_b32 s0, s2
	s_cbranch_execz .LBB36_38
; %bb.37:                               ;   in Loop: Header=BB36_11 Depth=1
	s_ashr_i32 s23, s22, 31
	s_delay_alu instid0(SALU_CYCLE_1) | instskip(NEXT) | instid1(SALU_CYCLE_1)
	s_mul_u64 s[22:23], s[10:11], s[22:23]
	v_lshl_add_u64 v[16:17], s[22:23], 4, v[10:11]
	global_load_b128 v[16:19], v[16:17], off
	s_wait_loadcnt 0x0
	v_fma_f64 v[20:21], -v[8:9], v[16:17], v[2:3]
	v_fma_f64 v[16:17], -v[6:7], v[16:17], v[4:5]
	s_delay_alu instid0(VALU_DEP_2) | instskip(NEXT) | instid1(VALU_DEP_2)
	v_fmac_f64_e32 v[20:21], v[6:7], v[18:19]
	v_fma_f64 v[22:23], -v[8:9], v[18:19], v[16:17]
.LBB36_38:                              ;   in Loop: Header=BB36_11 Depth=1
	s_or_b32 exec_lo, exec_lo, s0
	v_mov_b64_e32 v[16:17], v[12:13]
	v_mov_b64_e32 v[18:19], v[14:15]
	s_mov_b32 s28, 0
	s_branch .LBB36_19
.LBB36_39:                              ;   in Loop: Header=BB36_11 Depth=1
	s_and_not1_b32 vcc_lo, exec_lo, s25
	s_cbranch_vccnz .LBB36_41
; %bb.40:                               ;   in Loop: Header=BB36_11 Depth=1
	v_mul_f64_e32 v[12:13], v[6:7], v[6:7]
	s_delay_alu instid0(VALU_DEP_1) | instskip(NEXT) | instid1(VALU_DEP_1)
	v_fmac_f64_e32 v[12:13], v[8:9], v[8:9]
	v_div_scale_f64 v[14:15], null, v[12:13], v[12:13], 1.0
	v_div_scale_f64 v[20:21], vcc_lo, 1.0, v[12:13], 1.0
	s_delay_alu instid0(VALU_DEP_2) | instskip(SKIP_1) | instid1(TRANS32_DEP_1)
	v_rcp_f64_e32 v[16:17], v[14:15]
	v_nop
	v_fma_f64 v[18:19], -v[14:15], v[16:17], 1.0
	s_delay_alu instid0(VALU_DEP_1) | instskip(NEXT) | instid1(VALU_DEP_1)
	v_fmac_f64_e32 v[16:17], v[16:17], v[18:19]
	v_fma_f64 v[18:19], -v[14:15], v[16:17], 1.0
	s_delay_alu instid0(VALU_DEP_1) | instskip(NEXT) | instid1(VALU_DEP_1)
	v_fmac_f64_e32 v[16:17], v[16:17], v[18:19]
	v_mul_f64_e32 v[18:19], v[20:21], v[16:17]
	s_delay_alu instid0(VALU_DEP_1) | instskip(NEXT) | instid1(VALU_DEP_1)
	v_fma_f64 v[14:15], -v[14:15], v[18:19], v[20:21]
	v_div_fmas_f64 v[14:15], v[14:15], v[16:17], v[18:19]
	v_fma_f64 v[16:17], 0, v[6:7], v[8:9]
	v_fma_f64 v[6:7], v[8:9], 0, -v[6:7]
	s_delay_alu instid0(VALU_DEP_3) | instskip(NEXT) | instid1(VALU_DEP_1)
	v_div_fixup_f64 v[12:13], v[14:15], v[12:13], 1.0
	v_mul_f64_e32 v[14:15], v[16:17], v[12:13]
	s_delay_alu instid0(VALU_DEP_3)
	v_mul_f64_e32 v[12:13], v[6:7], v[12:13]
.LBB36_41:                              ;   in Loop: Header=BB36_11 Depth=1
	s_delay_alu instid0(VALU_DEP_2) | instskip(NEXT) | instid1(VALU_DEP_2)
	v_mov_b64_e32 v[18:19], v[14:15]
	v_mov_b64_e32 v[16:17], v[12:13]
	;; [unrolled: 1-line block ×4, first 2 shown]
	s_mov_b32 s28, 2
	s_mov_b32 s0, -1
	s_cmp_gt_i32 s28, 3
	s_mov_b32 s1, -1
	s_cbranch_scc1 .LBB36_20
.LBB36_42:                              ;   in Loop: Header=BB36_11 Depth=1
	s_cmp_eq_u32 s28, 0
	s_cselect_b32 s1, -1, 0
	s_delay_alu instid0(SALU_CYCLE_1)
	s_and_not1_b32 vcc_lo, exec_lo, s1
	s_cbranch_vccnz .LBB36_21
.LBB36_43:                              ;   in Loop: Header=BB36_11 Depth=1
	s_add_co_i32 s27, s27, 1
	s_delay_alu instid0(SALU_CYCLE_1) | instskip(SKIP_1) | instid1(VALU_DEP_1)
	s_cmp_ge_i32 s27, s24
	s_cselect_b32 s0, -1, 0
	v_mov_b64_e32 v[4:5], v[22:23]
	s_delay_alu instid0(VALU_DEP_2)
	v_mov_b64_e32 v[2:3], v[20:21]
	s_and_not1_b32 vcc_lo, exec_lo, s0
	s_cbranch_vccz .LBB36_54
.LBB36_44:                              ;   in Loop: Header=BB36_11 Depth=1
	s_delay_alu instid0(VALU_DEP_4) | instskip(NEXT) | instid1(VALU_DEP_4)
	v_mov_b64_e32 v[12:13], v[16:17]
	v_mov_b64_e32 v[14:15], v[18:19]
	s_sub_co_i32 s0, s27, s17
	s_delay_alu instid0(SALU_CYCLE_1) | instskip(NEXT) | instid1(SALU_CYCLE_1)
	s_and_b32 s1, s0, 0x7f
	s_cmp_lg_u32 s1, 0
	s_cbranch_scc1 .LBB36_11
	s_branch .LBB36_8
.LBB36_45:                              ;   in Loop: Header=BB36_11 Depth=1
	s_ashr_i32 s1, s0, 31
	s_mov_b32 s28, 0
	s_lshl_b64 s[0:1], s[0:1], 2
	s_delay_alu instid0(SALU_CYCLE_1)
	s_add_nc_u64 s[0:1], s[20:21], s[0:1]
	s_branch .LBB36_47
.LBB36_46:                              ;   in Loop: Header=BB36_47 Depth=2
	global_load_b32 v16, v25, s[0:1] scope:SCOPE_DEV
	s_cmp_lt_u32 s28, 0xf43
	s_cselect_b32 s29, -1, 0
	s_delay_alu instid0(SALU_CYCLE_1)
	s_cmp_lg_u32 s29, 0
	s_add_co_ci_u32 s28, s28, 0
	s_wait_loadcnt 0x0
	v_cmp_ne_u32_e32 vcc_lo, 0, v16
	s_cbranch_vccnz .LBB36_36
.LBB36_47:                              ;   Parent Loop BB36_11 Depth=1
                                        ; =>  This Loop Header: Depth=2
                                        ;       Child Loop BB36_48 Depth 3
	s_cmp_eq_u32 s28, 0
	s_mov_b32 s29, s28
	s_cbranch_scc1 .LBB36_46
.LBB36_48:                              ;   Parent Loop BB36_11 Depth=1
                                        ;     Parent Loop BB36_47 Depth=2
                                        ; =>    This Inner Loop Header: Depth=3
	s_add_co_i32 s29, s29, -1
	s_sleep 1
	s_cmp_eq_u32 s29, 0
	s_cbranch_scc0 .LBB36_48
	s_branch .LBB36_46
.LBB36_49:
                                        ; implicit-def: $vgpr4_vgpr5
	s_load_b64 s[20:21], s[0:1], 0x48
.LBB36_50:
	v_mov_b64_e32 v[4:5], 0
	v_mov_b64_e32 v[2:3], 0
	s_and_saveexec_b32 s3, s2
	s_cbranch_execz .LBB36_52
; %bb.51:
	v_lshl_add_u64 v[2:3], v[12:13], 4, s[8:9]
	global_load_b128 v[12:15], v[2:3], off
	s_wait_loadcnt_dscnt 0x0
	v_mul_f64_e32 v[2:3], v[8:9], v[14:15]
	v_mul_f64_e64 v[4:5], v[6:7], -v[14:15]
	s_delay_alu instid0(VALU_DEP_2) | instskip(NEXT) | instid1(VALU_DEP_2)
	v_fmac_f64_e32 v[2:3], v[6:7], v[12:13]
	v_fmac_f64_e32 v[4:5], v[8:9], v[12:13]
.LBB36_52:
	s_or_b32 exec_lo, exec_lo, s3
	v_lshl_add_u64 v[10:11], v[10:11], 4, s[8:9]
	v_cmp_eq_u32_e64 s3, 0, v0
	s_wait_kmcnt 0x0
	s_cmp_ge_i32 s22, s23
	s_cbranch_scc0 .LBB36_7
.LBB36_53:
	v_mov_b64_e32 v[18:19], 1.0
	v_mov_b64_e32 v[16:17], 0
.LBB36_54:
	s_cmp_lg_u32 s6, 0
	s_cbranch_scc0 .LBB36_60
; %bb.55:
	s_and_saveexec_b32 s0, s2
	s_cbranch_execz .LBB36_57
.LBB36_56:
	s_wait_loadcnt_dscnt 0x0
	v_lshl_add_u64 v[6:7], s[18:19], 4, v[10:11]
	global_store_b128 v[6:7], v[2:5], off
.LBB36_57:
	s_wait_xcnt 0x0
	s_or_b32 exec_lo, exec_lo, s0
	global_wb scope:SCOPE_DEV
	s_wait_storecnt 0x0
	s_wait_loadcnt_dscnt 0x0
	global_inv scope:SCOPE_DEV
	s_wait_loadcnt 0x0
	s_barrier_signal -1
	s_barrier_wait -1
	s_mov_b32 s0, exec_lo
	v_cmpx_eq_u32_e32 0, v0
	s_cbranch_execz .LBB36_59
; %bb.58:
	s_add_co_i32 s0, s16, s7
	s_delay_alu instid0(SALU_CYCLE_1)
	v_dual_mov_b32 v0, 1 :: v_dual_mov_b32 v1, s0
	global_store_b32 v1, v0, s[20:21] scale_offset scope:SCOPE_DEV
.LBB36_59:
	s_endpgm
.LBB36_60:
	s_wait_loadcnt_dscnt 0x0
	s_delay_alu instid0(VALU_DEP_1) | instskip(SKIP_1) | instid1(VALU_DEP_2)
	v_mul_f64_e64 v[6:7], v[16:17], -v[4:5]
	v_mul_f64_e32 v[8:9], v[16:17], v[2:3]
	v_fmac_f64_e32 v[6:7], v[2:3], v[18:19]
	s_delay_alu instid0(VALU_DEP_2) | instskip(NEXT) | instid1(VALU_DEP_2)
	v_fmac_f64_e32 v[8:9], v[4:5], v[18:19]
	v_mov_b64_e32 v[2:3], v[6:7]
	s_delay_alu instid0(VALU_DEP_2)
	v_mov_b64_e32 v[4:5], v[8:9]
	s_and_saveexec_b32 s0, s2
	s_cbranch_execnz .LBB36_56
	s_branch .LBB36_57
	.section	.rodata,"a",@progbits
	.p2align	6, 0x0
	.amdhsa_kernel _ZN9rocsparseL5csrsmILj128ELj64ELb1Eii21rocsparse_complex_numIdEEEv20rocsparse_operation_T3_S4_NS_24const_host_device_scalarIT4_EEPKT2_PKS4_PKS6_PS6_lPiSC_PS4_21rocsparse_index_base_20rocsparse_fill_mode_20rocsparse_diag_type_b
		.amdhsa_group_segment_fixed_size 2560
		.amdhsa_private_segment_fixed_size 16
		.amdhsa_kernarg_size 112
		.amdhsa_user_sgpr_count 2
		.amdhsa_user_sgpr_dispatch_ptr 0
		.amdhsa_user_sgpr_queue_ptr 0
		.amdhsa_user_sgpr_kernarg_segment_ptr 1
		.amdhsa_user_sgpr_dispatch_id 0
		.amdhsa_user_sgpr_kernarg_preload_length 0
		.amdhsa_user_sgpr_kernarg_preload_offset 0
		.amdhsa_user_sgpr_private_segment_size 0
		.amdhsa_wavefront_size32 1
		.amdhsa_uses_dynamic_stack 0
		.amdhsa_enable_private_segment 1
		.amdhsa_system_sgpr_workgroup_id_x 1
		.amdhsa_system_sgpr_workgroup_id_y 0
		.amdhsa_system_sgpr_workgroup_id_z 0
		.amdhsa_system_sgpr_workgroup_info 0
		.amdhsa_system_vgpr_workitem_id 0
		.amdhsa_next_free_vgpr 28
		.amdhsa_next_free_sgpr 30
		.amdhsa_named_barrier_count 0
		.amdhsa_reserve_vcc 1
		.amdhsa_float_round_mode_32 0
		.amdhsa_float_round_mode_16_64 0
		.amdhsa_float_denorm_mode_32 3
		.amdhsa_float_denorm_mode_16_64 3
		.amdhsa_fp16_overflow 0
		.amdhsa_memory_ordered 1
		.amdhsa_forward_progress 1
		.amdhsa_inst_pref_size 18
		.amdhsa_round_robin_scheduling 0
		.amdhsa_exception_fp_ieee_invalid_op 0
		.amdhsa_exception_fp_denorm_src 0
		.amdhsa_exception_fp_ieee_div_zero 0
		.amdhsa_exception_fp_ieee_overflow 0
		.amdhsa_exception_fp_ieee_underflow 0
		.amdhsa_exception_fp_ieee_inexact 0
		.amdhsa_exception_int_div_zero 0
	.end_amdhsa_kernel
	.section	.text._ZN9rocsparseL5csrsmILj128ELj64ELb1Eii21rocsparse_complex_numIdEEEv20rocsparse_operation_T3_S4_NS_24const_host_device_scalarIT4_EEPKT2_PKS4_PKS6_PS6_lPiSC_PS4_21rocsparse_index_base_20rocsparse_fill_mode_20rocsparse_diag_type_b,"axG",@progbits,_ZN9rocsparseL5csrsmILj128ELj64ELb1Eii21rocsparse_complex_numIdEEEv20rocsparse_operation_T3_S4_NS_24const_host_device_scalarIT4_EEPKT2_PKS4_PKS6_PS6_lPiSC_PS4_21rocsparse_index_base_20rocsparse_fill_mode_20rocsparse_diag_type_b,comdat
.Lfunc_end36:
	.size	_ZN9rocsparseL5csrsmILj128ELj64ELb1Eii21rocsparse_complex_numIdEEEv20rocsparse_operation_T3_S4_NS_24const_host_device_scalarIT4_EEPKT2_PKS4_PKS6_PS6_lPiSC_PS4_21rocsparse_index_base_20rocsparse_fill_mode_20rocsparse_diag_type_b, .Lfunc_end36-_ZN9rocsparseL5csrsmILj128ELj64ELb1Eii21rocsparse_complex_numIdEEEv20rocsparse_operation_T3_S4_NS_24const_host_device_scalarIT4_EEPKT2_PKS4_PKS6_PS6_lPiSC_PS4_21rocsparse_index_base_20rocsparse_fill_mode_20rocsparse_diag_type_b
                                        ; -- End function
	.set _ZN9rocsparseL5csrsmILj128ELj64ELb1Eii21rocsparse_complex_numIdEEEv20rocsparse_operation_T3_S4_NS_24const_host_device_scalarIT4_EEPKT2_PKS4_PKS6_PS6_lPiSC_PS4_21rocsparse_index_base_20rocsparse_fill_mode_20rocsparse_diag_type_b.num_vgpr, 28
	.set _ZN9rocsparseL5csrsmILj128ELj64ELb1Eii21rocsparse_complex_numIdEEEv20rocsparse_operation_T3_S4_NS_24const_host_device_scalarIT4_EEPKT2_PKS4_PKS6_PS6_lPiSC_PS4_21rocsparse_index_base_20rocsparse_fill_mode_20rocsparse_diag_type_b.num_agpr, 0
	.set _ZN9rocsparseL5csrsmILj128ELj64ELb1Eii21rocsparse_complex_numIdEEEv20rocsparse_operation_T3_S4_NS_24const_host_device_scalarIT4_EEPKT2_PKS4_PKS6_PS6_lPiSC_PS4_21rocsparse_index_base_20rocsparse_fill_mode_20rocsparse_diag_type_b.numbered_sgpr, 30
	.set _ZN9rocsparseL5csrsmILj128ELj64ELb1Eii21rocsparse_complex_numIdEEEv20rocsparse_operation_T3_S4_NS_24const_host_device_scalarIT4_EEPKT2_PKS4_PKS6_PS6_lPiSC_PS4_21rocsparse_index_base_20rocsparse_fill_mode_20rocsparse_diag_type_b.num_named_barrier, 0
	.set _ZN9rocsparseL5csrsmILj128ELj64ELb1Eii21rocsparse_complex_numIdEEEv20rocsparse_operation_T3_S4_NS_24const_host_device_scalarIT4_EEPKT2_PKS4_PKS6_PS6_lPiSC_PS4_21rocsparse_index_base_20rocsparse_fill_mode_20rocsparse_diag_type_b.private_seg_size, 16
	.set _ZN9rocsparseL5csrsmILj128ELj64ELb1Eii21rocsparse_complex_numIdEEEv20rocsparse_operation_T3_S4_NS_24const_host_device_scalarIT4_EEPKT2_PKS4_PKS6_PS6_lPiSC_PS4_21rocsparse_index_base_20rocsparse_fill_mode_20rocsparse_diag_type_b.uses_vcc, 1
	.set _ZN9rocsparseL5csrsmILj128ELj64ELb1Eii21rocsparse_complex_numIdEEEv20rocsparse_operation_T3_S4_NS_24const_host_device_scalarIT4_EEPKT2_PKS4_PKS6_PS6_lPiSC_PS4_21rocsparse_index_base_20rocsparse_fill_mode_20rocsparse_diag_type_b.uses_flat_scratch, 0
	.set _ZN9rocsparseL5csrsmILj128ELj64ELb1Eii21rocsparse_complex_numIdEEEv20rocsparse_operation_T3_S4_NS_24const_host_device_scalarIT4_EEPKT2_PKS4_PKS6_PS6_lPiSC_PS4_21rocsparse_index_base_20rocsparse_fill_mode_20rocsparse_diag_type_b.has_dyn_sized_stack, 0
	.set _ZN9rocsparseL5csrsmILj128ELj64ELb1Eii21rocsparse_complex_numIdEEEv20rocsparse_operation_T3_S4_NS_24const_host_device_scalarIT4_EEPKT2_PKS4_PKS6_PS6_lPiSC_PS4_21rocsparse_index_base_20rocsparse_fill_mode_20rocsparse_diag_type_b.has_recursion, 0
	.set _ZN9rocsparseL5csrsmILj128ELj64ELb1Eii21rocsparse_complex_numIdEEEv20rocsparse_operation_T3_S4_NS_24const_host_device_scalarIT4_EEPKT2_PKS4_PKS6_PS6_lPiSC_PS4_21rocsparse_index_base_20rocsparse_fill_mode_20rocsparse_diag_type_b.has_indirect_call, 0
	.section	.AMDGPU.csdata,"",@progbits
; Kernel info:
; codeLenInByte = 2192
; TotalNumSgprs: 32
; NumVgprs: 28
; ScratchSize: 16
; MemoryBound: 0
; FloatMode: 240
; IeeeMode: 1
; LDSByteSize: 2560 bytes/workgroup (compile time only)
; SGPRBlocks: 0
; VGPRBlocks: 1
; NumSGPRsForWavesPerEU: 32
; NumVGPRsForWavesPerEU: 28
; NamedBarCnt: 0
; Occupancy: 16
; WaveLimiterHint : 1
; COMPUTE_PGM_RSRC2:SCRATCH_EN: 1
; COMPUTE_PGM_RSRC2:USER_SGPR: 2
; COMPUTE_PGM_RSRC2:TRAP_HANDLER: 0
; COMPUTE_PGM_RSRC2:TGID_X_EN: 1
; COMPUTE_PGM_RSRC2:TGID_Y_EN: 0
; COMPUTE_PGM_RSRC2:TGID_Z_EN: 0
; COMPUTE_PGM_RSRC2:TIDIG_COMP_CNT: 0
	.section	.text._ZN9rocsparseL5csrsmILj128ELj64ELb0Eii21rocsparse_complex_numIdEEEv20rocsparse_operation_T3_S4_NS_24const_host_device_scalarIT4_EEPKT2_PKS4_PKS6_PS6_lPiSC_PS4_21rocsparse_index_base_20rocsparse_fill_mode_20rocsparse_diag_type_b,"axG",@progbits,_ZN9rocsparseL5csrsmILj128ELj64ELb0Eii21rocsparse_complex_numIdEEEv20rocsparse_operation_T3_S4_NS_24const_host_device_scalarIT4_EEPKT2_PKS4_PKS6_PS6_lPiSC_PS4_21rocsparse_index_base_20rocsparse_fill_mode_20rocsparse_diag_type_b,comdat
	.globl	_ZN9rocsparseL5csrsmILj128ELj64ELb0Eii21rocsparse_complex_numIdEEEv20rocsparse_operation_T3_S4_NS_24const_host_device_scalarIT4_EEPKT2_PKS4_PKS6_PS6_lPiSC_PS4_21rocsparse_index_base_20rocsparse_fill_mode_20rocsparse_diag_type_b ; -- Begin function _ZN9rocsparseL5csrsmILj128ELj64ELb0Eii21rocsparse_complex_numIdEEEv20rocsparse_operation_T3_S4_NS_24const_host_device_scalarIT4_EEPKT2_PKS4_PKS6_PS6_lPiSC_PS4_21rocsparse_index_base_20rocsparse_fill_mode_20rocsparse_diag_type_b
	.p2align	8
	.type	_ZN9rocsparseL5csrsmILj128ELj64ELb0Eii21rocsparse_complex_numIdEEEv20rocsparse_operation_T3_S4_NS_24const_host_device_scalarIT4_EEPKT2_PKS4_PKS6_PS6_lPiSC_PS4_21rocsparse_index_base_20rocsparse_fill_mode_20rocsparse_diag_type_b,@function
_ZN9rocsparseL5csrsmILj128ELj64ELb0Eii21rocsparse_complex_numIdEEEv20rocsparse_operation_T3_S4_NS_24const_host_device_scalarIT4_EEPKT2_PKS4_PKS6_PS6_lPiSC_PS4_21rocsparse_index_base_20rocsparse_fill_mode_20rocsparse_diag_type_b: ; @_ZN9rocsparseL5csrsmILj128ELj64ELb0Eii21rocsparse_complex_numIdEEEv20rocsparse_operation_T3_S4_NS_24const_host_device_scalarIT4_EEPKT2_PKS4_PKS6_PS6_lPiSC_PS4_21rocsparse_index_base_20rocsparse_fill_mode_20rocsparse_diag_type_b
; %bb.0:
	s_clause 0x1
	s_load_b128 s[4:7], s[0:1], 0x60
	s_load_b128 s[8:11], s[0:1], 0x10
	v_mbcnt_lo_u32_b32 v1, -1, 0
	s_clause 0x1
	s_load_b64 s[2:3], s[0:1], 0x20
	s_load_b64 s[16:17], s[0:1], 0x50
	s_delay_alu instid0(VALU_DEP_1) | instskip(NEXT) | instid1(VALU_DEP_1)
	v_dual_mov_b32 v2, 0 :: v_dual_lshlrev_b32 v3, 20, v1
	v_add_nc_u64_e32 v[2:3], src_flat_scratch_base_lo, v[2:3]
	s_wait_kmcnt 0x0
	s_bitcmp1_b32 s7, 0
	v_mov_b64_e32 v[4:5], s[8:9]
	s_cselect_b32 vcc_lo, -1, 0
	v_mov_b64_e32 v[8:9], s[10:11]
	s_delay_alu instid0(VALU_DEP_3)
	v_cndmask_b32_e32 v3, s9, v3, vcc_lo
	v_cndmask_b32_e32 v2, s8, v2, vcc_lo
	s_and_b32 vcc_lo, exec_lo, vcc_lo
	scratch_store_b64 off, v[4:5], off
	flat_load_b64 v[6:7], v[2:3]
	s_cbranch_vccnz .LBB37_2
; %bb.1:
	v_mov_b32_e32 v1, 0
	flat_load_b64 v[8:9], v1, s[8:9] offset:8
.LBB37_2:
	s_load_b96 s[12:14], s[0:1], 0x0
	s_bfe_u32 s9, ttmp6, 0x4000c
	s_and_b32 s8, ttmp6, 15
	s_add_co_i32 s9, s9, 1
	s_getreg_b32 s11, hwreg(HW_REG_IB_STS2, 6, 4)
	s_mul_i32 s9, ttmp9, s9
	s_delay_alu instid0(SALU_CYCLE_1) | instskip(SKIP_3) | instid1(SALU_CYCLE_2)
	s_add_co_i32 s8, s8, s9
	s_wait_kmcnt 0x0
	s_cvt_f32_u32 s7, s13
	s_sub_co_i32 s10, 0, s13
	v_rcp_iflag_f32_e32 v1, s7
	v_nop
	s_delay_alu instid0(TRANS32_DEP_1) | instskip(SKIP_1) | instid1(SALU_CYCLE_3)
	v_readfirstlane_b32 s7, v1
	s_mul_f32 s7, s7, 0x4f7ffffe
	s_cvt_u32_f32 s7, s7
	s_delay_alu instid0(SALU_CYCLE_3) | instskip(NEXT) | instid1(SALU_CYCLE_1)
	s_mul_i32 s10, s10, s7
	s_mul_hi_u32 s10, s7, s10
	s_delay_alu instid0(SALU_CYCLE_1) | instskip(SKIP_2) | instid1(SALU_CYCLE_1)
	s_add_co_i32 s7, s7, s10
	s_cmp_eq_u32 s11, 0
	s_cselect_b32 s8, ttmp9, s8
	s_mul_hi_u32 s7, s8, s7
	s_delay_alu instid0(SALU_CYCLE_1) | instskip(SKIP_2) | instid1(SALU_CYCLE_1)
	s_mul_i32 s9, s7, s13
	s_add_co_i32 s10, s7, 1
	s_sub_co_i32 s9, s8, s9
	s_sub_co_i32 s11, s9, s13
	s_cmp_ge_u32 s9, s13
	s_cselect_b32 s7, s10, s7
	s_cselect_b32 s9, s11, s9
	s_add_co_i32 s10, s7, 1
	s_cmp_ge_u32 s9, s13
	s_cselect_b32 s15, s10, s7
	s_delay_alu instid0(SALU_CYCLE_1) | instskip(SKIP_2) | instid1(SALU_CYCLE_1)
	s_mul_i32 s7, s15, s13
	v_lshl_or_b32 v10, s15, 7, v0
	s_sub_co_i32 s8, s8, s7
	s_ashr_i32 s9, s8, 31
	s_delay_alu instid0(VALU_DEP_1) | instskip(SKIP_1) | instid1(SALU_CYCLE_1)
	v_ashrrev_i32_e32 v11, 31, v10
	s_lshl_b64 s[8:9], s[8:9], 2
	s_add_nc_u64 s[18:19], s[16:17], s[8:9]
	s_load_b32 s16, s[18:19], 0x0
	s_load_b128 s[8:11], s[0:1], 0x38
	s_wait_kmcnt 0x0
	s_ashr_i32 s17, s16, 31
	s_delay_alu instid0(SALU_CYCLE_1)
	s_lshl_b64 s[18:19], s[16:17], 2
	s_cmp_lg_u32 s12, 0x71
	s_add_nc_u64 s[2:3], s[2:3], s[18:19]
	s_mul_u64 s[18:19], s[10:11], s[16:17]
	s_load_b64 s[22:23], s[2:3], 0x0
	v_add_nc_u64_e32 v[12:13], s[18:19], v[10:11]
	s_wait_xcnt 0x0
	v_cmp_gt_i32_e64 s2, s14, v10
	s_cbranch_scc0 .LBB37_47
; %bb.3:
	v_mov_b64_e32 v[4:5], 0
	v_mov_b64_e32 v[2:3], 0
	s_and_saveexec_b32 s3, s2
	s_cbranch_execz .LBB37_5
; %bb.4:
	v_lshl_add_u64 v[2:3], v[12:13], 4, s[8:9]
	global_load_b128 v[14:17], v[2:3], off
	s_wait_loadcnt_dscnt 0x0
	v_mul_f64_e64 v[2:3], v[16:17], -v[8:9]
	v_mul_f64_e32 v[4:5], v[6:7], v[16:17]
	s_delay_alu instid0(VALU_DEP_2) | instskip(NEXT) | instid1(VALU_DEP_2)
	v_fmac_f64_e32 v[2:3], v[6:7], v[14:15]
	v_fmac_f64_e32 v[4:5], v[8:9], v[14:15]
.LBB37_5:
	s_or_b32 exec_lo, exec_lo, s3
	s_load_b64 s[20:21], s[0:1], 0x48
	s_cbranch_execz .LBB37_48
; %bb.6:
	v_lshl_add_u64 v[10:11], v[10:11], 4, s[8:9]
	v_cmp_eq_u32_e64 s3, 0, v0
	s_wait_kmcnt 0x0
	s_cmp_ge_i32 s22, s23
	s_cbranch_scc1 .LBB37_51
.LBB37_7:
	s_clause 0x1
	s_load_b64 s[8:9], s[0:1], 0x58
	s_load_b128 s[12:15], s[0:1], 0x28
	v_mov_b64_e32 v[14:15], 1.0
	v_mov_b64_e32 v[12:13], 0
	s_sub_co_i32 s17, s22, s4
	s_sub_co_i32 s24, s23, s4
	v_lshl_or_b32 v1, v0, 2, 0x800
	v_dual_mov_b32 v25, 0 :: v_dual_lshlrev_b32 v24, 4, v0
	s_cmp_eq_u32 s6, 0
	s_mov_b32 s27, s17
	s_cselect_b32 s25, -1, 0
	s_add_co_i32 s26, s16, s4
	s_wait_xcnt 0x0
	s_sub_co_i32 s0, s27, s17
	s_delay_alu instid0(SALU_CYCLE_1) | instskip(NEXT) | instid1(SALU_CYCLE_1)
	s_and_b32 s1, s0, 0x7f
	s_cmp_lg_u32 s1, 0
	s_cbranch_scc1 .LBB37_11
.LBB37_8:
	s_sub_co_i32 s0, s24, s27
	s_wait_loadcnt_dscnt 0x0
	v_mov_b64_e32 v[6:7], -1.0
	v_mov_b64_e32 v[8:9], 0
	v_cmp_gt_u32_e32 vcc_lo, s0, v0
	v_mov_b32_e32 v16, -1
	s_and_saveexec_b32 s0, vcc_lo
	s_cbranch_execz .LBB37_10
; %bb.9:
	v_add_nc_u32_e32 v16, s27, v0
	s_wait_kmcnt 0x0
	s_clause 0x1
	global_load_b32 v17, v16, s[12:13] scale_offset
	global_load_b128 v[6:9], v16, s[14:15] scale_offset
	s_wait_loadcnt 0x1
	s_wait_xcnt 0x0
	v_subrev_nc_u32_e32 v16, s4, v17
.LBB37_10:
	s_or_b32 exec_lo, exec_lo, s0
	ds_store_b32 v1, v16
	s_wait_loadcnt 0x0
	ds_store_b128 v24, v[6:9]
.LBB37_11:                              ; =>This Loop Header: Depth=1
                                        ;     Child Loop BB37_37 Depth 2
	s_lshl_b32 s0, s1, 4
	s_wait_storecnt 0x0
	s_wait_loadcnt_dscnt 0x0
	v_mov_b32_e32 v6, s0
	s_barrier_signal -1
	s_barrier_wait -1
	s_lshl_b32 s1, s1, 2
	ds_load_b128 v[16:19], v6
	v_mov_b32_e32 v6, s1
	ds_load_b32 v6, v6 offset:2048
	s_wait_dscnt 0x1
	v_cmp_eq_f64_e32 vcc_lo, 0, v[16:17]
	v_cmp_eq_f64_e64 s0, 0, v[18:19]
	s_wait_dscnt 0x0
	v_readfirstlane_b32 s22, v6
	s_and_b32 s0, vcc_lo, s0
	s_cmp_eq_u32 s22, s16
	s_cselect_b32 s28, -1, 0
	s_cmp_lg_u32 s22, s16
	s_cselect_b32 s1, -1, 0
	s_and_b32 s0, s0, s28
	s_delay_alu instid0(SALU_CYCLE_1) | instskip(NEXT) | instid1(SALU_CYCLE_1)
	s_and_b32 s0, s25, s0
	v_cndmask_b32_e64 v7, v19, 0, s0
	v_cndmask_b32_e64 v6, v18, 0, s0
	;; [unrolled: 1-line block ×4, first 2 shown]
	s_and_b32 s23, s3, s0
	s_delay_alu instid0(SALU_CYCLE_1)
	s_and_saveexec_b32 s0, s23
	s_cbranch_execz .LBB37_15
; %bb.12:                               ;   in Loop: Header=BB37_11 Depth=1
	v_mbcnt_lo_u32_b32 v6, exec_lo, 0
	s_mov_b32 s23, exec_lo
	s_delay_alu instid0(VALU_DEP_1)
	v_cmpx_eq_u32_e32 0, v6
	s_cbranch_execz .LBB37_14
; %bb.13:                               ;   in Loop: Header=BB37_11 Depth=1
	v_mov_b32_e32 v6, s26
	s_wait_kmcnt 0x0
	global_atomic_min_i32 v25, v6, s[8:9] scope:SCOPE_DEV
.LBB37_14:                              ;   in Loop: Header=BB37_11 Depth=1
	s_wait_xcnt 0x0
	s_or_b32 exec_lo, exec_lo, s23
	v_mov_b64_e32 v[8:9], 1.0
	v_mov_b64_e32 v[6:7], 0
.LBB37_15:                              ;   in Loop: Header=BB37_11 Depth=1
	s_or_b32 exec_lo, exec_lo, s0
	s_mov_b32 s29, -1
	s_mov_b32 s0, 0
	s_cmp_lt_i32 s5, 1
	s_mov_b32 s23, 0
                                        ; implicit-def: $vgpr16_vgpr17
                                        ; implicit-def: $vgpr18_vgpr19
	s_cbranch_scc0 .LBB37_22
; %bb.16:                               ;   in Loop: Header=BB37_11 Depth=1
	s_and_b32 vcc_lo, exec_lo, s29
	s_mov_b32 s28, 4
	s_cbranch_vccnz .LBB37_29
.LBB37_17:                              ;   in Loop: Header=BB37_11 Depth=1
	v_mov_b64_e32 v[22:23], v[4:5]
	v_mov_b64_e32 v[20:21], v[2:3]
	s_and_b32 vcc_lo, exec_lo, s23
	s_cbranch_vccnz .LBB37_34
.LBB37_18:                              ;   in Loop: Header=BB37_11 Depth=1
	s_and_b32 vcc_lo, exec_lo, s0
	s_cbranch_vccnz .LBB37_41
.LBB37_19:                              ;   in Loop: Header=BB37_11 Depth=1
	s_mov_b32 s0, -1
	s_cmp_gt_i32 s28, 3
	s_mov_b32 s1, -1
	s_cbranch_scc0 .LBB37_44
.LBB37_20:                              ;   in Loop: Header=BB37_11 Depth=1
	s_and_not1_b32 vcc_lo, exec_lo, s1
	s_cbranch_vccz .LBB37_45
.LBB37_21:                              ;   in Loop: Header=BB37_11 Depth=1
	s_delay_alu instid0(VALU_DEP_1) | instskip(NEXT) | instid1(VALU_DEP_2)
	v_mov_b64_e32 v[4:5], v[22:23]
	v_mov_b64_e32 v[2:3], v[20:21]
	s_and_not1_b32 vcc_lo, exec_lo, s0
	s_cbranch_vccnz .LBB37_46
	s_branch .LBB37_52
.LBB37_22:                              ;   in Loop: Header=BB37_11 Depth=1
	s_cmp_eq_u32 s5, 1
	s_mov_b32 s23, -1
                                        ; implicit-def: $vgpr16_vgpr17
                                        ; implicit-def: $vgpr18_vgpr19
	s_cbranch_scc0 .LBB37_28
; %bb.23:                               ;   in Loop: Header=BB37_11 Depth=1
	v_mov_b64_e32 v[16:17], v[12:13]
	v_mov_b64_e32 v[18:19], v[14:15]
	s_cmp_ge_i32 s22, s16
	s_mov_b32 s23, 0
	s_cbranch_scc0 .LBB37_28
; %bb.24:                               ;   in Loop: Header=BB37_11 Depth=1
	s_and_b32 vcc_lo, exec_lo, s28
	s_mov_b32 s23, -1
                                        ; implicit-def: $vgpr16_vgpr17
                                        ; implicit-def: $vgpr18_vgpr19
	s_cbranch_vccz .LBB37_28
; %bb.25:                               ;   in Loop: Header=BB37_11 Depth=1
	v_mov_b64_e32 v[16:17], v[12:13]
	v_mov_b64_e32 v[18:19], v[14:15]
	s_and_not1_b32 vcc_lo, exec_lo, s25
	s_cbranch_vccnz .LBB37_27
; %bb.26:                               ;   in Loop: Header=BB37_11 Depth=1
	v_mul_f64_e32 v[16:17], v[6:7], v[6:7]
	s_delay_alu instid0(VALU_DEP_1) | instskip(NEXT) | instid1(VALU_DEP_1)
	v_fmac_f64_e32 v[16:17], v[8:9], v[8:9]
	v_div_scale_f64 v[18:19], null, v[16:17], v[16:17], 1.0
	v_div_scale_f64 v[26:27], vcc_lo, 1.0, v[16:17], 1.0
	s_delay_alu instid0(VALU_DEP_2) | instskip(SKIP_1) | instid1(TRANS32_DEP_1)
	v_rcp_f64_e32 v[20:21], v[18:19]
	v_nop
	v_fma_f64 v[22:23], -v[18:19], v[20:21], 1.0
	s_delay_alu instid0(VALU_DEP_1) | instskip(NEXT) | instid1(VALU_DEP_1)
	v_fmac_f64_e32 v[20:21], v[20:21], v[22:23]
	v_fma_f64 v[22:23], -v[18:19], v[20:21], 1.0
	s_delay_alu instid0(VALU_DEP_1) | instskip(NEXT) | instid1(VALU_DEP_1)
	v_fmac_f64_e32 v[20:21], v[20:21], v[22:23]
	v_mul_f64_e32 v[22:23], v[26:27], v[20:21]
	s_delay_alu instid0(VALU_DEP_1) | instskip(NEXT) | instid1(VALU_DEP_1)
	v_fma_f64 v[18:19], -v[18:19], v[22:23], v[26:27]
	v_div_fmas_f64 v[18:19], v[18:19], v[20:21], v[22:23]
	v_fma_f64 v[20:21], 0, v[6:7], v[8:9]
	v_fma_f64 v[22:23], v[8:9], 0, -v[6:7]
	s_delay_alu instid0(VALU_DEP_3) | instskip(NEXT) | instid1(VALU_DEP_1)
	v_div_fixup_f64 v[16:17], v[18:19], v[16:17], 1.0
	v_mul_f64_e32 v[18:19], v[20:21], v[16:17]
	s_delay_alu instid0(VALU_DEP_3)
	v_mul_f64_e32 v[16:17], v[22:23], v[16:17]
.LBB37_27:                              ;   in Loop: Header=BB37_11 Depth=1
	s_mov_b32 s23, 0
.LBB37_28:                              ;   in Loop: Header=BB37_11 Depth=1
	s_mov_b32 s28, 4
	s_branch .LBB37_17
.LBB37_29:                              ;   in Loop: Header=BB37_11 Depth=1
	s_cmp_eq_u32 s5, 0
	s_cbranch_scc1 .LBB37_31
; %bb.30:                               ;   in Loop: Header=BB37_11 Depth=1
	s_mov_b32 s23, -1
	s_branch .LBB37_33
.LBB37_31:                              ;   in Loop: Header=BB37_11 Depth=1
	s_cmp_le_i32 s22, s16
	s_mov_b32 s23, 0
	s_cbranch_scc0 .LBB37_33
; %bb.32:                               ;   in Loop: Header=BB37_11 Depth=1
	s_mov_b32 s0, -1
	s_mov_b32 s23, s1
.LBB37_33:                              ;   in Loop: Header=BB37_11 Depth=1
	v_mov_b64_e32 v[16:17], v[12:13]
	v_mov_b64_e32 v[18:19], v[14:15]
	s_mov_b32 s28, 2
	v_mov_b64_e32 v[22:23], v[4:5]
	v_mov_b64_e32 v[20:21], v[2:3]
	s_and_b32 vcc_lo, exec_lo, s23
	s_cbranch_vccz .LBB37_18
.LBB37_34:                              ;   in Loop: Header=BB37_11 Depth=1
	s_and_saveexec_b32 s23, s3
	s_cbranch_execz .LBB37_38
; %bb.35:                               ;   in Loop: Header=BB37_11 Depth=1
	s_add_co_i32 s0, s22, s7
	s_delay_alu instid0(SALU_CYCLE_1)
	v_mov_b32_e32 v16, s0
	global_load_b32 v16, v16, s[20:21] scale_offset scope:SCOPE_DEV
	s_wait_loadcnt 0x0
	v_cmp_ne_u32_e32 vcc_lo, 0, v16
	s_cbranch_vccnz .LBB37_38
; %bb.36:                               ;   in Loop: Header=BB37_11 Depth=1
	s_ashr_i32 s1, s0, 31
	s_delay_alu instid0(SALU_CYCLE_1) | instskip(NEXT) | instid1(SALU_CYCLE_1)
	s_lshl_b64 s[0:1], s[0:1], 2
	s_add_nc_u64 s[0:1], s[20:21], s[0:1]
.LBB37_37:                              ;   Parent Loop BB37_11 Depth=1
                                        ; =>  This Inner Loop Header: Depth=2
	global_load_b32 v16, v25, s[0:1] scope:SCOPE_DEV
	s_wait_loadcnt 0x0
	v_cmp_eq_u32_e32 vcc_lo, 0, v16
	s_cbranch_vccnz .LBB37_37
.LBB37_38:                              ;   in Loop: Header=BB37_11 Depth=1
	s_wait_xcnt 0x0
	s_or_b32 exec_lo, exec_lo, s23
	v_mov_b64_e32 v[22:23], 0
	v_mov_b64_e32 v[20:21], 0
	s_wait_storecnt 0x0
	s_barrier_signal -1
	s_barrier_wait -1
	global_inv scope:SCOPE_DEV
	s_and_saveexec_b32 s0, s2
	s_cbranch_execz .LBB37_40
; %bb.39:                               ;   in Loop: Header=BB37_11 Depth=1
	s_ashr_i32 s23, s22, 31
	s_delay_alu instid0(SALU_CYCLE_1) | instskip(NEXT) | instid1(SALU_CYCLE_1)
	s_mul_u64 s[22:23], s[10:11], s[22:23]
	v_lshl_add_u64 v[16:17], s[22:23], 4, v[10:11]
	global_load_b128 v[16:19], v[16:17], off
	s_wait_loadcnt 0x0
	v_fma_f64 v[20:21], -v[8:9], v[16:17], v[2:3]
	v_fma_f64 v[16:17], -v[6:7], v[16:17], v[4:5]
	s_delay_alu instid0(VALU_DEP_2) | instskip(NEXT) | instid1(VALU_DEP_2)
	v_fmac_f64_e32 v[20:21], v[6:7], v[18:19]
	v_fma_f64 v[22:23], -v[8:9], v[18:19], v[16:17]
.LBB37_40:                              ;   in Loop: Header=BB37_11 Depth=1
	s_or_b32 exec_lo, exec_lo, s0
	v_mov_b64_e32 v[16:17], v[12:13]
	v_mov_b64_e32 v[18:19], v[14:15]
	s_mov_b32 s28, 0
	s_branch .LBB37_19
.LBB37_41:                              ;   in Loop: Header=BB37_11 Depth=1
	s_and_not1_b32 vcc_lo, exec_lo, s25
	s_cbranch_vccnz .LBB37_43
; %bb.42:                               ;   in Loop: Header=BB37_11 Depth=1
	v_mul_f64_e32 v[12:13], v[6:7], v[6:7]
	s_delay_alu instid0(VALU_DEP_1) | instskip(NEXT) | instid1(VALU_DEP_1)
	v_fmac_f64_e32 v[12:13], v[8:9], v[8:9]
	v_div_scale_f64 v[14:15], null, v[12:13], v[12:13], 1.0
	v_div_scale_f64 v[20:21], vcc_lo, 1.0, v[12:13], 1.0
	s_delay_alu instid0(VALU_DEP_2) | instskip(SKIP_1) | instid1(TRANS32_DEP_1)
	v_rcp_f64_e32 v[16:17], v[14:15]
	v_nop
	v_fma_f64 v[18:19], -v[14:15], v[16:17], 1.0
	s_delay_alu instid0(VALU_DEP_1) | instskip(NEXT) | instid1(VALU_DEP_1)
	v_fmac_f64_e32 v[16:17], v[16:17], v[18:19]
	v_fma_f64 v[18:19], -v[14:15], v[16:17], 1.0
	s_delay_alu instid0(VALU_DEP_1) | instskip(NEXT) | instid1(VALU_DEP_1)
	v_fmac_f64_e32 v[16:17], v[16:17], v[18:19]
	v_mul_f64_e32 v[18:19], v[20:21], v[16:17]
	s_delay_alu instid0(VALU_DEP_1) | instskip(NEXT) | instid1(VALU_DEP_1)
	v_fma_f64 v[14:15], -v[14:15], v[18:19], v[20:21]
	v_div_fmas_f64 v[14:15], v[14:15], v[16:17], v[18:19]
	v_fma_f64 v[16:17], 0, v[6:7], v[8:9]
	v_fma_f64 v[6:7], v[8:9], 0, -v[6:7]
	s_delay_alu instid0(VALU_DEP_3) | instskip(NEXT) | instid1(VALU_DEP_1)
	v_div_fixup_f64 v[12:13], v[14:15], v[12:13], 1.0
	v_mul_f64_e32 v[14:15], v[16:17], v[12:13]
	s_delay_alu instid0(VALU_DEP_3)
	v_mul_f64_e32 v[12:13], v[6:7], v[12:13]
.LBB37_43:                              ;   in Loop: Header=BB37_11 Depth=1
	s_delay_alu instid0(VALU_DEP_2) | instskip(NEXT) | instid1(VALU_DEP_2)
	v_mov_b64_e32 v[18:19], v[14:15]
	v_mov_b64_e32 v[16:17], v[12:13]
	v_mov_b64_e32 v[20:21], v[2:3]
	v_mov_b64_e32 v[22:23], v[4:5]
	s_mov_b32 s28, 2
	s_mov_b32 s0, -1
	s_cmp_gt_i32 s28, 3
	s_mov_b32 s1, -1
	s_cbranch_scc1 .LBB37_20
.LBB37_44:                              ;   in Loop: Header=BB37_11 Depth=1
	s_cmp_eq_u32 s28, 0
	s_cselect_b32 s1, -1, 0
	s_delay_alu instid0(SALU_CYCLE_1)
	s_and_not1_b32 vcc_lo, exec_lo, s1
	s_cbranch_vccnz .LBB37_21
.LBB37_45:                              ;   in Loop: Header=BB37_11 Depth=1
	s_add_co_i32 s27, s27, 1
	s_delay_alu instid0(SALU_CYCLE_1) | instskip(SKIP_1) | instid1(VALU_DEP_1)
	s_cmp_ge_i32 s27, s24
	s_cselect_b32 s0, -1, 0
	v_mov_b64_e32 v[4:5], v[22:23]
	s_delay_alu instid0(VALU_DEP_2)
	v_mov_b64_e32 v[2:3], v[20:21]
	s_and_not1_b32 vcc_lo, exec_lo, s0
	s_cbranch_vccz .LBB37_52
.LBB37_46:                              ;   in Loop: Header=BB37_11 Depth=1
	s_delay_alu instid0(VALU_DEP_4) | instskip(NEXT) | instid1(VALU_DEP_4)
	v_mov_b64_e32 v[12:13], v[16:17]
	v_mov_b64_e32 v[14:15], v[18:19]
	s_sub_co_i32 s0, s27, s17
	s_delay_alu instid0(SALU_CYCLE_1) | instskip(NEXT) | instid1(SALU_CYCLE_1)
	s_and_b32 s1, s0, 0x7f
	s_cmp_lg_u32 s1, 0
	s_cbranch_scc1 .LBB37_11
	s_branch .LBB37_8
.LBB37_47:
                                        ; implicit-def: $vgpr4_vgpr5
	s_load_b64 s[20:21], s[0:1], 0x48
.LBB37_48:
	v_mov_b64_e32 v[4:5], 0
	v_mov_b64_e32 v[2:3], 0
	s_and_saveexec_b32 s3, s2
	s_cbranch_execz .LBB37_50
; %bb.49:
	v_lshl_add_u64 v[2:3], v[12:13], 4, s[8:9]
	global_load_b128 v[12:15], v[2:3], off
	s_wait_loadcnt_dscnt 0x0
	v_mul_f64_e32 v[2:3], v[8:9], v[14:15]
	v_mul_f64_e64 v[4:5], v[6:7], -v[14:15]
	s_delay_alu instid0(VALU_DEP_2) | instskip(NEXT) | instid1(VALU_DEP_2)
	v_fmac_f64_e32 v[2:3], v[6:7], v[12:13]
	v_fmac_f64_e32 v[4:5], v[8:9], v[12:13]
.LBB37_50:
	s_or_b32 exec_lo, exec_lo, s3
	v_lshl_add_u64 v[10:11], v[10:11], 4, s[8:9]
	v_cmp_eq_u32_e64 s3, 0, v0
	s_wait_kmcnt 0x0
	s_cmp_ge_i32 s22, s23
	s_cbranch_scc0 .LBB37_7
.LBB37_51:
	v_mov_b64_e32 v[18:19], 1.0
	v_mov_b64_e32 v[16:17], 0
.LBB37_52:
	s_cmp_lg_u32 s6, 0
	s_cbranch_scc0 .LBB37_58
; %bb.53:
	s_and_saveexec_b32 s0, s2
	s_cbranch_execz .LBB37_55
.LBB37_54:
	s_wait_loadcnt_dscnt 0x0
	v_lshl_add_u64 v[6:7], s[18:19], 4, v[10:11]
	global_store_b128 v[6:7], v[2:5], off
.LBB37_55:
	s_wait_xcnt 0x0
	s_or_b32 exec_lo, exec_lo, s0
	global_wb scope:SCOPE_DEV
	s_wait_storecnt 0x0
	s_wait_loadcnt_dscnt 0x0
	global_inv scope:SCOPE_DEV
	s_wait_loadcnt 0x0
	s_barrier_signal -1
	s_barrier_wait -1
	s_mov_b32 s0, exec_lo
	v_cmpx_eq_u32_e32 0, v0
	s_cbranch_execz .LBB37_57
; %bb.56:
	s_add_co_i32 s0, s16, s7
	s_delay_alu instid0(SALU_CYCLE_1)
	v_dual_mov_b32 v0, 1 :: v_dual_mov_b32 v1, s0
	global_store_b32 v1, v0, s[20:21] scale_offset scope:SCOPE_DEV
.LBB37_57:
	s_endpgm
.LBB37_58:
	s_wait_loadcnt_dscnt 0x0
	s_delay_alu instid0(VALU_DEP_1) | instskip(SKIP_1) | instid1(VALU_DEP_2)
	v_mul_f64_e64 v[6:7], v[16:17], -v[4:5]
	v_mul_f64_e32 v[8:9], v[16:17], v[2:3]
	v_fmac_f64_e32 v[6:7], v[2:3], v[18:19]
	s_delay_alu instid0(VALU_DEP_2) | instskip(NEXT) | instid1(VALU_DEP_2)
	v_fmac_f64_e32 v[8:9], v[4:5], v[18:19]
	v_mov_b64_e32 v[2:3], v[6:7]
	s_delay_alu instid0(VALU_DEP_2)
	v_mov_b64_e32 v[4:5], v[8:9]
	s_and_saveexec_b32 s0, s2
	s_cbranch_execnz .LBB37_54
	s_branch .LBB37_55
	.section	.rodata,"a",@progbits
	.p2align	6, 0x0
	.amdhsa_kernel _ZN9rocsparseL5csrsmILj128ELj64ELb0Eii21rocsparse_complex_numIdEEEv20rocsparse_operation_T3_S4_NS_24const_host_device_scalarIT4_EEPKT2_PKS4_PKS6_PS6_lPiSC_PS4_21rocsparse_index_base_20rocsparse_fill_mode_20rocsparse_diag_type_b
		.amdhsa_group_segment_fixed_size 2560
		.amdhsa_private_segment_fixed_size 16
		.amdhsa_kernarg_size 112
		.amdhsa_user_sgpr_count 2
		.amdhsa_user_sgpr_dispatch_ptr 0
		.amdhsa_user_sgpr_queue_ptr 0
		.amdhsa_user_sgpr_kernarg_segment_ptr 1
		.amdhsa_user_sgpr_dispatch_id 0
		.amdhsa_user_sgpr_kernarg_preload_length 0
		.amdhsa_user_sgpr_kernarg_preload_offset 0
		.amdhsa_user_sgpr_private_segment_size 0
		.amdhsa_wavefront_size32 1
		.amdhsa_uses_dynamic_stack 0
		.amdhsa_enable_private_segment 1
		.amdhsa_system_sgpr_workgroup_id_x 1
		.amdhsa_system_sgpr_workgroup_id_y 0
		.amdhsa_system_sgpr_workgroup_id_z 0
		.amdhsa_system_sgpr_workgroup_info 0
		.amdhsa_system_vgpr_workitem_id 0
		.amdhsa_next_free_vgpr 28
		.amdhsa_next_free_sgpr 30
		.amdhsa_named_barrier_count 0
		.amdhsa_reserve_vcc 1
		.amdhsa_float_round_mode_32 0
		.amdhsa_float_round_mode_16_64 0
		.amdhsa_float_denorm_mode_32 3
		.amdhsa_float_denorm_mode_16_64 3
		.amdhsa_fp16_overflow 0
		.amdhsa_memory_ordered 1
		.amdhsa_forward_progress 1
		.amdhsa_inst_pref_size 17
		.amdhsa_round_robin_scheduling 0
		.amdhsa_exception_fp_ieee_invalid_op 0
		.amdhsa_exception_fp_denorm_src 0
		.amdhsa_exception_fp_ieee_div_zero 0
		.amdhsa_exception_fp_ieee_overflow 0
		.amdhsa_exception_fp_ieee_underflow 0
		.amdhsa_exception_fp_ieee_inexact 0
		.amdhsa_exception_int_div_zero 0
	.end_amdhsa_kernel
	.section	.text._ZN9rocsparseL5csrsmILj128ELj64ELb0Eii21rocsparse_complex_numIdEEEv20rocsparse_operation_T3_S4_NS_24const_host_device_scalarIT4_EEPKT2_PKS4_PKS6_PS6_lPiSC_PS4_21rocsparse_index_base_20rocsparse_fill_mode_20rocsparse_diag_type_b,"axG",@progbits,_ZN9rocsparseL5csrsmILj128ELj64ELb0Eii21rocsparse_complex_numIdEEEv20rocsparse_operation_T3_S4_NS_24const_host_device_scalarIT4_EEPKT2_PKS4_PKS6_PS6_lPiSC_PS4_21rocsparse_index_base_20rocsparse_fill_mode_20rocsparse_diag_type_b,comdat
.Lfunc_end37:
	.size	_ZN9rocsparseL5csrsmILj128ELj64ELb0Eii21rocsparse_complex_numIdEEEv20rocsparse_operation_T3_S4_NS_24const_host_device_scalarIT4_EEPKT2_PKS4_PKS6_PS6_lPiSC_PS4_21rocsparse_index_base_20rocsparse_fill_mode_20rocsparse_diag_type_b, .Lfunc_end37-_ZN9rocsparseL5csrsmILj128ELj64ELb0Eii21rocsparse_complex_numIdEEEv20rocsparse_operation_T3_S4_NS_24const_host_device_scalarIT4_EEPKT2_PKS4_PKS6_PS6_lPiSC_PS4_21rocsparse_index_base_20rocsparse_fill_mode_20rocsparse_diag_type_b
                                        ; -- End function
	.set _ZN9rocsparseL5csrsmILj128ELj64ELb0Eii21rocsparse_complex_numIdEEEv20rocsparse_operation_T3_S4_NS_24const_host_device_scalarIT4_EEPKT2_PKS4_PKS6_PS6_lPiSC_PS4_21rocsparse_index_base_20rocsparse_fill_mode_20rocsparse_diag_type_b.num_vgpr, 28
	.set _ZN9rocsparseL5csrsmILj128ELj64ELb0Eii21rocsparse_complex_numIdEEEv20rocsparse_operation_T3_S4_NS_24const_host_device_scalarIT4_EEPKT2_PKS4_PKS6_PS6_lPiSC_PS4_21rocsparse_index_base_20rocsparse_fill_mode_20rocsparse_diag_type_b.num_agpr, 0
	.set _ZN9rocsparseL5csrsmILj128ELj64ELb0Eii21rocsparse_complex_numIdEEEv20rocsparse_operation_T3_S4_NS_24const_host_device_scalarIT4_EEPKT2_PKS4_PKS6_PS6_lPiSC_PS4_21rocsparse_index_base_20rocsparse_fill_mode_20rocsparse_diag_type_b.numbered_sgpr, 30
	.set _ZN9rocsparseL5csrsmILj128ELj64ELb0Eii21rocsparse_complex_numIdEEEv20rocsparse_operation_T3_S4_NS_24const_host_device_scalarIT4_EEPKT2_PKS4_PKS6_PS6_lPiSC_PS4_21rocsparse_index_base_20rocsparse_fill_mode_20rocsparse_diag_type_b.num_named_barrier, 0
	.set _ZN9rocsparseL5csrsmILj128ELj64ELb0Eii21rocsparse_complex_numIdEEEv20rocsparse_operation_T3_S4_NS_24const_host_device_scalarIT4_EEPKT2_PKS4_PKS6_PS6_lPiSC_PS4_21rocsparse_index_base_20rocsparse_fill_mode_20rocsparse_diag_type_b.private_seg_size, 16
	.set _ZN9rocsparseL5csrsmILj128ELj64ELb0Eii21rocsparse_complex_numIdEEEv20rocsparse_operation_T3_S4_NS_24const_host_device_scalarIT4_EEPKT2_PKS4_PKS6_PS6_lPiSC_PS4_21rocsparse_index_base_20rocsparse_fill_mode_20rocsparse_diag_type_b.uses_vcc, 1
	.set _ZN9rocsparseL5csrsmILj128ELj64ELb0Eii21rocsparse_complex_numIdEEEv20rocsparse_operation_T3_S4_NS_24const_host_device_scalarIT4_EEPKT2_PKS4_PKS6_PS6_lPiSC_PS4_21rocsparse_index_base_20rocsparse_fill_mode_20rocsparse_diag_type_b.uses_flat_scratch, 0
	.set _ZN9rocsparseL5csrsmILj128ELj64ELb0Eii21rocsparse_complex_numIdEEEv20rocsparse_operation_T3_S4_NS_24const_host_device_scalarIT4_EEPKT2_PKS4_PKS6_PS6_lPiSC_PS4_21rocsparse_index_base_20rocsparse_fill_mode_20rocsparse_diag_type_b.has_dyn_sized_stack, 0
	.set _ZN9rocsparseL5csrsmILj128ELj64ELb0Eii21rocsparse_complex_numIdEEEv20rocsparse_operation_T3_S4_NS_24const_host_device_scalarIT4_EEPKT2_PKS4_PKS6_PS6_lPiSC_PS4_21rocsparse_index_base_20rocsparse_fill_mode_20rocsparse_diag_type_b.has_recursion, 0
	.set _ZN9rocsparseL5csrsmILj128ELj64ELb0Eii21rocsparse_complex_numIdEEEv20rocsparse_operation_T3_S4_NS_24const_host_device_scalarIT4_EEPKT2_PKS4_PKS6_PS6_lPiSC_PS4_21rocsparse_index_base_20rocsparse_fill_mode_20rocsparse_diag_type_b.has_indirect_call, 0
	.section	.AMDGPU.csdata,"",@progbits
; Kernel info:
; codeLenInByte = 2128
; TotalNumSgprs: 32
; NumVgprs: 28
; ScratchSize: 16
; MemoryBound: 0
; FloatMode: 240
; IeeeMode: 1
; LDSByteSize: 2560 bytes/workgroup (compile time only)
; SGPRBlocks: 0
; VGPRBlocks: 1
; NumSGPRsForWavesPerEU: 32
; NumVGPRsForWavesPerEU: 28
; NamedBarCnt: 0
; Occupancy: 16
; WaveLimiterHint : 1
; COMPUTE_PGM_RSRC2:SCRATCH_EN: 1
; COMPUTE_PGM_RSRC2:USER_SGPR: 2
; COMPUTE_PGM_RSRC2:TRAP_HANDLER: 0
; COMPUTE_PGM_RSRC2:TGID_X_EN: 1
; COMPUTE_PGM_RSRC2:TGID_Y_EN: 0
; COMPUTE_PGM_RSRC2:TGID_Z_EN: 0
; COMPUTE_PGM_RSRC2:TIDIG_COMP_CNT: 0
	.section	.text._ZN9rocsparseL5csrsmILj256ELj64ELb1Eii21rocsparse_complex_numIdEEEv20rocsparse_operation_T3_S4_NS_24const_host_device_scalarIT4_EEPKT2_PKS4_PKS6_PS6_lPiSC_PS4_21rocsparse_index_base_20rocsparse_fill_mode_20rocsparse_diag_type_b,"axG",@progbits,_ZN9rocsparseL5csrsmILj256ELj64ELb1Eii21rocsparse_complex_numIdEEEv20rocsparse_operation_T3_S4_NS_24const_host_device_scalarIT4_EEPKT2_PKS4_PKS6_PS6_lPiSC_PS4_21rocsparse_index_base_20rocsparse_fill_mode_20rocsparse_diag_type_b,comdat
	.globl	_ZN9rocsparseL5csrsmILj256ELj64ELb1Eii21rocsparse_complex_numIdEEEv20rocsparse_operation_T3_S4_NS_24const_host_device_scalarIT4_EEPKT2_PKS4_PKS6_PS6_lPiSC_PS4_21rocsparse_index_base_20rocsparse_fill_mode_20rocsparse_diag_type_b ; -- Begin function _ZN9rocsparseL5csrsmILj256ELj64ELb1Eii21rocsparse_complex_numIdEEEv20rocsparse_operation_T3_S4_NS_24const_host_device_scalarIT4_EEPKT2_PKS4_PKS6_PS6_lPiSC_PS4_21rocsparse_index_base_20rocsparse_fill_mode_20rocsparse_diag_type_b
	.p2align	8
	.type	_ZN9rocsparseL5csrsmILj256ELj64ELb1Eii21rocsparse_complex_numIdEEEv20rocsparse_operation_T3_S4_NS_24const_host_device_scalarIT4_EEPKT2_PKS4_PKS6_PS6_lPiSC_PS4_21rocsparse_index_base_20rocsparse_fill_mode_20rocsparse_diag_type_b,@function
_ZN9rocsparseL5csrsmILj256ELj64ELb1Eii21rocsparse_complex_numIdEEEv20rocsparse_operation_T3_S4_NS_24const_host_device_scalarIT4_EEPKT2_PKS4_PKS6_PS6_lPiSC_PS4_21rocsparse_index_base_20rocsparse_fill_mode_20rocsparse_diag_type_b: ; @_ZN9rocsparseL5csrsmILj256ELj64ELb1Eii21rocsparse_complex_numIdEEEv20rocsparse_operation_T3_S4_NS_24const_host_device_scalarIT4_EEPKT2_PKS4_PKS6_PS6_lPiSC_PS4_21rocsparse_index_base_20rocsparse_fill_mode_20rocsparse_diag_type_b
; %bb.0:
	s_clause 0x1
	s_load_b128 s[4:7], s[0:1], 0x60
	s_load_b128 s[8:11], s[0:1], 0x10
	v_mbcnt_lo_u32_b32 v1, -1, 0
	s_clause 0x1
	s_load_b64 s[2:3], s[0:1], 0x20
	s_load_b64 s[16:17], s[0:1], 0x50
	s_delay_alu instid0(VALU_DEP_1) | instskip(NEXT) | instid1(VALU_DEP_1)
	v_dual_mov_b32 v2, 0 :: v_dual_lshlrev_b32 v3, 20, v1
	v_add_nc_u64_e32 v[2:3], src_flat_scratch_base_lo, v[2:3]
	s_wait_kmcnt 0x0
	s_bitcmp1_b32 s7, 0
	v_mov_b64_e32 v[4:5], s[8:9]
	s_cselect_b32 vcc_lo, -1, 0
	v_mov_b64_e32 v[8:9], s[10:11]
	s_delay_alu instid0(VALU_DEP_3)
	v_cndmask_b32_e32 v3, s9, v3, vcc_lo
	v_cndmask_b32_e32 v2, s8, v2, vcc_lo
	s_and_b32 vcc_lo, exec_lo, vcc_lo
	scratch_store_b64 off, v[4:5], off
	flat_load_b64 v[6:7], v[2:3]
	s_cbranch_vccnz .LBB38_2
; %bb.1:
	v_mov_b32_e32 v1, 0
	flat_load_b64 v[8:9], v1, s[8:9] offset:8
.LBB38_2:
	s_load_b96 s[12:14], s[0:1], 0x0
	s_bfe_u32 s9, ttmp6, 0x4000c
	s_and_b32 s8, ttmp6, 15
	s_add_co_i32 s9, s9, 1
	s_getreg_b32 s11, hwreg(HW_REG_IB_STS2, 6, 4)
	s_mul_i32 s9, ttmp9, s9
	s_delay_alu instid0(SALU_CYCLE_1) | instskip(SKIP_3) | instid1(SALU_CYCLE_2)
	s_add_co_i32 s8, s8, s9
	s_wait_kmcnt 0x0
	s_cvt_f32_u32 s7, s13
	s_sub_co_i32 s10, 0, s13
	v_rcp_iflag_f32_e32 v1, s7
	v_nop
	s_delay_alu instid0(TRANS32_DEP_1) | instskip(SKIP_1) | instid1(SALU_CYCLE_3)
	v_readfirstlane_b32 s7, v1
	s_mul_f32 s7, s7, 0x4f7ffffe
	s_cvt_u32_f32 s7, s7
	s_delay_alu instid0(SALU_CYCLE_3) | instskip(NEXT) | instid1(SALU_CYCLE_1)
	s_mul_i32 s10, s10, s7
	s_mul_hi_u32 s10, s7, s10
	s_delay_alu instid0(SALU_CYCLE_1) | instskip(SKIP_2) | instid1(SALU_CYCLE_1)
	s_add_co_i32 s7, s7, s10
	s_cmp_eq_u32 s11, 0
	s_cselect_b32 s8, ttmp9, s8
	s_mul_hi_u32 s7, s8, s7
	s_delay_alu instid0(SALU_CYCLE_1) | instskip(SKIP_2) | instid1(SALU_CYCLE_1)
	s_mul_i32 s9, s7, s13
	s_add_co_i32 s10, s7, 1
	s_sub_co_i32 s9, s8, s9
	s_sub_co_i32 s11, s9, s13
	s_cmp_ge_u32 s9, s13
	s_cselect_b32 s7, s10, s7
	s_cselect_b32 s9, s11, s9
	s_add_co_i32 s10, s7, 1
	s_cmp_ge_u32 s9, s13
	s_cselect_b32 s15, s10, s7
	s_delay_alu instid0(SALU_CYCLE_1) | instskip(SKIP_2) | instid1(SALU_CYCLE_1)
	s_mul_i32 s7, s15, s13
	v_lshl_or_b32 v10, s15, 8, v0
	s_sub_co_i32 s8, s8, s7
	s_ashr_i32 s9, s8, 31
	s_delay_alu instid0(VALU_DEP_1) | instskip(SKIP_1) | instid1(SALU_CYCLE_1)
	v_ashrrev_i32_e32 v11, 31, v10
	s_lshl_b64 s[8:9], s[8:9], 2
	s_add_nc_u64 s[18:19], s[16:17], s[8:9]
	s_load_b32 s16, s[18:19], 0x0
	s_load_b128 s[8:11], s[0:1], 0x38
	s_wait_kmcnt 0x0
	s_ashr_i32 s17, s16, 31
	s_delay_alu instid0(SALU_CYCLE_1)
	s_lshl_b64 s[18:19], s[16:17], 2
	s_cmp_lg_u32 s12, 0x71
	s_add_nc_u64 s[2:3], s[2:3], s[18:19]
	s_mul_u64 s[18:19], s[10:11], s[16:17]
	s_load_b64 s[22:23], s[2:3], 0x0
	v_add_nc_u64_e32 v[12:13], s[18:19], v[10:11]
	s_wait_xcnt 0x0
	v_cmp_gt_i32_e64 s2, s14, v10
	s_cbranch_scc0 .LBB38_49
; %bb.3:
	v_mov_b64_e32 v[4:5], 0
	v_mov_b64_e32 v[2:3], 0
	s_and_saveexec_b32 s3, s2
	s_cbranch_execz .LBB38_5
; %bb.4:
	v_lshl_add_u64 v[2:3], v[12:13], 4, s[8:9]
	global_load_b128 v[14:17], v[2:3], off
	s_wait_loadcnt_dscnt 0x0
	v_mul_f64_e64 v[2:3], v[16:17], -v[8:9]
	v_mul_f64_e32 v[4:5], v[6:7], v[16:17]
	s_delay_alu instid0(VALU_DEP_2) | instskip(NEXT) | instid1(VALU_DEP_2)
	v_fmac_f64_e32 v[2:3], v[6:7], v[14:15]
	v_fmac_f64_e32 v[4:5], v[8:9], v[14:15]
.LBB38_5:
	s_or_b32 exec_lo, exec_lo, s3
	s_load_b64 s[20:21], s[0:1], 0x48
	s_cbranch_execz .LBB38_50
; %bb.6:
	v_lshl_add_u64 v[10:11], v[10:11], 4, s[8:9]
	v_cmp_eq_u32_e64 s3, 0, v0
	s_wait_kmcnt 0x0
	s_cmp_ge_i32 s22, s23
	s_cbranch_scc1 .LBB38_53
.LBB38_7:
	s_clause 0x1
	s_load_b64 s[8:9], s[0:1], 0x58
	s_load_b128 s[12:15], s[0:1], 0x28
	v_mov_b64_e32 v[14:15], 1.0
	v_mov_b64_e32 v[12:13], 0
	s_sub_co_i32 s17, s22, s4
	s_sub_co_i32 s24, s23, s4
	v_lshl_or_b32 v1, v0, 2, 0x1000
	v_dual_mov_b32 v25, 0 :: v_dual_lshlrev_b32 v24, 4, v0
	s_cmp_eq_u32 s6, 0
	s_mov_b32 s27, s17
	s_cselect_b32 s25, -1, 0
	s_add_co_i32 s26, s16, s4
	s_wait_xcnt 0x0
	s_sub_co_i32 s0, s27, s17
	s_delay_alu instid0(SALU_CYCLE_1) | instskip(NEXT) | instid1(SALU_CYCLE_1)
	s_and_b32 s1, s0, 0xff
	s_cmp_lg_u32 s1, 0
	s_cbranch_scc1 .LBB38_11
.LBB38_8:
	s_sub_co_i32 s0, s24, s27
	s_wait_loadcnt_dscnt 0x0
	v_mov_b64_e32 v[6:7], -1.0
	v_mov_b64_e32 v[8:9], 0
	v_cmp_gt_u32_e32 vcc_lo, s0, v0
	v_mov_b32_e32 v16, -1
	s_and_saveexec_b32 s0, vcc_lo
	s_cbranch_execz .LBB38_10
; %bb.9:
	v_add_nc_u32_e32 v16, s27, v0
	s_wait_kmcnt 0x0
	s_clause 0x1
	global_load_b32 v17, v16, s[12:13] scale_offset
	global_load_b128 v[6:9], v16, s[14:15] scale_offset
	s_wait_loadcnt 0x1
	s_wait_xcnt 0x0
	v_subrev_nc_u32_e32 v16, s4, v17
.LBB38_10:
	s_or_b32 exec_lo, exec_lo, s0
	ds_store_b32 v1, v16
	s_wait_loadcnt 0x0
	ds_store_b128 v24, v[6:9]
.LBB38_11:                              ; =>This Loop Header: Depth=1
                                        ;     Child Loop BB38_47 Depth 2
                                        ;       Child Loop BB38_48 Depth 3
	s_lshl_b32 s0, s1, 4
	s_wait_storecnt 0x0
	s_wait_loadcnt_dscnt 0x0
	v_mov_b32_e32 v6, s0
	s_barrier_signal -1
	s_barrier_wait -1
	s_lshl_b32 s1, s1, 2
	ds_load_b128 v[16:19], v6
	v_mov_b32_e32 v6, s1
	ds_load_b32 v6, v6 offset:4096
	s_wait_dscnt 0x1
	v_cmp_eq_f64_e32 vcc_lo, 0, v[16:17]
	v_cmp_eq_f64_e64 s0, 0, v[18:19]
	s_wait_dscnt 0x0
	v_readfirstlane_b32 s22, v6
	s_and_b32 s0, vcc_lo, s0
	s_cmp_eq_u32 s22, s16
	s_cselect_b32 s28, -1, 0
	s_cmp_lg_u32 s22, s16
	s_cselect_b32 s1, -1, 0
	s_and_b32 s0, s0, s28
	s_delay_alu instid0(SALU_CYCLE_1) | instskip(NEXT) | instid1(SALU_CYCLE_1)
	s_and_b32 s0, s25, s0
	v_cndmask_b32_e64 v7, v19, 0, s0
	v_cndmask_b32_e64 v6, v18, 0, s0
	;; [unrolled: 1-line block ×4, first 2 shown]
	s_and_b32 s23, s3, s0
	s_delay_alu instid0(SALU_CYCLE_1)
	s_and_saveexec_b32 s0, s23
	s_cbranch_execz .LBB38_15
; %bb.12:                               ;   in Loop: Header=BB38_11 Depth=1
	v_mbcnt_lo_u32_b32 v6, exec_lo, 0
	s_mov_b32 s23, exec_lo
	s_delay_alu instid0(VALU_DEP_1)
	v_cmpx_eq_u32_e32 0, v6
	s_cbranch_execz .LBB38_14
; %bb.13:                               ;   in Loop: Header=BB38_11 Depth=1
	v_mov_b32_e32 v6, s26
	s_wait_kmcnt 0x0
	global_atomic_min_i32 v25, v6, s[8:9] scope:SCOPE_DEV
.LBB38_14:                              ;   in Loop: Header=BB38_11 Depth=1
	s_wait_xcnt 0x0
	s_or_b32 exec_lo, exec_lo, s23
	v_mov_b64_e32 v[8:9], 1.0
	v_mov_b64_e32 v[6:7], 0
.LBB38_15:                              ;   in Loop: Header=BB38_11 Depth=1
	s_or_b32 exec_lo, exec_lo, s0
	s_mov_b32 s29, -1
	s_mov_b32 s0, 0
	s_cmp_lt_i32 s5, 1
	s_mov_b32 s23, 0
                                        ; implicit-def: $vgpr16_vgpr17
                                        ; implicit-def: $vgpr18_vgpr19
	s_cbranch_scc0 .LBB38_22
; %bb.16:                               ;   in Loop: Header=BB38_11 Depth=1
	s_and_b32 vcc_lo, exec_lo, s29
	s_mov_b32 s28, 4
	s_cbranch_vccnz .LBB38_29
.LBB38_17:                              ;   in Loop: Header=BB38_11 Depth=1
	v_mov_b64_e32 v[22:23], v[4:5]
	v_mov_b64_e32 v[20:21], v[2:3]
	s_and_b32 vcc_lo, exec_lo, s23
	s_cbranch_vccnz .LBB38_34
.LBB38_18:                              ;   in Loop: Header=BB38_11 Depth=1
	s_and_b32 vcc_lo, exec_lo, s0
	s_cbranch_vccnz .LBB38_39
.LBB38_19:                              ;   in Loop: Header=BB38_11 Depth=1
	s_mov_b32 s0, -1
	s_cmp_gt_i32 s28, 3
	s_mov_b32 s1, -1
	s_cbranch_scc0 .LBB38_42
.LBB38_20:                              ;   in Loop: Header=BB38_11 Depth=1
	s_and_not1_b32 vcc_lo, exec_lo, s1
	s_cbranch_vccz .LBB38_43
.LBB38_21:                              ;   in Loop: Header=BB38_11 Depth=1
	s_delay_alu instid0(VALU_DEP_1) | instskip(NEXT) | instid1(VALU_DEP_2)
	v_mov_b64_e32 v[4:5], v[22:23]
	v_mov_b64_e32 v[2:3], v[20:21]
	s_and_not1_b32 vcc_lo, exec_lo, s0
	s_cbranch_vccnz .LBB38_44
	s_branch .LBB38_54
.LBB38_22:                              ;   in Loop: Header=BB38_11 Depth=1
	s_cmp_eq_u32 s5, 1
	s_mov_b32 s23, -1
                                        ; implicit-def: $vgpr16_vgpr17
                                        ; implicit-def: $vgpr18_vgpr19
	s_cbranch_scc0 .LBB38_28
; %bb.23:                               ;   in Loop: Header=BB38_11 Depth=1
	v_mov_b64_e32 v[16:17], v[12:13]
	v_mov_b64_e32 v[18:19], v[14:15]
	s_cmp_ge_i32 s22, s16
	s_mov_b32 s23, 0
	s_cbranch_scc0 .LBB38_28
; %bb.24:                               ;   in Loop: Header=BB38_11 Depth=1
	s_and_b32 vcc_lo, exec_lo, s28
	s_mov_b32 s23, -1
                                        ; implicit-def: $vgpr16_vgpr17
                                        ; implicit-def: $vgpr18_vgpr19
	s_cbranch_vccz .LBB38_28
; %bb.25:                               ;   in Loop: Header=BB38_11 Depth=1
	v_mov_b64_e32 v[16:17], v[12:13]
	v_mov_b64_e32 v[18:19], v[14:15]
	s_and_not1_b32 vcc_lo, exec_lo, s25
	s_cbranch_vccnz .LBB38_27
; %bb.26:                               ;   in Loop: Header=BB38_11 Depth=1
	v_mul_f64_e32 v[16:17], v[6:7], v[6:7]
	s_delay_alu instid0(VALU_DEP_1) | instskip(NEXT) | instid1(VALU_DEP_1)
	v_fmac_f64_e32 v[16:17], v[8:9], v[8:9]
	v_div_scale_f64 v[18:19], null, v[16:17], v[16:17], 1.0
	v_div_scale_f64 v[26:27], vcc_lo, 1.0, v[16:17], 1.0
	s_delay_alu instid0(VALU_DEP_2) | instskip(SKIP_1) | instid1(TRANS32_DEP_1)
	v_rcp_f64_e32 v[20:21], v[18:19]
	v_nop
	v_fma_f64 v[22:23], -v[18:19], v[20:21], 1.0
	s_delay_alu instid0(VALU_DEP_1) | instskip(NEXT) | instid1(VALU_DEP_1)
	v_fmac_f64_e32 v[20:21], v[20:21], v[22:23]
	v_fma_f64 v[22:23], -v[18:19], v[20:21], 1.0
	s_delay_alu instid0(VALU_DEP_1) | instskip(NEXT) | instid1(VALU_DEP_1)
	v_fmac_f64_e32 v[20:21], v[20:21], v[22:23]
	v_mul_f64_e32 v[22:23], v[26:27], v[20:21]
	s_delay_alu instid0(VALU_DEP_1) | instskip(NEXT) | instid1(VALU_DEP_1)
	v_fma_f64 v[18:19], -v[18:19], v[22:23], v[26:27]
	v_div_fmas_f64 v[18:19], v[18:19], v[20:21], v[22:23]
	v_fma_f64 v[20:21], 0, v[6:7], v[8:9]
	v_fma_f64 v[22:23], v[8:9], 0, -v[6:7]
	s_delay_alu instid0(VALU_DEP_3) | instskip(NEXT) | instid1(VALU_DEP_1)
	v_div_fixup_f64 v[16:17], v[18:19], v[16:17], 1.0
	v_mul_f64_e32 v[18:19], v[20:21], v[16:17]
	s_delay_alu instid0(VALU_DEP_3)
	v_mul_f64_e32 v[16:17], v[22:23], v[16:17]
.LBB38_27:                              ;   in Loop: Header=BB38_11 Depth=1
	s_mov_b32 s23, 0
.LBB38_28:                              ;   in Loop: Header=BB38_11 Depth=1
	s_mov_b32 s28, 4
	s_branch .LBB38_17
.LBB38_29:                              ;   in Loop: Header=BB38_11 Depth=1
	s_cmp_eq_u32 s5, 0
	s_cbranch_scc1 .LBB38_31
; %bb.30:                               ;   in Loop: Header=BB38_11 Depth=1
	s_mov_b32 s23, -1
	s_branch .LBB38_33
.LBB38_31:                              ;   in Loop: Header=BB38_11 Depth=1
	s_cmp_le_i32 s22, s16
	s_mov_b32 s23, 0
	s_cbranch_scc0 .LBB38_33
; %bb.32:                               ;   in Loop: Header=BB38_11 Depth=1
	s_mov_b32 s0, -1
	s_mov_b32 s23, s1
.LBB38_33:                              ;   in Loop: Header=BB38_11 Depth=1
	v_mov_b64_e32 v[16:17], v[12:13]
	v_mov_b64_e32 v[18:19], v[14:15]
	s_mov_b32 s28, 2
	v_mov_b64_e32 v[22:23], v[4:5]
	v_mov_b64_e32 v[20:21], v[2:3]
	s_and_b32 vcc_lo, exec_lo, s23
	s_cbranch_vccz .LBB38_18
.LBB38_34:                              ;   in Loop: Header=BB38_11 Depth=1
	s_and_saveexec_b32 s23, s3
	s_cbranch_execz .LBB38_36
; %bb.35:                               ;   in Loop: Header=BB38_11 Depth=1
	s_add_co_i32 s0, s22, s7
	s_delay_alu instid0(SALU_CYCLE_1)
	v_mov_b32_e32 v16, s0
	global_load_b32 v16, v16, s[20:21] scale_offset scope:SCOPE_DEV
	s_wait_loadcnt 0x0
	v_cmp_ne_u32_e32 vcc_lo, 0, v16
	s_cbranch_vccz .LBB38_45
.LBB38_36:                              ;   in Loop: Header=BB38_11 Depth=1
	s_wait_xcnt 0x0
	s_or_b32 exec_lo, exec_lo, s23
	v_mov_b64_e32 v[22:23], 0
	v_mov_b64_e32 v[20:21], 0
	s_wait_storecnt 0x0
	s_barrier_signal -1
	s_barrier_wait -1
	global_inv scope:SCOPE_DEV
	s_and_saveexec_b32 s0, s2
	s_cbranch_execz .LBB38_38
; %bb.37:                               ;   in Loop: Header=BB38_11 Depth=1
	s_ashr_i32 s23, s22, 31
	s_delay_alu instid0(SALU_CYCLE_1) | instskip(NEXT) | instid1(SALU_CYCLE_1)
	s_mul_u64 s[22:23], s[10:11], s[22:23]
	v_lshl_add_u64 v[16:17], s[22:23], 4, v[10:11]
	global_load_b128 v[16:19], v[16:17], off
	s_wait_loadcnt 0x0
	v_fma_f64 v[20:21], -v[8:9], v[16:17], v[2:3]
	v_fma_f64 v[16:17], -v[6:7], v[16:17], v[4:5]
	s_delay_alu instid0(VALU_DEP_2) | instskip(NEXT) | instid1(VALU_DEP_2)
	v_fmac_f64_e32 v[20:21], v[6:7], v[18:19]
	v_fma_f64 v[22:23], -v[8:9], v[18:19], v[16:17]
.LBB38_38:                              ;   in Loop: Header=BB38_11 Depth=1
	s_or_b32 exec_lo, exec_lo, s0
	v_mov_b64_e32 v[16:17], v[12:13]
	v_mov_b64_e32 v[18:19], v[14:15]
	s_mov_b32 s28, 0
	s_branch .LBB38_19
.LBB38_39:                              ;   in Loop: Header=BB38_11 Depth=1
	s_and_not1_b32 vcc_lo, exec_lo, s25
	s_cbranch_vccnz .LBB38_41
; %bb.40:                               ;   in Loop: Header=BB38_11 Depth=1
	v_mul_f64_e32 v[12:13], v[6:7], v[6:7]
	s_delay_alu instid0(VALU_DEP_1) | instskip(NEXT) | instid1(VALU_DEP_1)
	v_fmac_f64_e32 v[12:13], v[8:9], v[8:9]
	v_div_scale_f64 v[14:15], null, v[12:13], v[12:13], 1.0
	v_div_scale_f64 v[20:21], vcc_lo, 1.0, v[12:13], 1.0
	s_delay_alu instid0(VALU_DEP_2) | instskip(SKIP_1) | instid1(TRANS32_DEP_1)
	v_rcp_f64_e32 v[16:17], v[14:15]
	v_nop
	v_fma_f64 v[18:19], -v[14:15], v[16:17], 1.0
	s_delay_alu instid0(VALU_DEP_1) | instskip(NEXT) | instid1(VALU_DEP_1)
	v_fmac_f64_e32 v[16:17], v[16:17], v[18:19]
	v_fma_f64 v[18:19], -v[14:15], v[16:17], 1.0
	s_delay_alu instid0(VALU_DEP_1) | instskip(NEXT) | instid1(VALU_DEP_1)
	v_fmac_f64_e32 v[16:17], v[16:17], v[18:19]
	v_mul_f64_e32 v[18:19], v[20:21], v[16:17]
	s_delay_alu instid0(VALU_DEP_1) | instskip(NEXT) | instid1(VALU_DEP_1)
	v_fma_f64 v[14:15], -v[14:15], v[18:19], v[20:21]
	v_div_fmas_f64 v[14:15], v[14:15], v[16:17], v[18:19]
	v_fma_f64 v[16:17], 0, v[6:7], v[8:9]
	v_fma_f64 v[6:7], v[8:9], 0, -v[6:7]
	s_delay_alu instid0(VALU_DEP_3) | instskip(NEXT) | instid1(VALU_DEP_1)
	v_div_fixup_f64 v[12:13], v[14:15], v[12:13], 1.0
	v_mul_f64_e32 v[14:15], v[16:17], v[12:13]
	s_delay_alu instid0(VALU_DEP_3)
	v_mul_f64_e32 v[12:13], v[6:7], v[12:13]
.LBB38_41:                              ;   in Loop: Header=BB38_11 Depth=1
	s_delay_alu instid0(VALU_DEP_2) | instskip(NEXT) | instid1(VALU_DEP_2)
	v_mov_b64_e32 v[18:19], v[14:15]
	v_mov_b64_e32 v[16:17], v[12:13]
	;; [unrolled: 1-line block ×4, first 2 shown]
	s_mov_b32 s28, 2
	s_mov_b32 s0, -1
	s_cmp_gt_i32 s28, 3
	s_mov_b32 s1, -1
	s_cbranch_scc1 .LBB38_20
.LBB38_42:                              ;   in Loop: Header=BB38_11 Depth=1
	s_cmp_eq_u32 s28, 0
	s_cselect_b32 s1, -1, 0
	s_delay_alu instid0(SALU_CYCLE_1)
	s_and_not1_b32 vcc_lo, exec_lo, s1
	s_cbranch_vccnz .LBB38_21
.LBB38_43:                              ;   in Loop: Header=BB38_11 Depth=1
	s_add_co_i32 s27, s27, 1
	s_delay_alu instid0(SALU_CYCLE_1) | instskip(SKIP_1) | instid1(VALU_DEP_1)
	s_cmp_ge_i32 s27, s24
	s_cselect_b32 s0, -1, 0
	v_mov_b64_e32 v[4:5], v[22:23]
	s_delay_alu instid0(VALU_DEP_2)
	v_mov_b64_e32 v[2:3], v[20:21]
	s_and_not1_b32 vcc_lo, exec_lo, s0
	s_cbranch_vccz .LBB38_54
.LBB38_44:                              ;   in Loop: Header=BB38_11 Depth=1
	s_delay_alu instid0(VALU_DEP_4) | instskip(NEXT) | instid1(VALU_DEP_4)
	v_mov_b64_e32 v[12:13], v[16:17]
	v_mov_b64_e32 v[14:15], v[18:19]
	s_sub_co_i32 s0, s27, s17
	s_delay_alu instid0(SALU_CYCLE_1) | instskip(NEXT) | instid1(SALU_CYCLE_1)
	s_and_b32 s1, s0, 0xff
	s_cmp_lg_u32 s1, 0
	s_cbranch_scc1 .LBB38_11
	s_branch .LBB38_8
.LBB38_45:                              ;   in Loop: Header=BB38_11 Depth=1
	s_ashr_i32 s1, s0, 31
	s_mov_b32 s28, 0
	s_lshl_b64 s[0:1], s[0:1], 2
	s_delay_alu instid0(SALU_CYCLE_1)
	s_add_nc_u64 s[0:1], s[20:21], s[0:1]
	s_branch .LBB38_47
.LBB38_46:                              ;   in Loop: Header=BB38_47 Depth=2
	global_load_b32 v16, v25, s[0:1] scope:SCOPE_DEV
	s_cmp_lt_u32 s28, 0xf43
	s_cselect_b32 s29, -1, 0
	s_delay_alu instid0(SALU_CYCLE_1)
	s_cmp_lg_u32 s29, 0
	s_add_co_ci_u32 s28, s28, 0
	s_wait_loadcnt 0x0
	v_cmp_ne_u32_e32 vcc_lo, 0, v16
	s_cbranch_vccnz .LBB38_36
.LBB38_47:                              ;   Parent Loop BB38_11 Depth=1
                                        ; =>  This Loop Header: Depth=2
                                        ;       Child Loop BB38_48 Depth 3
	s_cmp_eq_u32 s28, 0
	s_mov_b32 s29, s28
	s_cbranch_scc1 .LBB38_46
.LBB38_48:                              ;   Parent Loop BB38_11 Depth=1
                                        ;     Parent Loop BB38_47 Depth=2
                                        ; =>    This Inner Loop Header: Depth=3
	s_add_co_i32 s29, s29, -1
	s_sleep 1
	s_cmp_eq_u32 s29, 0
	s_cbranch_scc0 .LBB38_48
	s_branch .LBB38_46
.LBB38_49:
                                        ; implicit-def: $vgpr4_vgpr5
	s_load_b64 s[20:21], s[0:1], 0x48
.LBB38_50:
	v_mov_b64_e32 v[4:5], 0
	v_mov_b64_e32 v[2:3], 0
	s_and_saveexec_b32 s3, s2
	s_cbranch_execz .LBB38_52
; %bb.51:
	v_lshl_add_u64 v[2:3], v[12:13], 4, s[8:9]
	global_load_b128 v[12:15], v[2:3], off
	s_wait_loadcnt_dscnt 0x0
	v_mul_f64_e32 v[2:3], v[8:9], v[14:15]
	v_mul_f64_e64 v[4:5], v[6:7], -v[14:15]
	s_delay_alu instid0(VALU_DEP_2) | instskip(NEXT) | instid1(VALU_DEP_2)
	v_fmac_f64_e32 v[2:3], v[6:7], v[12:13]
	v_fmac_f64_e32 v[4:5], v[8:9], v[12:13]
.LBB38_52:
	s_or_b32 exec_lo, exec_lo, s3
	v_lshl_add_u64 v[10:11], v[10:11], 4, s[8:9]
	v_cmp_eq_u32_e64 s3, 0, v0
	s_wait_kmcnt 0x0
	s_cmp_ge_i32 s22, s23
	s_cbranch_scc0 .LBB38_7
.LBB38_53:
	v_mov_b64_e32 v[18:19], 1.0
	v_mov_b64_e32 v[16:17], 0
.LBB38_54:
	s_cmp_lg_u32 s6, 0
	s_cbranch_scc0 .LBB38_60
; %bb.55:
	s_and_saveexec_b32 s0, s2
	s_cbranch_execz .LBB38_57
.LBB38_56:
	s_wait_loadcnt_dscnt 0x0
	v_lshl_add_u64 v[6:7], s[18:19], 4, v[10:11]
	global_store_b128 v[6:7], v[2:5], off
.LBB38_57:
	s_wait_xcnt 0x0
	s_or_b32 exec_lo, exec_lo, s0
	global_wb scope:SCOPE_DEV
	s_wait_storecnt 0x0
	s_wait_loadcnt_dscnt 0x0
	global_inv scope:SCOPE_DEV
	s_wait_loadcnt 0x0
	s_barrier_signal -1
	s_barrier_wait -1
	s_mov_b32 s0, exec_lo
	v_cmpx_eq_u32_e32 0, v0
	s_cbranch_execz .LBB38_59
; %bb.58:
	s_add_co_i32 s0, s16, s7
	s_delay_alu instid0(SALU_CYCLE_1)
	v_dual_mov_b32 v0, 1 :: v_dual_mov_b32 v1, s0
	global_store_b32 v1, v0, s[20:21] scale_offset scope:SCOPE_DEV
.LBB38_59:
	s_endpgm
.LBB38_60:
	s_wait_loadcnt_dscnt 0x0
	s_delay_alu instid0(VALU_DEP_1) | instskip(SKIP_1) | instid1(VALU_DEP_2)
	v_mul_f64_e64 v[6:7], v[16:17], -v[4:5]
	v_mul_f64_e32 v[8:9], v[16:17], v[2:3]
	v_fmac_f64_e32 v[6:7], v[2:3], v[18:19]
	s_delay_alu instid0(VALU_DEP_2) | instskip(NEXT) | instid1(VALU_DEP_2)
	v_fmac_f64_e32 v[8:9], v[4:5], v[18:19]
	v_mov_b64_e32 v[2:3], v[6:7]
	s_delay_alu instid0(VALU_DEP_2)
	v_mov_b64_e32 v[4:5], v[8:9]
	s_and_saveexec_b32 s0, s2
	s_cbranch_execnz .LBB38_56
	s_branch .LBB38_57
	.section	.rodata,"a",@progbits
	.p2align	6, 0x0
	.amdhsa_kernel _ZN9rocsparseL5csrsmILj256ELj64ELb1Eii21rocsparse_complex_numIdEEEv20rocsparse_operation_T3_S4_NS_24const_host_device_scalarIT4_EEPKT2_PKS4_PKS6_PS6_lPiSC_PS4_21rocsparse_index_base_20rocsparse_fill_mode_20rocsparse_diag_type_b
		.amdhsa_group_segment_fixed_size 5120
		.amdhsa_private_segment_fixed_size 16
		.amdhsa_kernarg_size 112
		.amdhsa_user_sgpr_count 2
		.amdhsa_user_sgpr_dispatch_ptr 0
		.amdhsa_user_sgpr_queue_ptr 0
		.amdhsa_user_sgpr_kernarg_segment_ptr 1
		.amdhsa_user_sgpr_dispatch_id 0
		.amdhsa_user_sgpr_kernarg_preload_length 0
		.amdhsa_user_sgpr_kernarg_preload_offset 0
		.amdhsa_user_sgpr_private_segment_size 0
		.amdhsa_wavefront_size32 1
		.amdhsa_uses_dynamic_stack 0
		.amdhsa_enable_private_segment 1
		.amdhsa_system_sgpr_workgroup_id_x 1
		.amdhsa_system_sgpr_workgroup_id_y 0
		.amdhsa_system_sgpr_workgroup_id_z 0
		.amdhsa_system_sgpr_workgroup_info 0
		.amdhsa_system_vgpr_workitem_id 0
		.amdhsa_next_free_vgpr 28
		.amdhsa_next_free_sgpr 30
		.amdhsa_named_barrier_count 0
		.amdhsa_reserve_vcc 1
		.amdhsa_float_round_mode_32 0
		.amdhsa_float_round_mode_16_64 0
		.amdhsa_float_denorm_mode_32 3
		.amdhsa_float_denorm_mode_16_64 3
		.amdhsa_fp16_overflow 0
		.amdhsa_memory_ordered 1
		.amdhsa_forward_progress 1
		.amdhsa_inst_pref_size 18
		.amdhsa_round_robin_scheduling 0
		.amdhsa_exception_fp_ieee_invalid_op 0
		.amdhsa_exception_fp_denorm_src 0
		.amdhsa_exception_fp_ieee_div_zero 0
		.amdhsa_exception_fp_ieee_overflow 0
		.amdhsa_exception_fp_ieee_underflow 0
		.amdhsa_exception_fp_ieee_inexact 0
		.amdhsa_exception_int_div_zero 0
	.end_amdhsa_kernel
	.section	.text._ZN9rocsparseL5csrsmILj256ELj64ELb1Eii21rocsparse_complex_numIdEEEv20rocsparse_operation_T3_S4_NS_24const_host_device_scalarIT4_EEPKT2_PKS4_PKS6_PS6_lPiSC_PS4_21rocsparse_index_base_20rocsparse_fill_mode_20rocsparse_diag_type_b,"axG",@progbits,_ZN9rocsparseL5csrsmILj256ELj64ELb1Eii21rocsparse_complex_numIdEEEv20rocsparse_operation_T3_S4_NS_24const_host_device_scalarIT4_EEPKT2_PKS4_PKS6_PS6_lPiSC_PS4_21rocsparse_index_base_20rocsparse_fill_mode_20rocsparse_diag_type_b,comdat
.Lfunc_end38:
	.size	_ZN9rocsparseL5csrsmILj256ELj64ELb1Eii21rocsparse_complex_numIdEEEv20rocsparse_operation_T3_S4_NS_24const_host_device_scalarIT4_EEPKT2_PKS4_PKS6_PS6_lPiSC_PS4_21rocsparse_index_base_20rocsparse_fill_mode_20rocsparse_diag_type_b, .Lfunc_end38-_ZN9rocsparseL5csrsmILj256ELj64ELb1Eii21rocsparse_complex_numIdEEEv20rocsparse_operation_T3_S4_NS_24const_host_device_scalarIT4_EEPKT2_PKS4_PKS6_PS6_lPiSC_PS4_21rocsparse_index_base_20rocsparse_fill_mode_20rocsparse_diag_type_b
                                        ; -- End function
	.set _ZN9rocsparseL5csrsmILj256ELj64ELb1Eii21rocsparse_complex_numIdEEEv20rocsparse_operation_T3_S4_NS_24const_host_device_scalarIT4_EEPKT2_PKS4_PKS6_PS6_lPiSC_PS4_21rocsparse_index_base_20rocsparse_fill_mode_20rocsparse_diag_type_b.num_vgpr, 28
	.set _ZN9rocsparseL5csrsmILj256ELj64ELb1Eii21rocsparse_complex_numIdEEEv20rocsparse_operation_T3_S4_NS_24const_host_device_scalarIT4_EEPKT2_PKS4_PKS6_PS6_lPiSC_PS4_21rocsparse_index_base_20rocsparse_fill_mode_20rocsparse_diag_type_b.num_agpr, 0
	.set _ZN9rocsparseL5csrsmILj256ELj64ELb1Eii21rocsparse_complex_numIdEEEv20rocsparse_operation_T3_S4_NS_24const_host_device_scalarIT4_EEPKT2_PKS4_PKS6_PS6_lPiSC_PS4_21rocsparse_index_base_20rocsparse_fill_mode_20rocsparse_diag_type_b.numbered_sgpr, 30
	.set _ZN9rocsparseL5csrsmILj256ELj64ELb1Eii21rocsparse_complex_numIdEEEv20rocsparse_operation_T3_S4_NS_24const_host_device_scalarIT4_EEPKT2_PKS4_PKS6_PS6_lPiSC_PS4_21rocsparse_index_base_20rocsparse_fill_mode_20rocsparse_diag_type_b.num_named_barrier, 0
	.set _ZN9rocsparseL5csrsmILj256ELj64ELb1Eii21rocsparse_complex_numIdEEEv20rocsparse_operation_T3_S4_NS_24const_host_device_scalarIT4_EEPKT2_PKS4_PKS6_PS6_lPiSC_PS4_21rocsparse_index_base_20rocsparse_fill_mode_20rocsparse_diag_type_b.private_seg_size, 16
	.set _ZN9rocsparseL5csrsmILj256ELj64ELb1Eii21rocsparse_complex_numIdEEEv20rocsparse_operation_T3_S4_NS_24const_host_device_scalarIT4_EEPKT2_PKS4_PKS6_PS6_lPiSC_PS4_21rocsparse_index_base_20rocsparse_fill_mode_20rocsparse_diag_type_b.uses_vcc, 1
	.set _ZN9rocsparseL5csrsmILj256ELj64ELb1Eii21rocsparse_complex_numIdEEEv20rocsparse_operation_T3_S4_NS_24const_host_device_scalarIT4_EEPKT2_PKS4_PKS6_PS6_lPiSC_PS4_21rocsparse_index_base_20rocsparse_fill_mode_20rocsparse_diag_type_b.uses_flat_scratch, 0
	.set _ZN9rocsparseL5csrsmILj256ELj64ELb1Eii21rocsparse_complex_numIdEEEv20rocsparse_operation_T3_S4_NS_24const_host_device_scalarIT4_EEPKT2_PKS4_PKS6_PS6_lPiSC_PS4_21rocsparse_index_base_20rocsparse_fill_mode_20rocsparse_diag_type_b.has_dyn_sized_stack, 0
	.set _ZN9rocsparseL5csrsmILj256ELj64ELb1Eii21rocsparse_complex_numIdEEEv20rocsparse_operation_T3_S4_NS_24const_host_device_scalarIT4_EEPKT2_PKS4_PKS6_PS6_lPiSC_PS4_21rocsparse_index_base_20rocsparse_fill_mode_20rocsparse_diag_type_b.has_recursion, 0
	.set _ZN9rocsparseL5csrsmILj256ELj64ELb1Eii21rocsparse_complex_numIdEEEv20rocsparse_operation_T3_S4_NS_24const_host_device_scalarIT4_EEPKT2_PKS4_PKS6_PS6_lPiSC_PS4_21rocsparse_index_base_20rocsparse_fill_mode_20rocsparse_diag_type_b.has_indirect_call, 0
	.section	.AMDGPU.csdata,"",@progbits
; Kernel info:
; codeLenInByte = 2192
; TotalNumSgprs: 32
; NumVgprs: 28
; ScratchSize: 16
; MemoryBound: 0
; FloatMode: 240
; IeeeMode: 1
; LDSByteSize: 5120 bytes/workgroup (compile time only)
; SGPRBlocks: 0
; VGPRBlocks: 1
; NumSGPRsForWavesPerEU: 32
; NumVGPRsForWavesPerEU: 28
; NamedBarCnt: 0
; Occupancy: 16
; WaveLimiterHint : 1
; COMPUTE_PGM_RSRC2:SCRATCH_EN: 1
; COMPUTE_PGM_RSRC2:USER_SGPR: 2
; COMPUTE_PGM_RSRC2:TRAP_HANDLER: 0
; COMPUTE_PGM_RSRC2:TGID_X_EN: 1
; COMPUTE_PGM_RSRC2:TGID_Y_EN: 0
; COMPUTE_PGM_RSRC2:TGID_Z_EN: 0
; COMPUTE_PGM_RSRC2:TIDIG_COMP_CNT: 0
	.section	.text._ZN9rocsparseL5csrsmILj256ELj64ELb0Eii21rocsparse_complex_numIdEEEv20rocsparse_operation_T3_S4_NS_24const_host_device_scalarIT4_EEPKT2_PKS4_PKS6_PS6_lPiSC_PS4_21rocsparse_index_base_20rocsparse_fill_mode_20rocsparse_diag_type_b,"axG",@progbits,_ZN9rocsparseL5csrsmILj256ELj64ELb0Eii21rocsparse_complex_numIdEEEv20rocsparse_operation_T3_S4_NS_24const_host_device_scalarIT4_EEPKT2_PKS4_PKS6_PS6_lPiSC_PS4_21rocsparse_index_base_20rocsparse_fill_mode_20rocsparse_diag_type_b,comdat
	.globl	_ZN9rocsparseL5csrsmILj256ELj64ELb0Eii21rocsparse_complex_numIdEEEv20rocsparse_operation_T3_S4_NS_24const_host_device_scalarIT4_EEPKT2_PKS4_PKS6_PS6_lPiSC_PS4_21rocsparse_index_base_20rocsparse_fill_mode_20rocsparse_diag_type_b ; -- Begin function _ZN9rocsparseL5csrsmILj256ELj64ELb0Eii21rocsparse_complex_numIdEEEv20rocsparse_operation_T3_S4_NS_24const_host_device_scalarIT4_EEPKT2_PKS4_PKS6_PS6_lPiSC_PS4_21rocsparse_index_base_20rocsparse_fill_mode_20rocsparse_diag_type_b
	.p2align	8
	.type	_ZN9rocsparseL5csrsmILj256ELj64ELb0Eii21rocsparse_complex_numIdEEEv20rocsparse_operation_T3_S4_NS_24const_host_device_scalarIT4_EEPKT2_PKS4_PKS6_PS6_lPiSC_PS4_21rocsparse_index_base_20rocsparse_fill_mode_20rocsparse_diag_type_b,@function
_ZN9rocsparseL5csrsmILj256ELj64ELb0Eii21rocsparse_complex_numIdEEEv20rocsparse_operation_T3_S4_NS_24const_host_device_scalarIT4_EEPKT2_PKS4_PKS6_PS6_lPiSC_PS4_21rocsparse_index_base_20rocsparse_fill_mode_20rocsparse_diag_type_b: ; @_ZN9rocsparseL5csrsmILj256ELj64ELb0Eii21rocsparse_complex_numIdEEEv20rocsparse_operation_T3_S4_NS_24const_host_device_scalarIT4_EEPKT2_PKS4_PKS6_PS6_lPiSC_PS4_21rocsparse_index_base_20rocsparse_fill_mode_20rocsparse_diag_type_b
; %bb.0:
	s_clause 0x1
	s_load_b128 s[4:7], s[0:1], 0x60
	s_load_b128 s[8:11], s[0:1], 0x10
	v_mbcnt_lo_u32_b32 v1, -1, 0
	s_clause 0x1
	s_load_b64 s[2:3], s[0:1], 0x20
	s_load_b64 s[16:17], s[0:1], 0x50
	s_delay_alu instid0(VALU_DEP_1) | instskip(NEXT) | instid1(VALU_DEP_1)
	v_dual_mov_b32 v2, 0 :: v_dual_lshlrev_b32 v3, 20, v1
	v_add_nc_u64_e32 v[2:3], src_flat_scratch_base_lo, v[2:3]
	s_wait_kmcnt 0x0
	s_bitcmp1_b32 s7, 0
	v_mov_b64_e32 v[4:5], s[8:9]
	s_cselect_b32 vcc_lo, -1, 0
	v_mov_b64_e32 v[8:9], s[10:11]
	s_delay_alu instid0(VALU_DEP_3)
	v_cndmask_b32_e32 v3, s9, v3, vcc_lo
	v_cndmask_b32_e32 v2, s8, v2, vcc_lo
	s_and_b32 vcc_lo, exec_lo, vcc_lo
	scratch_store_b64 off, v[4:5], off
	flat_load_b64 v[6:7], v[2:3]
	s_cbranch_vccnz .LBB39_2
; %bb.1:
	v_mov_b32_e32 v1, 0
	flat_load_b64 v[8:9], v1, s[8:9] offset:8
.LBB39_2:
	s_load_b96 s[12:14], s[0:1], 0x0
	s_bfe_u32 s9, ttmp6, 0x4000c
	s_and_b32 s8, ttmp6, 15
	s_add_co_i32 s9, s9, 1
	s_getreg_b32 s11, hwreg(HW_REG_IB_STS2, 6, 4)
	s_mul_i32 s9, ttmp9, s9
	s_delay_alu instid0(SALU_CYCLE_1) | instskip(SKIP_3) | instid1(SALU_CYCLE_2)
	s_add_co_i32 s8, s8, s9
	s_wait_kmcnt 0x0
	s_cvt_f32_u32 s7, s13
	s_sub_co_i32 s10, 0, s13
	v_rcp_iflag_f32_e32 v1, s7
	v_nop
	s_delay_alu instid0(TRANS32_DEP_1) | instskip(SKIP_1) | instid1(SALU_CYCLE_3)
	v_readfirstlane_b32 s7, v1
	s_mul_f32 s7, s7, 0x4f7ffffe
	s_cvt_u32_f32 s7, s7
	s_delay_alu instid0(SALU_CYCLE_3) | instskip(NEXT) | instid1(SALU_CYCLE_1)
	s_mul_i32 s10, s10, s7
	s_mul_hi_u32 s10, s7, s10
	s_delay_alu instid0(SALU_CYCLE_1) | instskip(SKIP_2) | instid1(SALU_CYCLE_1)
	s_add_co_i32 s7, s7, s10
	s_cmp_eq_u32 s11, 0
	s_cselect_b32 s8, ttmp9, s8
	s_mul_hi_u32 s7, s8, s7
	s_delay_alu instid0(SALU_CYCLE_1) | instskip(SKIP_2) | instid1(SALU_CYCLE_1)
	s_mul_i32 s9, s7, s13
	s_add_co_i32 s10, s7, 1
	s_sub_co_i32 s9, s8, s9
	s_sub_co_i32 s11, s9, s13
	s_cmp_ge_u32 s9, s13
	s_cselect_b32 s7, s10, s7
	s_cselect_b32 s9, s11, s9
	s_add_co_i32 s10, s7, 1
	s_cmp_ge_u32 s9, s13
	s_cselect_b32 s15, s10, s7
	s_delay_alu instid0(SALU_CYCLE_1) | instskip(SKIP_2) | instid1(SALU_CYCLE_1)
	s_mul_i32 s7, s15, s13
	v_lshl_or_b32 v10, s15, 8, v0
	s_sub_co_i32 s8, s8, s7
	s_ashr_i32 s9, s8, 31
	s_delay_alu instid0(VALU_DEP_1) | instskip(SKIP_1) | instid1(SALU_CYCLE_1)
	v_ashrrev_i32_e32 v11, 31, v10
	s_lshl_b64 s[8:9], s[8:9], 2
	s_add_nc_u64 s[18:19], s[16:17], s[8:9]
	s_load_b32 s16, s[18:19], 0x0
	s_load_b128 s[8:11], s[0:1], 0x38
	s_wait_kmcnt 0x0
	s_ashr_i32 s17, s16, 31
	s_delay_alu instid0(SALU_CYCLE_1)
	s_lshl_b64 s[18:19], s[16:17], 2
	s_cmp_lg_u32 s12, 0x71
	s_add_nc_u64 s[2:3], s[2:3], s[18:19]
	s_mul_u64 s[18:19], s[10:11], s[16:17]
	s_load_b64 s[22:23], s[2:3], 0x0
	v_add_nc_u64_e32 v[12:13], s[18:19], v[10:11]
	s_wait_xcnt 0x0
	v_cmp_gt_i32_e64 s2, s14, v10
	s_cbranch_scc0 .LBB39_47
; %bb.3:
	v_mov_b64_e32 v[4:5], 0
	v_mov_b64_e32 v[2:3], 0
	s_and_saveexec_b32 s3, s2
	s_cbranch_execz .LBB39_5
; %bb.4:
	v_lshl_add_u64 v[2:3], v[12:13], 4, s[8:9]
	global_load_b128 v[14:17], v[2:3], off
	s_wait_loadcnt_dscnt 0x0
	v_mul_f64_e64 v[2:3], v[16:17], -v[8:9]
	v_mul_f64_e32 v[4:5], v[6:7], v[16:17]
	s_delay_alu instid0(VALU_DEP_2) | instskip(NEXT) | instid1(VALU_DEP_2)
	v_fmac_f64_e32 v[2:3], v[6:7], v[14:15]
	v_fmac_f64_e32 v[4:5], v[8:9], v[14:15]
.LBB39_5:
	s_or_b32 exec_lo, exec_lo, s3
	s_load_b64 s[20:21], s[0:1], 0x48
	s_cbranch_execz .LBB39_48
; %bb.6:
	v_lshl_add_u64 v[10:11], v[10:11], 4, s[8:9]
	v_cmp_eq_u32_e64 s3, 0, v0
	s_wait_kmcnt 0x0
	s_cmp_ge_i32 s22, s23
	s_cbranch_scc1 .LBB39_51
.LBB39_7:
	s_clause 0x1
	s_load_b64 s[8:9], s[0:1], 0x58
	s_load_b128 s[12:15], s[0:1], 0x28
	v_mov_b64_e32 v[14:15], 1.0
	v_mov_b64_e32 v[12:13], 0
	s_sub_co_i32 s17, s22, s4
	s_sub_co_i32 s24, s23, s4
	v_lshl_or_b32 v1, v0, 2, 0x1000
	v_dual_mov_b32 v25, 0 :: v_dual_lshlrev_b32 v24, 4, v0
	s_cmp_eq_u32 s6, 0
	s_mov_b32 s27, s17
	s_cselect_b32 s25, -1, 0
	s_add_co_i32 s26, s16, s4
	s_wait_xcnt 0x0
	s_sub_co_i32 s0, s27, s17
	s_delay_alu instid0(SALU_CYCLE_1) | instskip(NEXT) | instid1(SALU_CYCLE_1)
	s_and_b32 s1, s0, 0xff
	s_cmp_lg_u32 s1, 0
	s_cbranch_scc1 .LBB39_11
.LBB39_8:
	s_sub_co_i32 s0, s24, s27
	s_wait_loadcnt_dscnt 0x0
	v_mov_b64_e32 v[6:7], -1.0
	v_mov_b64_e32 v[8:9], 0
	v_cmp_gt_u32_e32 vcc_lo, s0, v0
	v_mov_b32_e32 v16, -1
	s_and_saveexec_b32 s0, vcc_lo
	s_cbranch_execz .LBB39_10
; %bb.9:
	v_add_nc_u32_e32 v16, s27, v0
	s_wait_kmcnt 0x0
	s_clause 0x1
	global_load_b32 v17, v16, s[12:13] scale_offset
	global_load_b128 v[6:9], v16, s[14:15] scale_offset
	s_wait_loadcnt 0x1
	s_wait_xcnt 0x0
	v_subrev_nc_u32_e32 v16, s4, v17
.LBB39_10:
	s_or_b32 exec_lo, exec_lo, s0
	ds_store_b32 v1, v16
	s_wait_loadcnt 0x0
	ds_store_b128 v24, v[6:9]
.LBB39_11:                              ; =>This Loop Header: Depth=1
                                        ;     Child Loop BB39_37 Depth 2
	s_lshl_b32 s0, s1, 4
	s_wait_storecnt 0x0
	s_wait_loadcnt_dscnt 0x0
	v_mov_b32_e32 v6, s0
	s_barrier_signal -1
	s_barrier_wait -1
	s_lshl_b32 s1, s1, 2
	ds_load_b128 v[16:19], v6
	v_mov_b32_e32 v6, s1
	ds_load_b32 v6, v6 offset:4096
	s_wait_dscnt 0x1
	v_cmp_eq_f64_e32 vcc_lo, 0, v[16:17]
	v_cmp_eq_f64_e64 s0, 0, v[18:19]
	s_wait_dscnt 0x0
	v_readfirstlane_b32 s22, v6
	s_and_b32 s0, vcc_lo, s0
	s_cmp_eq_u32 s22, s16
	s_cselect_b32 s28, -1, 0
	s_cmp_lg_u32 s22, s16
	s_cselect_b32 s1, -1, 0
	s_and_b32 s0, s0, s28
	s_delay_alu instid0(SALU_CYCLE_1) | instskip(NEXT) | instid1(SALU_CYCLE_1)
	s_and_b32 s0, s25, s0
	v_cndmask_b32_e64 v7, v19, 0, s0
	v_cndmask_b32_e64 v6, v18, 0, s0
	;; [unrolled: 1-line block ×4, first 2 shown]
	s_and_b32 s23, s3, s0
	s_delay_alu instid0(SALU_CYCLE_1)
	s_and_saveexec_b32 s0, s23
	s_cbranch_execz .LBB39_15
; %bb.12:                               ;   in Loop: Header=BB39_11 Depth=1
	v_mbcnt_lo_u32_b32 v6, exec_lo, 0
	s_mov_b32 s23, exec_lo
	s_delay_alu instid0(VALU_DEP_1)
	v_cmpx_eq_u32_e32 0, v6
	s_cbranch_execz .LBB39_14
; %bb.13:                               ;   in Loop: Header=BB39_11 Depth=1
	v_mov_b32_e32 v6, s26
	s_wait_kmcnt 0x0
	global_atomic_min_i32 v25, v6, s[8:9] scope:SCOPE_DEV
.LBB39_14:                              ;   in Loop: Header=BB39_11 Depth=1
	s_wait_xcnt 0x0
	s_or_b32 exec_lo, exec_lo, s23
	v_mov_b64_e32 v[8:9], 1.0
	v_mov_b64_e32 v[6:7], 0
.LBB39_15:                              ;   in Loop: Header=BB39_11 Depth=1
	s_or_b32 exec_lo, exec_lo, s0
	s_mov_b32 s29, -1
	s_mov_b32 s0, 0
	s_cmp_lt_i32 s5, 1
	s_mov_b32 s23, 0
                                        ; implicit-def: $vgpr16_vgpr17
                                        ; implicit-def: $vgpr18_vgpr19
	s_cbranch_scc0 .LBB39_22
; %bb.16:                               ;   in Loop: Header=BB39_11 Depth=1
	s_and_b32 vcc_lo, exec_lo, s29
	s_mov_b32 s28, 4
	s_cbranch_vccnz .LBB39_29
.LBB39_17:                              ;   in Loop: Header=BB39_11 Depth=1
	v_mov_b64_e32 v[22:23], v[4:5]
	v_mov_b64_e32 v[20:21], v[2:3]
	s_and_b32 vcc_lo, exec_lo, s23
	s_cbranch_vccnz .LBB39_34
.LBB39_18:                              ;   in Loop: Header=BB39_11 Depth=1
	s_and_b32 vcc_lo, exec_lo, s0
	s_cbranch_vccnz .LBB39_41
.LBB39_19:                              ;   in Loop: Header=BB39_11 Depth=1
	s_mov_b32 s0, -1
	s_cmp_gt_i32 s28, 3
	s_mov_b32 s1, -1
	s_cbranch_scc0 .LBB39_44
.LBB39_20:                              ;   in Loop: Header=BB39_11 Depth=1
	s_and_not1_b32 vcc_lo, exec_lo, s1
	s_cbranch_vccz .LBB39_45
.LBB39_21:                              ;   in Loop: Header=BB39_11 Depth=1
	s_delay_alu instid0(VALU_DEP_1) | instskip(NEXT) | instid1(VALU_DEP_2)
	v_mov_b64_e32 v[4:5], v[22:23]
	v_mov_b64_e32 v[2:3], v[20:21]
	s_and_not1_b32 vcc_lo, exec_lo, s0
	s_cbranch_vccnz .LBB39_46
	s_branch .LBB39_52
.LBB39_22:                              ;   in Loop: Header=BB39_11 Depth=1
	s_cmp_eq_u32 s5, 1
	s_mov_b32 s23, -1
                                        ; implicit-def: $vgpr16_vgpr17
                                        ; implicit-def: $vgpr18_vgpr19
	s_cbranch_scc0 .LBB39_28
; %bb.23:                               ;   in Loop: Header=BB39_11 Depth=1
	v_mov_b64_e32 v[16:17], v[12:13]
	v_mov_b64_e32 v[18:19], v[14:15]
	s_cmp_ge_i32 s22, s16
	s_mov_b32 s23, 0
	s_cbranch_scc0 .LBB39_28
; %bb.24:                               ;   in Loop: Header=BB39_11 Depth=1
	s_and_b32 vcc_lo, exec_lo, s28
	s_mov_b32 s23, -1
                                        ; implicit-def: $vgpr16_vgpr17
                                        ; implicit-def: $vgpr18_vgpr19
	s_cbranch_vccz .LBB39_28
; %bb.25:                               ;   in Loop: Header=BB39_11 Depth=1
	v_mov_b64_e32 v[16:17], v[12:13]
	v_mov_b64_e32 v[18:19], v[14:15]
	s_and_not1_b32 vcc_lo, exec_lo, s25
	s_cbranch_vccnz .LBB39_27
; %bb.26:                               ;   in Loop: Header=BB39_11 Depth=1
	v_mul_f64_e32 v[16:17], v[6:7], v[6:7]
	s_delay_alu instid0(VALU_DEP_1) | instskip(NEXT) | instid1(VALU_DEP_1)
	v_fmac_f64_e32 v[16:17], v[8:9], v[8:9]
	v_div_scale_f64 v[18:19], null, v[16:17], v[16:17], 1.0
	v_div_scale_f64 v[26:27], vcc_lo, 1.0, v[16:17], 1.0
	s_delay_alu instid0(VALU_DEP_2) | instskip(SKIP_1) | instid1(TRANS32_DEP_1)
	v_rcp_f64_e32 v[20:21], v[18:19]
	v_nop
	v_fma_f64 v[22:23], -v[18:19], v[20:21], 1.0
	s_delay_alu instid0(VALU_DEP_1) | instskip(NEXT) | instid1(VALU_DEP_1)
	v_fmac_f64_e32 v[20:21], v[20:21], v[22:23]
	v_fma_f64 v[22:23], -v[18:19], v[20:21], 1.0
	s_delay_alu instid0(VALU_DEP_1) | instskip(NEXT) | instid1(VALU_DEP_1)
	v_fmac_f64_e32 v[20:21], v[20:21], v[22:23]
	v_mul_f64_e32 v[22:23], v[26:27], v[20:21]
	s_delay_alu instid0(VALU_DEP_1) | instskip(NEXT) | instid1(VALU_DEP_1)
	v_fma_f64 v[18:19], -v[18:19], v[22:23], v[26:27]
	v_div_fmas_f64 v[18:19], v[18:19], v[20:21], v[22:23]
	v_fma_f64 v[20:21], 0, v[6:7], v[8:9]
	v_fma_f64 v[22:23], v[8:9], 0, -v[6:7]
	s_delay_alu instid0(VALU_DEP_3) | instskip(NEXT) | instid1(VALU_DEP_1)
	v_div_fixup_f64 v[16:17], v[18:19], v[16:17], 1.0
	v_mul_f64_e32 v[18:19], v[20:21], v[16:17]
	s_delay_alu instid0(VALU_DEP_3)
	v_mul_f64_e32 v[16:17], v[22:23], v[16:17]
.LBB39_27:                              ;   in Loop: Header=BB39_11 Depth=1
	s_mov_b32 s23, 0
.LBB39_28:                              ;   in Loop: Header=BB39_11 Depth=1
	s_mov_b32 s28, 4
	s_branch .LBB39_17
.LBB39_29:                              ;   in Loop: Header=BB39_11 Depth=1
	s_cmp_eq_u32 s5, 0
	s_cbranch_scc1 .LBB39_31
; %bb.30:                               ;   in Loop: Header=BB39_11 Depth=1
	s_mov_b32 s23, -1
	s_branch .LBB39_33
.LBB39_31:                              ;   in Loop: Header=BB39_11 Depth=1
	s_cmp_le_i32 s22, s16
	s_mov_b32 s23, 0
	s_cbranch_scc0 .LBB39_33
; %bb.32:                               ;   in Loop: Header=BB39_11 Depth=1
	s_mov_b32 s0, -1
	s_mov_b32 s23, s1
.LBB39_33:                              ;   in Loop: Header=BB39_11 Depth=1
	v_mov_b64_e32 v[16:17], v[12:13]
	v_mov_b64_e32 v[18:19], v[14:15]
	s_mov_b32 s28, 2
	v_mov_b64_e32 v[22:23], v[4:5]
	v_mov_b64_e32 v[20:21], v[2:3]
	s_and_b32 vcc_lo, exec_lo, s23
	s_cbranch_vccz .LBB39_18
.LBB39_34:                              ;   in Loop: Header=BB39_11 Depth=1
	s_and_saveexec_b32 s23, s3
	s_cbranch_execz .LBB39_38
; %bb.35:                               ;   in Loop: Header=BB39_11 Depth=1
	s_add_co_i32 s0, s22, s7
	s_delay_alu instid0(SALU_CYCLE_1)
	v_mov_b32_e32 v16, s0
	global_load_b32 v16, v16, s[20:21] scale_offset scope:SCOPE_DEV
	s_wait_loadcnt 0x0
	v_cmp_ne_u32_e32 vcc_lo, 0, v16
	s_cbranch_vccnz .LBB39_38
; %bb.36:                               ;   in Loop: Header=BB39_11 Depth=1
	s_ashr_i32 s1, s0, 31
	s_delay_alu instid0(SALU_CYCLE_1) | instskip(NEXT) | instid1(SALU_CYCLE_1)
	s_lshl_b64 s[0:1], s[0:1], 2
	s_add_nc_u64 s[0:1], s[20:21], s[0:1]
.LBB39_37:                              ;   Parent Loop BB39_11 Depth=1
                                        ; =>  This Inner Loop Header: Depth=2
	global_load_b32 v16, v25, s[0:1] scope:SCOPE_DEV
	s_wait_loadcnt 0x0
	v_cmp_eq_u32_e32 vcc_lo, 0, v16
	s_cbranch_vccnz .LBB39_37
.LBB39_38:                              ;   in Loop: Header=BB39_11 Depth=1
	s_wait_xcnt 0x0
	s_or_b32 exec_lo, exec_lo, s23
	v_mov_b64_e32 v[22:23], 0
	v_mov_b64_e32 v[20:21], 0
	s_wait_storecnt 0x0
	s_barrier_signal -1
	s_barrier_wait -1
	global_inv scope:SCOPE_DEV
	s_and_saveexec_b32 s0, s2
	s_cbranch_execz .LBB39_40
; %bb.39:                               ;   in Loop: Header=BB39_11 Depth=1
	s_ashr_i32 s23, s22, 31
	s_delay_alu instid0(SALU_CYCLE_1) | instskip(NEXT) | instid1(SALU_CYCLE_1)
	s_mul_u64 s[22:23], s[10:11], s[22:23]
	v_lshl_add_u64 v[16:17], s[22:23], 4, v[10:11]
	global_load_b128 v[16:19], v[16:17], off
	s_wait_loadcnt 0x0
	v_fma_f64 v[20:21], -v[8:9], v[16:17], v[2:3]
	v_fma_f64 v[16:17], -v[6:7], v[16:17], v[4:5]
	s_delay_alu instid0(VALU_DEP_2) | instskip(NEXT) | instid1(VALU_DEP_2)
	v_fmac_f64_e32 v[20:21], v[6:7], v[18:19]
	v_fma_f64 v[22:23], -v[8:9], v[18:19], v[16:17]
.LBB39_40:                              ;   in Loop: Header=BB39_11 Depth=1
	s_or_b32 exec_lo, exec_lo, s0
	v_mov_b64_e32 v[16:17], v[12:13]
	v_mov_b64_e32 v[18:19], v[14:15]
	s_mov_b32 s28, 0
	s_branch .LBB39_19
.LBB39_41:                              ;   in Loop: Header=BB39_11 Depth=1
	s_and_not1_b32 vcc_lo, exec_lo, s25
	s_cbranch_vccnz .LBB39_43
; %bb.42:                               ;   in Loop: Header=BB39_11 Depth=1
	v_mul_f64_e32 v[12:13], v[6:7], v[6:7]
	s_delay_alu instid0(VALU_DEP_1) | instskip(NEXT) | instid1(VALU_DEP_1)
	v_fmac_f64_e32 v[12:13], v[8:9], v[8:9]
	v_div_scale_f64 v[14:15], null, v[12:13], v[12:13], 1.0
	v_div_scale_f64 v[20:21], vcc_lo, 1.0, v[12:13], 1.0
	s_delay_alu instid0(VALU_DEP_2) | instskip(SKIP_1) | instid1(TRANS32_DEP_1)
	v_rcp_f64_e32 v[16:17], v[14:15]
	v_nop
	v_fma_f64 v[18:19], -v[14:15], v[16:17], 1.0
	s_delay_alu instid0(VALU_DEP_1) | instskip(NEXT) | instid1(VALU_DEP_1)
	v_fmac_f64_e32 v[16:17], v[16:17], v[18:19]
	v_fma_f64 v[18:19], -v[14:15], v[16:17], 1.0
	s_delay_alu instid0(VALU_DEP_1) | instskip(NEXT) | instid1(VALU_DEP_1)
	v_fmac_f64_e32 v[16:17], v[16:17], v[18:19]
	v_mul_f64_e32 v[18:19], v[20:21], v[16:17]
	s_delay_alu instid0(VALU_DEP_1) | instskip(NEXT) | instid1(VALU_DEP_1)
	v_fma_f64 v[14:15], -v[14:15], v[18:19], v[20:21]
	v_div_fmas_f64 v[14:15], v[14:15], v[16:17], v[18:19]
	v_fma_f64 v[16:17], 0, v[6:7], v[8:9]
	v_fma_f64 v[6:7], v[8:9], 0, -v[6:7]
	s_delay_alu instid0(VALU_DEP_3) | instskip(NEXT) | instid1(VALU_DEP_1)
	v_div_fixup_f64 v[12:13], v[14:15], v[12:13], 1.0
	v_mul_f64_e32 v[14:15], v[16:17], v[12:13]
	s_delay_alu instid0(VALU_DEP_3)
	v_mul_f64_e32 v[12:13], v[6:7], v[12:13]
.LBB39_43:                              ;   in Loop: Header=BB39_11 Depth=1
	s_delay_alu instid0(VALU_DEP_2) | instskip(NEXT) | instid1(VALU_DEP_2)
	v_mov_b64_e32 v[18:19], v[14:15]
	v_mov_b64_e32 v[16:17], v[12:13]
	;; [unrolled: 1-line block ×4, first 2 shown]
	s_mov_b32 s28, 2
	s_mov_b32 s0, -1
	s_cmp_gt_i32 s28, 3
	s_mov_b32 s1, -1
	s_cbranch_scc1 .LBB39_20
.LBB39_44:                              ;   in Loop: Header=BB39_11 Depth=1
	s_cmp_eq_u32 s28, 0
	s_cselect_b32 s1, -1, 0
	s_delay_alu instid0(SALU_CYCLE_1)
	s_and_not1_b32 vcc_lo, exec_lo, s1
	s_cbranch_vccnz .LBB39_21
.LBB39_45:                              ;   in Loop: Header=BB39_11 Depth=1
	s_add_co_i32 s27, s27, 1
	s_delay_alu instid0(SALU_CYCLE_1) | instskip(SKIP_1) | instid1(VALU_DEP_1)
	s_cmp_ge_i32 s27, s24
	s_cselect_b32 s0, -1, 0
	v_mov_b64_e32 v[4:5], v[22:23]
	s_delay_alu instid0(VALU_DEP_2)
	v_mov_b64_e32 v[2:3], v[20:21]
	s_and_not1_b32 vcc_lo, exec_lo, s0
	s_cbranch_vccz .LBB39_52
.LBB39_46:                              ;   in Loop: Header=BB39_11 Depth=1
	s_delay_alu instid0(VALU_DEP_4) | instskip(NEXT) | instid1(VALU_DEP_4)
	v_mov_b64_e32 v[12:13], v[16:17]
	v_mov_b64_e32 v[14:15], v[18:19]
	s_sub_co_i32 s0, s27, s17
	s_delay_alu instid0(SALU_CYCLE_1) | instskip(NEXT) | instid1(SALU_CYCLE_1)
	s_and_b32 s1, s0, 0xff
	s_cmp_lg_u32 s1, 0
	s_cbranch_scc1 .LBB39_11
	s_branch .LBB39_8
.LBB39_47:
                                        ; implicit-def: $vgpr4_vgpr5
	s_load_b64 s[20:21], s[0:1], 0x48
.LBB39_48:
	v_mov_b64_e32 v[4:5], 0
	v_mov_b64_e32 v[2:3], 0
	s_and_saveexec_b32 s3, s2
	s_cbranch_execz .LBB39_50
; %bb.49:
	v_lshl_add_u64 v[2:3], v[12:13], 4, s[8:9]
	global_load_b128 v[12:15], v[2:3], off
	s_wait_loadcnt_dscnt 0x0
	v_mul_f64_e32 v[2:3], v[8:9], v[14:15]
	v_mul_f64_e64 v[4:5], v[6:7], -v[14:15]
	s_delay_alu instid0(VALU_DEP_2) | instskip(NEXT) | instid1(VALU_DEP_2)
	v_fmac_f64_e32 v[2:3], v[6:7], v[12:13]
	v_fmac_f64_e32 v[4:5], v[8:9], v[12:13]
.LBB39_50:
	s_or_b32 exec_lo, exec_lo, s3
	v_lshl_add_u64 v[10:11], v[10:11], 4, s[8:9]
	v_cmp_eq_u32_e64 s3, 0, v0
	s_wait_kmcnt 0x0
	s_cmp_ge_i32 s22, s23
	s_cbranch_scc0 .LBB39_7
.LBB39_51:
	v_mov_b64_e32 v[18:19], 1.0
	v_mov_b64_e32 v[16:17], 0
.LBB39_52:
	s_cmp_lg_u32 s6, 0
	s_cbranch_scc0 .LBB39_58
; %bb.53:
	s_and_saveexec_b32 s0, s2
	s_cbranch_execz .LBB39_55
.LBB39_54:
	s_wait_loadcnt_dscnt 0x0
	v_lshl_add_u64 v[6:7], s[18:19], 4, v[10:11]
	global_store_b128 v[6:7], v[2:5], off
.LBB39_55:
	s_wait_xcnt 0x0
	s_or_b32 exec_lo, exec_lo, s0
	global_wb scope:SCOPE_DEV
	s_wait_storecnt 0x0
	s_wait_loadcnt_dscnt 0x0
	global_inv scope:SCOPE_DEV
	s_wait_loadcnt 0x0
	s_barrier_signal -1
	s_barrier_wait -1
	s_mov_b32 s0, exec_lo
	v_cmpx_eq_u32_e32 0, v0
	s_cbranch_execz .LBB39_57
; %bb.56:
	s_add_co_i32 s0, s16, s7
	s_delay_alu instid0(SALU_CYCLE_1)
	v_dual_mov_b32 v0, 1 :: v_dual_mov_b32 v1, s0
	global_store_b32 v1, v0, s[20:21] scale_offset scope:SCOPE_DEV
.LBB39_57:
	s_endpgm
.LBB39_58:
	s_wait_loadcnt_dscnt 0x0
	s_delay_alu instid0(VALU_DEP_1) | instskip(SKIP_1) | instid1(VALU_DEP_2)
	v_mul_f64_e64 v[6:7], v[16:17], -v[4:5]
	v_mul_f64_e32 v[8:9], v[16:17], v[2:3]
	v_fmac_f64_e32 v[6:7], v[2:3], v[18:19]
	s_delay_alu instid0(VALU_DEP_2) | instskip(NEXT) | instid1(VALU_DEP_2)
	v_fmac_f64_e32 v[8:9], v[4:5], v[18:19]
	v_mov_b64_e32 v[2:3], v[6:7]
	s_delay_alu instid0(VALU_DEP_2)
	v_mov_b64_e32 v[4:5], v[8:9]
	s_and_saveexec_b32 s0, s2
	s_cbranch_execnz .LBB39_54
	s_branch .LBB39_55
	.section	.rodata,"a",@progbits
	.p2align	6, 0x0
	.amdhsa_kernel _ZN9rocsparseL5csrsmILj256ELj64ELb0Eii21rocsparse_complex_numIdEEEv20rocsparse_operation_T3_S4_NS_24const_host_device_scalarIT4_EEPKT2_PKS4_PKS6_PS6_lPiSC_PS4_21rocsparse_index_base_20rocsparse_fill_mode_20rocsparse_diag_type_b
		.amdhsa_group_segment_fixed_size 5120
		.amdhsa_private_segment_fixed_size 16
		.amdhsa_kernarg_size 112
		.amdhsa_user_sgpr_count 2
		.amdhsa_user_sgpr_dispatch_ptr 0
		.amdhsa_user_sgpr_queue_ptr 0
		.amdhsa_user_sgpr_kernarg_segment_ptr 1
		.amdhsa_user_sgpr_dispatch_id 0
		.amdhsa_user_sgpr_kernarg_preload_length 0
		.amdhsa_user_sgpr_kernarg_preload_offset 0
		.amdhsa_user_sgpr_private_segment_size 0
		.amdhsa_wavefront_size32 1
		.amdhsa_uses_dynamic_stack 0
		.amdhsa_enable_private_segment 1
		.amdhsa_system_sgpr_workgroup_id_x 1
		.amdhsa_system_sgpr_workgroup_id_y 0
		.amdhsa_system_sgpr_workgroup_id_z 0
		.amdhsa_system_sgpr_workgroup_info 0
		.amdhsa_system_vgpr_workitem_id 0
		.amdhsa_next_free_vgpr 28
		.amdhsa_next_free_sgpr 30
		.amdhsa_named_barrier_count 0
		.amdhsa_reserve_vcc 1
		.amdhsa_float_round_mode_32 0
		.amdhsa_float_round_mode_16_64 0
		.amdhsa_float_denorm_mode_32 3
		.amdhsa_float_denorm_mode_16_64 3
		.amdhsa_fp16_overflow 0
		.amdhsa_memory_ordered 1
		.amdhsa_forward_progress 1
		.amdhsa_inst_pref_size 17
		.amdhsa_round_robin_scheduling 0
		.amdhsa_exception_fp_ieee_invalid_op 0
		.amdhsa_exception_fp_denorm_src 0
		.amdhsa_exception_fp_ieee_div_zero 0
		.amdhsa_exception_fp_ieee_overflow 0
		.amdhsa_exception_fp_ieee_underflow 0
		.amdhsa_exception_fp_ieee_inexact 0
		.amdhsa_exception_int_div_zero 0
	.end_amdhsa_kernel
	.section	.text._ZN9rocsparseL5csrsmILj256ELj64ELb0Eii21rocsparse_complex_numIdEEEv20rocsparse_operation_T3_S4_NS_24const_host_device_scalarIT4_EEPKT2_PKS4_PKS6_PS6_lPiSC_PS4_21rocsparse_index_base_20rocsparse_fill_mode_20rocsparse_diag_type_b,"axG",@progbits,_ZN9rocsparseL5csrsmILj256ELj64ELb0Eii21rocsparse_complex_numIdEEEv20rocsparse_operation_T3_S4_NS_24const_host_device_scalarIT4_EEPKT2_PKS4_PKS6_PS6_lPiSC_PS4_21rocsparse_index_base_20rocsparse_fill_mode_20rocsparse_diag_type_b,comdat
.Lfunc_end39:
	.size	_ZN9rocsparseL5csrsmILj256ELj64ELb0Eii21rocsparse_complex_numIdEEEv20rocsparse_operation_T3_S4_NS_24const_host_device_scalarIT4_EEPKT2_PKS4_PKS6_PS6_lPiSC_PS4_21rocsparse_index_base_20rocsparse_fill_mode_20rocsparse_diag_type_b, .Lfunc_end39-_ZN9rocsparseL5csrsmILj256ELj64ELb0Eii21rocsparse_complex_numIdEEEv20rocsparse_operation_T3_S4_NS_24const_host_device_scalarIT4_EEPKT2_PKS4_PKS6_PS6_lPiSC_PS4_21rocsparse_index_base_20rocsparse_fill_mode_20rocsparse_diag_type_b
                                        ; -- End function
	.set _ZN9rocsparseL5csrsmILj256ELj64ELb0Eii21rocsparse_complex_numIdEEEv20rocsparse_operation_T3_S4_NS_24const_host_device_scalarIT4_EEPKT2_PKS4_PKS6_PS6_lPiSC_PS4_21rocsparse_index_base_20rocsparse_fill_mode_20rocsparse_diag_type_b.num_vgpr, 28
	.set _ZN9rocsparseL5csrsmILj256ELj64ELb0Eii21rocsparse_complex_numIdEEEv20rocsparse_operation_T3_S4_NS_24const_host_device_scalarIT4_EEPKT2_PKS4_PKS6_PS6_lPiSC_PS4_21rocsparse_index_base_20rocsparse_fill_mode_20rocsparse_diag_type_b.num_agpr, 0
	.set _ZN9rocsparseL5csrsmILj256ELj64ELb0Eii21rocsparse_complex_numIdEEEv20rocsparse_operation_T3_S4_NS_24const_host_device_scalarIT4_EEPKT2_PKS4_PKS6_PS6_lPiSC_PS4_21rocsparse_index_base_20rocsparse_fill_mode_20rocsparse_diag_type_b.numbered_sgpr, 30
	.set _ZN9rocsparseL5csrsmILj256ELj64ELb0Eii21rocsparse_complex_numIdEEEv20rocsparse_operation_T3_S4_NS_24const_host_device_scalarIT4_EEPKT2_PKS4_PKS6_PS6_lPiSC_PS4_21rocsparse_index_base_20rocsparse_fill_mode_20rocsparse_diag_type_b.num_named_barrier, 0
	.set _ZN9rocsparseL5csrsmILj256ELj64ELb0Eii21rocsparse_complex_numIdEEEv20rocsparse_operation_T3_S4_NS_24const_host_device_scalarIT4_EEPKT2_PKS4_PKS6_PS6_lPiSC_PS4_21rocsparse_index_base_20rocsparse_fill_mode_20rocsparse_diag_type_b.private_seg_size, 16
	.set _ZN9rocsparseL5csrsmILj256ELj64ELb0Eii21rocsparse_complex_numIdEEEv20rocsparse_operation_T3_S4_NS_24const_host_device_scalarIT4_EEPKT2_PKS4_PKS6_PS6_lPiSC_PS4_21rocsparse_index_base_20rocsparse_fill_mode_20rocsparse_diag_type_b.uses_vcc, 1
	.set _ZN9rocsparseL5csrsmILj256ELj64ELb0Eii21rocsparse_complex_numIdEEEv20rocsparse_operation_T3_S4_NS_24const_host_device_scalarIT4_EEPKT2_PKS4_PKS6_PS6_lPiSC_PS4_21rocsparse_index_base_20rocsparse_fill_mode_20rocsparse_diag_type_b.uses_flat_scratch, 0
	.set _ZN9rocsparseL5csrsmILj256ELj64ELb0Eii21rocsparse_complex_numIdEEEv20rocsparse_operation_T3_S4_NS_24const_host_device_scalarIT4_EEPKT2_PKS4_PKS6_PS6_lPiSC_PS4_21rocsparse_index_base_20rocsparse_fill_mode_20rocsparse_diag_type_b.has_dyn_sized_stack, 0
	.set _ZN9rocsparseL5csrsmILj256ELj64ELb0Eii21rocsparse_complex_numIdEEEv20rocsparse_operation_T3_S4_NS_24const_host_device_scalarIT4_EEPKT2_PKS4_PKS6_PS6_lPiSC_PS4_21rocsparse_index_base_20rocsparse_fill_mode_20rocsparse_diag_type_b.has_recursion, 0
	.set _ZN9rocsparseL5csrsmILj256ELj64ELb0Eii21rocsparse_complex_numIdEEEv20rocsparse_operation_T3_S4_NS_24const_host_device_scalarIT4_EEPKT2_PKS4_PKS6_PS6_lPiSC_PS4_21rocsparse_index_base_20rocsparse_fill_mode_20rocsparse_diag_type_b.has_indirect_call, 0
	.section	.AMDGPU.csdata,"",@progbits
; Kernel info:
; codeLenInByte = 2128
; TotalNumSgprs: 32
; NumVgprs: 28
; ScratchSize: 16
; MemoryBound: 0
; FloatMode: 240
; IeeeMode: 1
; LDSByteSize: 5120 bytes/workgroup (compile time only)
; SGPRBlocks: 0
; VGPRBlocks: 1
; NumSGPRsForWavesPerEU: 32
; NumVGPRsForWavesPerEU: 28
; NamedBarCnt: 0
; Occupancy: 16
; WaveLimiterHint : 1
; COMPUTE_PGM_RSRC2:SCRATCH_EN: 1
; COMPUTE_PGM_RSRC2:USER_SGPR: 2
; COMPUTE_PGM_RSRC2:TRAP_HANDLER: 0
; COMPUTE_PGM_RSRC2:TGID_X_EN: 1
; COMPUTE_PGM_RSRC2:TGID_Y_EN: 0
; COMPUTE_PGM_RSRC2:TGID_Z_EN: 0
; COMPUTE_PGM_RSRC2:TIDIG_COMP_CNT: 0
	.section	.text._ZN9rocsparseL5csrsmILj512ELj64ELb1Eii21rocsparse_complex_numIdEEEv20rocsparse_operation_T3_S4_NS_24const_host_device_scalarIT4_EEPKT2_PKS4_PKS6_PS6_lPiSC_PS4_21rocsparse_index_base_20rocsparse_fill_mode_20rocsparse_diag_type_b,"axG",@progbits,_ZN9rocsparseL5csrsmILj512ELj64ELb1Eii21rocsparse_complex_numIdEEEv20rocsparse_operation_T3_S4_NS_24const_host_device_scalarIT4_EEPKT2_PKS4_PKS6_PS6_lPiSC_PS4_21rocsparse_index_base_20rocsparse_fill_mode_20rocsparse_diag_type_b,comdat
	.globl	_ZN9rocsparseL5csrsmILj512ELj64ELb1Eii21rocsparse_complex_numIdEEEv20rocsparse_operation_T3_S4_NS_24const_host_device_scalarIT4_EEPKT2_PKS4_PKS6_PS6_lPiSC_PS4_21rocsparse_index_base_20rocsparse_fill_mode_20rocsparse_diag_type_b ; -- Begin function _ZN9rocsparseL5csrsmILj512ELj64ELb1Eii21rocsparse_complex_numIdEEEv20rocsparse_operation_T3_S4_NS_24const_host_device_scalarIT4_EEPKT2_PKS4_PKS6_PS6_lPiSC_PS4_21rocsparse_index_base_20rocsparse_fill_mode_20rocsparse_diag_type_b
	.p2align	8
	.type	_ZN9rocsparseL5csrsmILj512ELj64ELb1Eii21rocsparse_complex_numIdEEEv20rocsparse_operation_T3_S4_NS_24const_host_device_scalarIT4_EEPKT2_PKS4_PKS6_PS6_lPiSC_PS4_21rocsparse_index_base_20rocsparse_fill_mode_20rocsparse_diag_type_b,@function
_ZN9rocsparseL5csrsmILj512ELj64ELb1Eii21rocsparse_complex_numIdEEEv20rocsparse_operation_T3_S4_NS_24const_host_device_scalarIT4_EEPKT2_PKS4_PKS6_PS6_lPiSC_PS4_21rocsparse_index_base_20rocsparse_fill_mode_20rocsparse_diag_type_b: ; @_ZN9rocsparseL5csrsmILj512ELj64ELb1Eii21rocsparse_complex_numIdEEEv20rocsparse_operation_T3_S4_NS_24const_host_device_scalarIT4_EEPKT2_PKS4_PKS6_PS6_lPiSC_PS4_21rocsparse_index_base_20rocsparse_fill_mode_20rocsparse_diag_type_b
; %bb.0:
	s_clause 0x1
	s_load_b128 s[4:7], s[0:1], 0x60
	s_load_b128 s[8:11], s[0:1], 0x10
	v_mbcnt_lo_u32_b32 v1, -1, 0
	s_clause 0x1
	s_load_b64 s[2:3], s[0:1], 0x20
	s_load_b64 s[16:17], s[0:1], 0x50
	s_delay_alu instid0(VALU_DEP_1) | instskip(NEXT) | instid1(VALU_DEP_1)
	v_dual_mov_b32 v2, 0 :: v_dual_lshlrev_b32 v3, 20, v1
	v_add_nc_u64_e32 v[2:3], src_flat_scratch_base_lo, v[2:3]
	s_wait_kmcnt 0x0
	s_bitcmp1_b32 s7, 0
	v_mov_b64_e32 v[4:5], s[8:9]
	s_cselect_b32 vcc_lo, -1, 0
	v_mov_b64_e32 v[8:9], s[10:11]
	s_delay_alu instid0(VALU_DEP_3)
	v_cndmask_b32_e32 v3, s9, v3, vcc_lo
	v_cndmask_b32_e32 v2, s8, v2, vcc_lo
	s_and_b32 vcc_lo, exec_lo, vcc_lo
	scratch_store_b64 off, v[4:5], off
	flat_load_b64 v[6:7], v[2:3]
	s_cbranch_vccnz .LBB40_2
; %bb.1:
	v_mov_b32_e32 v1, 0
	flat_load_b64 v[8:9], v1, s[8:9] offset:8
.LBB40_2:
	s_load_b96 s[12:14], s[0:1], 0x0
	s_bfe_u32 s9, ttmp6, 0x4000c
	s_and_b32 s8, ttmp6, 15
	s_add_co_i32 s9, s9, 1
	s_getreg_b32 s11, hwreg(HW_REG_IB_STS2, 6, 4)
	s_mul_i32 s9, ttmp9, s9
	s_delay_alu instid0(SALU_CYCLE_1) | instskip(SKIP_3) | instid1(SALU_CYCLE_2)
	s_add_co_i32 s8, s8, s9
	s_wait_kmcnt 0x0
	s_cvt_f32_u32 s7, s13
	s_sub_co_i32 s10, 0, s13
	v_rcp_iflag_f32_e32 v1, s7
	v_nop
	s_delay_alu instid0(TRANS32_DEP_1) | instskip(SKIP_1) | instid1(SALU_CYCLE_3)
	v_readfirstlane_b32 s7, v1
	s_mul_f32 s7, s7, 0x4f7ffffe
	s_cvt_u32_f32 s7, s7
	s_delay_alu instid0(SALU_CYCLE_3) | instskip(NEXT) | instid1(SALU_CYCLE_1)
	s_mul_i32 s10, s10, s7
	s_mul_hi_u32 s10, s7, s10
	s_delay_alu instid0(SALU_CYCLE_1) | instskip(SKIP_2) | instid1(SALU_CYCLE_1)
	s_add_co_i32 s7, s7, s10
	s_cmp_eq_u32 s11, 0
	s_cselect_b32 s8, ttmp9, s8
	s_mul_hi_u32 s7, s8, s7
	s_delay_alu instid0(SALU_CYCLE_1) | instskip(SKIP_2) | instid1(SALU_CYCLE_1)
	s_mul_i32 s9, s7, s13
	s_add_co_i32 s10, s7, 1
	s_sub_co_i32 s9, s8, s9
	s_sub_co_i32 s11, s9, s13
	s_cmp_ge_u32 s9, s13
	s_cselect_b32 s7, s10, s7
	s_cselect_b32 s9, s11, s9
	s_add_co_i32 s10, s7, 1
	s_cmp_ge_u32 s9, s13
	s_cselect_b32 s15, s10, s7
	s_delay_alu instid0(SALU_CYCLE_1) | instskip(SKIP_2) | instid1(SALU_CYCLE_1)
	s_mul_i32 s7, s15, s13
	v_lshl_or_b32 v10, s15, 9, v0
	s_sub_co_i32 s8, s8, s7
	s_ashr_i32 s9, s8, 31
	s_delay_alu instid0(VALU_DEP_1) | instskip(SKIP_1) | instid1(SALU_CYCLE_1)
	v_ashrrev_i32_e32 v11, 31, v10
	s_lshl_b64 s[8:9], s[8:9], 2
	s_add_nc_u64 s[18:19], s[16:17], s[8:9]
	s_load_b32 s16, s[18:19], 0x0
	s_load_b128 s[8:11], s[0:1], 0x38
	s_wait_kmcnt 0x0
	s_ashr_i32 s17, s16, 31
	s_delay_alu instid0(SALU_CYCLE_1)
	s_lshl_b64 s[18:19], s[16:17], 2
	s_cmp_lg_u32 s12, 0x71
	s_add_nc_u64 s[2:3], s[2:3], s[18:19]
	s_mul_u64 s[18:19], s[10:11], s[16:17]
	s_load_b64 s[22:23], s[2:3], 0x0
	v_add_nc_u64_e32 v[12:13], s[18:19], v[10:11]
	s_wait_xcnt 0x0
	v_cmp_gt_i32_e64 s2, s14, v10
	s_cbranch_scc0 .LBB40_49
; %bb.3:
	v_mov_b64_e32 v[4:5], 0
	v_mov_b64_e32 v[2:3], 0
	s_and_saveexec_b32 s3, s2
	s_cbranch_execz .LBB40_5
; %bb.4:
	v_lshl_add_u64 v[2:3], v[12:13], 4, s[8:9]
	global_load_b128 v[14:17], v[2:3], off
	s_wait_loadcnt_dscnt 0x0
	v_mul_f64_e64 v[2:3], v[16:17], -v[8:9]
	v_mul_f64_e32 v[4:5], v[6:7], v[16:17]
	s_delay_alu instid0(VALU_DEP_2) | instskip(NEXT) | instid1(VALU_DEP_2)
	v_fmac_f64_e32 v[2:3], v[6:7], v[14:15]
	v_fmac_f64_e32 v[4:5], v[8:9], v[14:15]
.LBB40_5:
	s_or_b32 exec_lo, exec_lo, s3
	s_load_b64 s[20:21], s[0:1], 0x48
	s_cbranch_execz .LBB40_50
; %bb.6:
	v_lshl_add_u64 v[10:11], v[10:11], 4, s[8:9]
	v_cmp_eq_u32_e64 s3, 0, v0
	s_wait_kmcnt 0x0
	s_cmp_ge_i32 s22, s23
	s_cbranch_scc1 .LBB40_53
.LBB40_7:
	s_clause 0x1
	s_load_b64 s[8:9], s[0:1], 0x58
	s_load_b128 s[12:15], s[0:1], 0x28
	v_mov_b64_e32 v[14:15], 1.0
	v_mov_b64_e32 v[12:13], 0
	s_sub_co_i32 s17, s22, s4
	s_sub_co_i32 s24, s23, s4
	v_lshl_or_b32 v1, v0, 2, 0x2000
	v_dual_mov_b32 v25, 0 :: v_dual_lshlrev_b32 v24, 4, v0
	s_cmp_eq_u32 s6, 0
	s_mov_b32 s27, s17
	s_cselect_b32 s25, -1, 0
	s_add_co_i32 s26, s16, s4
	s_wait_xcnt 0x0
	s_sub_co_i32 s0, s27, s17
	s_delay_alu instid0(SALU_CYCLE_1) | instskip(NEXT) | instid1(SALU_CYCLE_1)
	s_and_b32 s1, s0, 0x1ff
	s_cmp_lg_u32 s1, 0
	s_cbranch_scc1 .LBB40_11
.LBB40_8:
	s_sub_co_i32 s0, s24, s27
	s_wait_loadcnt_dscnt 0x0
	v_mov_b64_e32 v[6:7], -1.0
	v_mov_b64_e32 v[8:9], 0
	v_cmp_gt_u32_e32 vcc_lo, s0, v0
	v_mov_b32_e32 v16, -1
	s_and_saveexec_b32 s0, vcc_lo
	s_cbranch_execz .LBB40_10
; %bb.9:
	v_add_nc_u32_e32 v16, s27, v0
	s_wait_kmcnt 0x0
	s_clause 0x1
	global_load_b32 v17, v16, s[12:13] scale_offset
	global_load_b128 v[6:9], v16, s[14:15] scale_offset
	s_wait_loadcnt 0x1
	s_wait_xcnt 0x0
	v_subrev_nc_u32_e32 v16, s4, v17
.LBB40_10:
	s_or_b32 exec_lo, exec_lo, s0
	ds_store_b32 v1, v16
	s_wait_loadcnt 0x0
	ds_store_b128 v24, v[6:9]
.LBB40_11:                              ; =>This Loop Header: Depth=1
                                        ;     Child Loop BB40_47 Depth 2
                                        ;       Child Loop BB40_48 Depth 3
	s_lshl_b32 s0, s1, 4
	s_wait_storecnt 0x0
	s_wait_loadcnt_dscnt 0x0
	v_mov_b32_e32 v6, s0
	s_barrier_signal -1
	s_barrier_wait -1
	s_lshl_b32 s1, s1, 2
	ds_load_b128 v[16:19], v6
	v_mov_b32_e32 v6, s1
	ds_load_b32 v6, v6 offset:8192
	s_wait_dscnt 0x1
	v_cmp_eq_f64_e32 vcc_lo, 0, v[16:17]
	v_cmp_eq_f64_e64 s0, 0, v[18:19]
	s_wait_dscnt 0x0
	v_readfirstlane_b32 s22, v6
	s_and_b32 s0, vcc_lo, s0
	s_cmp_eq_u32 s22, s16
	s_cselect_b32 s28, -1, 0
	s_cmp_lg_u32 s22, s16
	s_cselect_b32 s1, -1, 0
	s_and_b32 s0, s0, s28
	s_delay_alu instid0(SALU_CYCLE_1) | instskip(NEXT) | instid1(SALU_CYCLE_1)
	s_and_b32 s0, s25, s0
	v_cndmask_b32_e64 v7, v19, 0, s0
	v_cndmask_b32_e64 v6, v18, 0, s0
	;; [unrolled: 1-line block ×4, first 2 shown]
	s_and_b32 s23, s3, s0
	s_delay_alu instid0(SALU_CYCLE_1)
	s_and_saveexec_b32 s0, s23
	s_cbranch_execz .LBB40_15
; %bb.12:                               ;   in Loop: Header=BB40_11 Depth=1
	v_mbcnt_lo_u32_b32 v6, exec_lo, 0
	s_mov_b32 s23, exec_lo
	s_delay_alu instid0(VALU_DEP_1)
	v_cmpx_eq_u32_e32 0, v6
	s_cbranch_execz .LBB40_14
; %bb.13:                               ;   in Loop: Header=BB40_11 Depth=1
	v_mov_b32_e32 v6, s26
	s_wait_kmcnt 0x0
	global_atomic_min_i32 v25, v6, s[8:9] scope:SCOPE_DEV
.LBB40_14:                              ;   in Loop: Header=BB40_11 Depth=1
	s_wait_xcnt 0x0
	s_or_b32 exec_lo, exec_lo, s23
	v_mov_b64_e32 v[8:9], 1.0
	v_mov_b64_e32 v[6:7], 0
.LBB40_15:                              ;   in Loop: Header=BB40_11 Depth=1
	s_or_b32 exec_lo, exec_lo, s0
	s_mov_b32 s29, -1
	s_mov_b32 s0, 0
	s_cmp_lt_i32 s5, 1
	s_mov_b32 s23, 0
                                        ; implicit-def: $vgpr16_vgpr17
                                        ; implicit-def: $vgpr18_vgpr19
	s_cbranch_scc0 .LBB40_22
; %bb.16:                               ;   in Loop: Header=BB40_11 Depth=1
	s_and_b32 vcc_lo, exec_lo, s29
	s_mov_b32 s28, 4
	s_cbranch_vccnz .LBB40_29
.LBB40_17:                              ;   in Loop: Header=BB40_11 Depth=1
	v_mov_b64_e32 v[22:23], v[4:5]
	v_mov_b64_e32 v[20:21], v[2:3]
	s_and_b32 vcc_lo, exec_lo, s23
	s_cbranch_vccnz .LBB40_34
.LBB40_18:                              ;   in Loop: Header=BB40_11 Depth=1
	s_and_b32 vcc_lo, exec_lo, s0
	s_cbranch_vccnz .LBB40_39
.LBB40_19:                              ;   in Loop: Header=BB40_11 Depth=1
	s_mov_b32 s0, -1
	s_cmp_gt_i32 s28, 3
	s_mov_b32 s1, -1
	s_cbranch_scc0 .LBB40_42
.LBB40_20:                              ;   in Loop: Header=BB40_11 Depth=1
	s_and_not1_b32 vcc_lo, exec_lo, s1
	s_cbranch_vccz .LBB40_43
.LBB40_21:                              ;   in Loop: Header=BB40_11 Depth=1
	s_delay_alu instid0(VALU_DEP_1) | instskip(NEXT) | instid1(VALU_DEP_2)
	v_mov_b64_e32 v[4:5], v[22:23]
	v_mov_b64_e32 v[2:3], v[20:21]
	s_and_not1_b32 vcc_lo, exec_lo, s0
	s_cbranch_vccnz .LBB40_44
	s_branch .LBB40_54
.LBB40_22:                              ;   in Loop: Header=BB40_11 Depth=1
	s_cmp_eq_u32 s5, 1
	s_mov_b32 s23, -1
                                        ; implicit-def: $vgpr16_vgpr17
                                        ; implicit-def: $vgpr18_vgpr19
	s_cbranch_scc0 .LBB40_28
; %bb.23:                               ;   in Loop: Header=BB40_11 Depth=1
	v_mov_b64_e32 v[16:17], v[12:13]
	v_mov_b64_e32 v[18:19], v[14:15]
	s_cmp_ge_i32 s22, s16
	s_mov_b32 s23, 0
	s_cbranch_scc0 .LBB40_28
; %bb.24:                               ;   in Loop: Header=BB40_11 Depth=1
	s_and_b32 vcc_lo, exec_lo, s28
	s_mov_b32 s23, -1
                                        ; implicit-def: $vgpr16_vgpr17
                                        ; implicit-def: $vgpr18_vgpr19
	s_cbranch_vccz .LBB40_28
; %bb.25:                               ;   in Loop: Header=BB40_11 Depth=1
	v_mov_b64_e32 v[16:17], v[12:13]
	v_mov_b64_e32 v[18:19], v[14:15]
	s_and_not1_b32 vcc_lo, exec_lo, s25
	s_cbranch_vccnz .LBB40_27
; %bb.26:                               ;   in Loop: Header=BB40_11 Depth=1
	v_mul_f64_e32 v[16:17], v[6:7], v[6:7]
	s_delay_alu instid0(VALU_DEP_1) | instskip(NEXT) | instid1(VALU_DEP_1)
	v_fmac_f64_e32 v[16:17], v[8:9], v[8:9]
	v_div_scale_f64 v[18:19], null, v[16:17], v[16:17], 1.0
	v_div_scale_f64 v[26:27], vcc_lo, 1.0, v[16:17], 1.0
	s_delay_alu instid0(VALU_DEP_2) | instskip(SKIP_1) | instid1(TRANS32_DEP_1)
	v_rcp_f64_e32 v[20:21], v[18:19]
	v_nop
	v_fma_f64 v[22:23], -v[18:19], v[20:21], 1.0
	s_delay_alu instid0(VALU_DEP_1) | instskip(NEXT) | instid1(VALU_DEP_1)
	v_fmac_f64_e32 v[20:21], v[20:21], v[22:23]
	v_fma_f64 v[22:23], -v[18:19], v[20:21], 1.0
	s_delay_alu instid0(VALU_DEP_1) | instskip(NEXT) | instid1(VALU_DEP_1)
	v_fmac_f64_e32 v[20:21], v[20:21], v[22:23]
	v_mul_f64_e32 v[22:23], v[26:27], v[20:21]
	s_delay_alu instid0(VALU_DEP_1) | instskip(NEXT) | instid1(VALU_DEP_1)
	v_fma_f64 v[18:19], -v[18:19], v[22:23], v[26:27]
	v_div_fmas_f64 v[18:19], v[18:19], v[20:21], v[22:23]
	v_fma_f64 v[20:21], 0, v[6:7], v[8:9]
	v_fma_f64 v[22:23], v[8:9], 0, -v[6:7]
	s_delay_alu instid0(VALU_DEP_3) | instskip(NEXT) | instid1(VALU_DEP_1)
	v_div_fixup_f64 v[16:17], v[18:19], v[16:17], 1.0
	v_mul_f64_e32 v[18:19], v[20:21], v[16:17]
	s_delay_alu instid0(VALU_DEP_3)
	v_mul_f64_e32 v[16:17], v[22:23], v[16:17]
.LBB40_27:                              ;   in Loop: Header=BB40_11 Depth=1
	s_mov_b32 s23, 0
.LBB40_28:                              ;   in Loop: Header=BB40_11 Depth=1
	s_mov_b32 s28, 4
	s_branch .LBB40_17
.LBB40_29:                              ;   in Loop: Header=BB40_11 Depth=1
	s_cmp_eq_u32 s5, 0
	s_cbranch_scc1 .LBB40_31
; %bb.30:                               ;   in Loop: Header=BB40_11 Depth=1
	s_mov_b32 s23, -1
	s_branch .LBB40_33
.LBB40_31:                              ;   in Loop: Header=BB40_11 Depth=1
	s_cmp_le_i32 s22, s16
	s_mov_b32 s23, 0
	s_cbranch_scc0 .LBB40_33
; %bb.32:                               ;   in Loop: Header=BB40_11 Depth=1
	s_mov_b32 s0, -1
	s_mov_b32 s23, s1
.LBB40_33:                              ;   in Loop: Header=BB40_11 Depth=1
	v_mov_b64_e32 v[16:17], v[12:13]
	v_mov_b64_e32 v[18:19], v[14:15]
	s_mov_b32 s28, 2
	v_mov_b64_e32 v[22:23], v[4:5]
	v_mov_b64_e32 v[20:21], v[2:3]
	s_and_b32 vcc_lo, exec_lo, s23
	s_cbranch_vccz .LBB40_18
.LBB40_34:                              ;   in Loop: Header=BB40_11 Depth=1
	s_and_saveexec_b32 s23, s3
	s_cbranch_execz .LBB40_36
; %bb.35:                               ;   in Loop: Header=BB40_11 Depth=1
	s_add_co_i32 s0, s22, s7
	s_delay_alu instid0(SALU_CYCLE_1)
	v_mov_b32_e32 v16, s0
	global_load_b32 v16, v16, s[20:21] scale_offset scope:SCOPE_DEV
	s_wait_loadcnt 0x0
	v_cmp_ne_u32_e32 vcc_lo, 0, v16
	s_cbranch_vccz .LBB40_45
.LBB40_36:                              ;   in Loop: Header=BB40_11 Depth=1
	s_wait_xcnt 0x0
	s_or_b32 exec_lo, exec_lo, s23
	v_mov_b64_e32 v[22:23], 0
	v_mov_b64_e32 v[20:21], 0
	s_wait_storecnt 0x0
	s_barrier_signal -1
	s_barrier_wait -1
	global_inv scope:SCOPE_DEV
	s_and_saveexec_b32 s0, s2
	s_cbranch_execz .LBB40_38
; %bb.37:                               ;   in Loop: Header=BB40_11 Depth=1
	s_ashr_i32 s23, s22, 31
	s_delay_alu instid0(SALU_CYCLE_1) | instskip(NEXT) | instid1(SALU_CYCLE_1)
	s_mul_u64 s[22:23], s[10:11], s[22:23]
	v_lshl_add_u64 v[16:17], s[22:23], 4, v[10:11]
	global_load_b128 v[16:19], v[16:17], off
	s_wait_loadcnt 0x0
	v_fma_f64 v[20:21], -v[8:9], v[16:17], v[2:3]
	v_fma_f64 v[16:17], -v[6:7], v[16:17], v[4:5]
	s_delay_alu instid0(VALU_DEP_2) | instskip(NEXT) | instid1(VALU_DEP_2)
	v_fmac_f64_e32 v[20:21], v[6:7], v[18:19]
	v_fma_f64 v[22:23], -v[8:9], v[18:19], v[16:17]
.LBB40_38:                              ;   in Loop: Header=BB40_11 Depth=1
	s_or_b32 exec_lo, exec_lo, s0
	v_mov_b64_e32 v[16:17], v[12:13]
	v_mov_b64_e32 v[18:19], v[14:15]
	s_mov_b32 s28, 0
	s_branch .LBB40_19
.LBB40_39:                              ;   in Loop: Header=BB40_11 Depth=1
	s_and_not1_b32 vcc_lo, exec_lo, s25
	s_cbranch_vccnz .LBB40_41
; %bb.40:                               ;   in Loop: Header=BB40_11 Depth=1
	v_mul_f64_e32 v[12:13], v[6:7], v[6:7]
	s_delay_alu instid0(VALU_DEP_1) | instskip(NEXT) | instid1(VALU_DEP_1)
	v_fmac_f64_e32 v[12:13], v[8:9], v[8:9]
	v_div_scale_f64 v[14:15], null, v[12:13], v[12:13], 1.0
	v_div_scale_f64 v[20:21], vcc_lo, 1.0, v[12:13], 1.0
	s_delay_alu instid0(VALU_DEP_2) | instskip(SKIP_1) | instid1(TRANS32_DEP_1)
	v_rcp_f64_e32 v[16:17], v[14:15]
	v_nop
	v_fma_f64 v[18:19], -v[14:15], v[16:17], 1.0
	s_delay_alu instid0(VALU_DEP_1) | instskip(NEXT) | instid1(VALU_DEP_1)
	v_fmac_f64_e32 v[16:17], v[16:17], v[18:19]
	v_fma_f64 v[18:19], -v[14:15], v[16:17], 1.0
	s_delay_alu instid0(VALU_DEP_1) | instskip(NEXT) | instid1(VALU_DEP_1)
	v_fmac_f64_e32 v[16:17], v[16:17], v[18:19]
	v_mul_f64_e32 v[18:19], v[20:21], v[16:17]
	s_delay_alu instid0(VALU_DEP_1) | instskip(NEXT) | instid1(VALU_DEP_1)
	v_fma_f64 v[14:15], -v[14:15], v[18:19], v[20:21]
	v_div_fmas_f64 v[14:15], v[14:15], v[16:17], v[18:19]
	v_fma_f64 v[16:17], 0, v[6:7], v[8:9]
	v_fma_f64 v[6:7], v[8:9], 0, -v[6:7]
	s_delay_alu instid0(VALU_DEP_3) | instskip(NEXT) | instid1(VALU_DEP_1)
	v_div_fixup_f64 v[12:13], v[14:15], v[12:13], 1.0
	v_mul_f64_e32 v[14:15], v[16:17], v[12:13]
	s_delay_alu instid0(VALU_DEP_3)
	v_mul_f64_e32 v[12:13], v[6:7], v[12:13]
.LBB40_41:                              ;   in Loop: Header=BB40_11 Depth=1
	s_delay_alu instid0(VALU_DEP_2) | instskip(NEXT) | instid1(VALU_DEP_2)
	v_mov_b64_e32 v[18:19], v[14:15]
	v_mov_b64_e32 v[16:17], v[12:13]
	;; [unrolled: 1-line block ×4, first 2 shown]
	s_mov_b32 s28, 2
	s_mov_b32 s0, -1
	s_cmp_gt_i32 s28, 3
	s_mov_b32 s1, -1
	s_cbranch_scc1 .LBB40_20
.LBB40_42:                              ;   in Loop: Header=BB40_11 Depth=1
	s_cmp_eq_u32 s28, 0
	s_cselect_b32 s1, -1, 0
	s_delay_alu instid0(SALU_CYCLE_1)
	s_and_not1_b32 vcc_lo, exec_lo, s1
	s_cbranch_vccnz .LBB40_21
.LBB40_43:                              ;   in Loop: Header=BB40_11 Depth=1
	s_add_co_i32 s27, s27, 1
	s_delay_alu instid0(SALU_CYCLE_1) | instskip(SKIP_1) | instid1(VALU_DEP_1)
	s_cmp_ge_i32 s27, s24
	s_cselect_b32 s0, -1, 0
	v_mov_b64_e32 v[4:5], v[22:23]
	s_delay_alu instid0(VALU_DEP_2)
	v_mov_b64_e32 v[2:3], v[20:21]
	s_and_not1_b32 vcc_lo, exec_lo, s0
	s_cbranch_vccz .LBB40_54
.LBB40_44:                              ;   in Loop: Header=BB40_11 Depth=1
	s_delay_alu instid0(VALU_DEP_4) | instskip(NEXT) | instid1(VALU_DEP_4)
	v_mov_b64_e32 v[12:13], v[16:17]
	v_mov_b64_e32 v[14:15], v[18:19]
	s_sub_co_i32 s0, s27, s17
	s_delay_alu instid0(SALU_CYCLE_1) | instskip(NEXT) | instid1(SALU_CYCLE_1)
	s_and_b32 s1, s0, 0x1ff
	s_cmp_lg_u32 s1, 0
	s_cbranch_scc1 .LBB40_11
	s_branch .LBB40_8
.LBB40_45:                              ;   in Loop: Header=BB40_11 Depth=1
	s_ashr_i32 s1, s0, 31
	s_mov_b32 s28, 0
	s_lshl_b64 s[0:1], s[0:1], 2
	s_delay_alu instid0(SALU_CYCLE_1)
	s_add_nc_u64 s[0:1], s[20:21], s[0:1]
	s_branch .LBB40_47
.LBB40_46:                              ;   in Loop: Header=BB40_47 Depth=2
	global_load_b32 v16, v25, s[0:1] scope:SCOPE_DEV
	s_cmp_lt_u32 s28, 0xf43
	s_cselect_b32 s29, -1, 0
	s_delay_alu instid0(SALU_CYCLE_1)
	s_cmp_lg_u32 s29, 0
	s_add_co_ci_u32 s28, s28, 0
	s_wait_loadcnt 0x0
	v_cmp_ne_u32_e32 vcc_lo, 0, v16
	s_cbranch_vccnz .LBB40_36
.LBB40_47:                              ;   Parent Loop BB40_11 Depth=1
                                        ; =>  This Loop Header: Depth=2
                                        ;       Child Loop BB40_48 Depth 3
	s_cmp_eq_u32 s28, 0
	s_mov_b32 s29, s28
	s_cbranch_scc1 .LBB40_46
.LBB40_48:                              ;   Parent Loop BB40_11 Depth=1
                                        ;     Parent Loop BB40_47 Depth=2
                                        ; =>    This Inner Loop Header: Depth=3
	s_add_co_i32 s29, s29, -1
	s_sleep 1
	s_cmp_eq_u32 s29, 0
	s_cbranch_scc0 .LBB40_48
	s_branch .LBB40_46
.LBB40_49:
                                        ; implicit-def: $vgpr4_vgpr5
	s_load_b64 s[20:21], s[0:1], 0x48
.LBB40_50:
	v_mov_b64_e32 v[4:5], 0
	v_mov_b64_e32 v[2:3], 0
	s_and_saveexec_b32 s3, s2
	s_cbranch_execz .LBB40_52
; %bb.51:
	v_lshl_add_u64 v[2:3], v[12:13], 4, s[8:9]
	global_load_b128 v[12:15], v[2:3], off
	s_wait_loadcnt_dscnt 0x0
	v_mul_f64_e32 v[2:3], v[8:9], v[14:15]
	v_mul_f64_e64 v[4:5], v[6:7], -v[14:15]
	s_delay_alu instid0(VALU_DEP_2) | instskip(NEXT) | instid1(VALU_DEP_2)
	v_fmac_f64_e32 v[2:3], v[6:7], v[12:13]
	v_fmac_f64_e32 v[4:5], v[8:9], v[12:13]
.LBB40_52:
	s_or_b32 exec_lo, exec_lo, s3
	v_lshl_add_u64 v[10:11], v[10:11], 4, s[8:9]
	v_cmp_eq_u32_e64 s3, 0, v0
	s_wait_kmcnt 0x0
	s_cmp_ge_i32 s22, s23
	s_cbranch_scc0 .LBB40_7
.LBB40_53:
	v_mov_b64_e32 v[18:19], 1.0
	v_mov_b64_e32 v[16:17], 0
.LBB40_54:
	s_cmp_lg_u32 s6, 0
	s_cbranch_scc0 .LBB40_60
; %bb.55:
	s_and_saveexec_b32 s0, s2
	s_cbranch_execz .LBB40_57
.LBB40_56:
	s_wait_loadcnt_dscnt 0x0
	v_lshl_add_u64 v[6:7], s[18:19], 4, v[10:11]
	global_store_b128 v[6:7], v[2:5], off
.LBB40_57:
	s_wait_xcnt 0x0
	s_or_b32 exec_lo, exec_lo, s0
	global_wb scope:SCOPE_DEV
	s_wait_storecnt 0x0
	s_wait_loadcnt_dscnt 0x0
	global_inv scope:SCOPE_DEV
	s_wait_loadcnt 0x0
	s_barrier_signal -1
	s_barrier_wait -1
	s_mov_b32 s0, exec_lo
	v_cmpx_eq_u32_e32 0, v0
	s_cbranch_execz .LBB40_59
; %bb.58:
	s_add_co_i32 s0, s16, s7
	s_delay_alu instid0(SALU_CYCLE_1)
	v_dual_mov_b32 v0, 1 :: v_dual_mov_b32 v1, s0
	global_store_b32 v1, v0, s[20:21] scale_offset scope:SCOPE_DEV
.LBB40_59:
	s_endpgm
.LBB40_60:
	s_wait_loadcnt_dscnt 0x0
	s_delay_alu instid0(VALU_DEP_1) | instskip(SKIP_1) | instid1(VALU_DEP_2)
	v_mul_f64_e64 v[6:7], v[16:17], -v[4:5]
	v_mul_f64_e32 v[8:9], v[16:17], v[2:3]
	v_fmac_f64_e32 v[6:7], v[2:3], v[18:19]
	s_delay_alu instid0(VALU_DEP_2) | instskip(NEXT) | instid1(VALU_DEP_2)
	v_fmac_f64_e32 v[8:9], v[4:5], v[18:19]
	v_mov_b64_e32 v[2:3], v[6:7]
	s_delay_alu instid0(VALU_DEP_2)
	v_mov_b64_e32 v[4:5], v[8:9]
	s_and_saveexec_b32 s0, s2
	s_cbranch_execnz .LBB40_56
	s_branch .LBB40_57
	.section	.rodata,"a",@progbits
	.p2align	6, 0x0
	.amdhsa_kernel _ZN9rocsparseL5csrsmILj512ELj64ELb1Eii21rocsparse_complex_numIdEEEv20rocsparse_operation_T3_S4_NS_24const_host_device_scalarIT4_EEPKT2_PKS4_PKS6_PS6_lPiSC_PS4_21rocsparse_index_base_20rocsparse_fill_mode_20rocsparse_diag_type_b
		.amdhsa_group_segment_fixed_size 10240
		.amdhsa_private_segment_fixed_size 16
		.amdhsa_kernarg_size 112
		.amdhsa_user_sgpr_count 2
		.amdhsa_user_sgpr_dispatch_ptr 0
		.amdhsa_user_sgpr_queue_ptr 0
		.amdhsa_user_sgpr_kernarg_segment_ptr 1
		.amdhsa_user_sgpr_dispatch_id 0
		.amdhsa_user_sgpr_kernarg_preload_length 0
		.amdhsa_user_sgpr_kernarg_preload_offset 0
		.amdhsa_user_sgpr_private_segment_size 0
		.amdhsa_wavefront_size32 1
		.amdhsa_uses_dynamic_stack 0
		.amdhsa_enable_private_segment 1
		.amdhsa_system_sgpr_workgroup_id_x 1
		.amdhsa_system_sgpr_workgroup_id_y 0
		.amdhsa_system_sgpr_workgroup_id_z 0
		.amdhsa_system_sgpr_workgroup_info 0
		.amdhsa_system_vgpr_workitem_id 0
		.amdhsa_next_free_vgpr 28
		.amdhsa_next_free_sgpr 30
		.amdhsa_named_barrier_count 0
		.amdhsa_reserve_vcc 1
		.amdhsa_float_round_mode_32 0
		.amdhsa_float_round_mode_16_64 0
		.amdhsa_float_denorm_mode_32 3
		.amdhsa_float_denorm_mode_16_64 3
		.amdhsa_fp16_overflow 0
		.amdhsa_memory_ordered 1
		.amdhsa_forward_progress 1
		.amdhsa_inst_pref_size 18
		.amdhsa_round_robin_scheduling 0
		.amdhsa_exception_fp_ieee_invalid_op 0
		.amdhsa_exception_fp_denorm_src 0
		.amdhsa_exception_fp_ieee_div_zero 0
		.amdhsa_exception_fp_ieee_overflow 0
		.amdhsa_exception_fp_ieee_underflow 0
		.amdhsa_exception_fp_ieee_inexact 0
		.amdhsa_exception_int_div_zero 0
	.end_amdhsa_kernel
	.section	.text._ZN9rocsparseL5csrsmILj512ELj64ELb1Eii21rocsparse_complex_numIdEEEv20rocsparse_operation_T3_S4_NS_24const_host_device_scalarIT4_EEPKT2_PKS4_PKS6_PS6_lPiSC_PS4_21rocsparse_index_base_20rocsparse_fill_mode_20rocsparse_diag_type_b,"axG",@progbits,_ZN9rocsparseL5csrsmILj512ELj64ELb1Eii21rocsparse_complex_numIdEEEv20rocsparse_operation_T3_S4_NS_24const_host_device_scalarIT4_EEPKT2_PKS4_PKS6_PS6_lPiSC_PS4_21rocsparse_index_base_20rocsparse_fill_mode_20rocsparse_diag_type_b,comdat
.Lfunc_end40:
	.size	_ZN9rocsparseL5csrsmILj512ELj64ELb1Eii21rocsparse_complex_numIdEEEv20rocsparse_operation_T3_S4_NS_24const_host_device_scalarIT4_EEPKT2_PKS4_PKS6_PS6_lPiSC_PS4_21rocsparse_index_base_20rocsparse_fill_mode_20rocsparse_diag_type_b, .Lfunc_end40-_ZN9rocsparseL5csrsmILj512ELj64ELb1Eii21rocsparse_complex_numIdEEEv20rocsparse_operation_T3_S4_NS_24const_host_device_scalarIT4_EEPKT2_PKS4_PKS6_PS6_lPiSC_PS4_21rocsparse_index_base_20rocsparse_fill_mode_20rocsparse_diag_type_b
                                        ; -- End function
	.set _ZN9rocsparseL5csrsmILj512ELj64ELb1Eii21rocsparse_complex_numIdEEEv20rocsparse_operation_T3_S4_NS_24const_host_device_scalarIT4_EEPKT2_PKS4_PKS6_PS6_lPiSC_PS4_21rocsparse_index_base_20rocsparse_fill_mode_20rocsparse_diag_type_b.num_vgpr, 28
	.set _ZN9rocsparseL5csrsmILj512ELj64ELb1Eii21rocsparse_complex_numIdEEEv20rocsparse_operation_T3_S4_NS_24const_host_device_scalarIT4_EEPKT2_PKS4_PKS6_PS6_lPiSC_PS4_21rocsparse_index_base_20rocsparse_fill_mode_20rocsparse_diag_type_b.num_agpr, 0
	.set _ZN9rocsparseL5csrsmILj512ELj64ELb1Eii21rocsparse_complex_numIdEEEv20rocsparse_operation_T3_S4_NS_24const_host_device_scalarIT4_EEPKT2_PKS4_PKS6_PS6_lPiSC_PS4_21rocsparse_index_base_20rocsparse_fill_mode_20rocsparse_diag_type_b.numbered_sgpr, 30
	.set _ZN9rocsparseL5csrsmILj512ELj64ELb1Eii21rocsparse_complex_numIdEEEv20rocsparse_operation_T3_S4_NS_24const_host_device_scalarIT4_EEPKT2_PKS4_PKS6_PS6_lPiSC_PS4_21rocsparse_index_base_20rocsparse_fill_mode_20rocsparse_diag_type_b.num_named_barrier, 0
	.set _ZN9rocsparseL5csrsmILj512ELj64ELb1Eii21rocsparse_complex_numIdEEEv20rocsparse_operation_T3_S4_NS_24const_host_device_scalarIT4_EEPKT2_PKS4_PKS6_PS6_lPiSC_PS4_21rocsparse_index_base_20rocsparse_fill_mode_20rocsparse_diag_type_b.private_seg_size, 16
	.set _ZN9rocsparseL5csrsmILj512ELj64ELb1Eii21rocsparse_complex_numIdEEEv20rocsparse_operation_T3_S4_NS_24const_host_device_scalarIT4_EEPKT2_PKS4_PKS6_PS6_lPiSC_PS4_21rocsparse_index_base_20rocsparse_fill_mode_20rocsparse_diag_type_b.uses_vcc, 1
	.set _ZN9rocsparseL5csrsmILj512ELj64ELb1Eii21rocsparse_complex_numIdEEEv20rocsparse_operation_T3_S4_NS_24const_host_device_scalarIT4_EEPKT2_PKS4_PKS6_PS6_lPiSC_PS4_21rocsparse_index_base_20rocsparse_fill_mode_20rocsparse_diag_type_b.uses_flat_scratch, 0
	.set _ZN9rocsparseL5csrsmILj512ELj64ELb1Eii21rocsparse_complex_numIdEEEv20rocsparse_operation_T3_S4_NS_24const_host_device_scalarIT4_EEPKT2_PKS4_PKS6_PS6_lPiSC_PS4_21rocsparse_index_base_20rocsparse_fill_mode_20rocsparse_diag_type_b.has_dyn_sized_stack, 0
	.set _ZN9rocsparseL5csrsmILj512ELj64ELb1Eii21rocsparse_complex_numIdEEEv20rocsparse_operation_T3_S4_NS_24const_host_device_scalarIT4_EEPKT2_PKS4_PKS6_PS6_lPiSC_PS4_21rocsparse_index_base_20rocsparse_fill_mode_20rocsparse_diag_type_b.has_recursion, 0
	.set _ZN9rocsparseL5csrsmILj512ELj64ELb1Eii21rocsparse_complex_numIdEEEv20rocsparse_operation_T3_S4_NS_24const_host_device_scalarIT4_EEPKT2_PKS4_PKS6_PS6_lPiSC_PS4_21rocsparse_index_base_20rocsparse_fill_mode_20rocsparse_diag_type_b.has_indirect_call, 0
	.section	.AMDGPU.csdata,"",@progbits
; Kernel info:
; codeLenInByte = 2192
; TotalNumSgprs: 32
; NumVgprs: 28
; ScratchSize: 16
; MemoryBound: 0
; FloatMode: 240
; IeeeMode: 1
; LDSByteSize: 10240 bytes/workgroup (compile time only)
; SGPRBlocks: 0
; VGPRBlocks: 1
; NumSGPRsForWavesPerEU: 32
; NumVGPRsForWavesPerEU: 28
; NamedBarCnt: 0
; Occupancy: 16
; WaveLimiterHint : 1
; COMPUTE_PGM_RSRC2:SCRATCH_EN: 1
; COMPUTE_PGM_RSRC2:USER_SGPR: 2
; COMPUTE_PGM_RSRC2:TRAP_HANDLER: 0
; COMPUTE_PGM_RSRC2:TGID_X_EN: 1
; COMPUTE_PGM_RSRC2:TGID_Y_EN: 0
; COMPUTE_PGM_RSRC2:TGID_Z_EN: 0
; COMPUTE_PGM_RSRC2:TIDIG_COMP_CNT: 0
	.section	.text._ZN9rocsparseL5csrsmILj512ELj64ELb0Eii21rocsparse_complex_numIdEEEv20rocsparse_operation_T3_S4_NS_24const_host_device_scalarIT4_EEPKT2_PKS4_PKS6_PS6_lPiSC_PS4_21rocsparse_index_base_20rocsparse_fill_mode_20rocsparse_diag_type_b,"axG",@progbits,_ZN9rocsparseL5csrsmILj512ELj64ELb0Eii21rocsparse_complex_numIdEEEv20rocsparse_operation_T3_S4_NS_24const_host_device_scalarIT4_EEPKT2_PKS4_PKS6_PS6_lPiSC_PS4_21rocsparse_index_base_20rocsparse_fill_mode_20rocsparse_diag_type_b,comdat
	.globl	_ZN9rocsparseL5csrsmILj512ELj64ELb0Eii21rocsparse_complex_numIdEEEv20rocsparse_operation_T3_S4_NS_24const_host_device_scalarIT4_EEPKT2_PKS4_PKS6_PS6_lPiSC_PS4_21rocsparse_index_base_20rocsparse_fill_mode_20rocsparse_diag_type_b ; -- Begin function _ZN9rocsparseL5csrsmILj512ELj64ELb0Eii21rocsparse_complex_numIdEEEv20rocsparse_operation_T3_S4_NS_24const_host_device_scalarIT4_EEPKT2_PKS4_PKS6_PS6_lPiSC_PS4_21rocsparse_index_base_20rocsparse_fill_mode_20rocsparse_diag_type_b
	.p2align	8
	.type	_ZN9rocsparseL5csrsmILj512ELj64ELb0Eii21rocsparse_complex_numIdEEEv20rocsparse_operation_T3_S4_NS_24const_host_device_scalarIT4_EEPKT2_PKS4_PKS6_PS6_lPiSC_PS4_21rocsparse_index_base_20rocsparse_fill_mode_20rocsparse_diag_type_b,@function
_ZN9rocsparseL5csrsmILj512ELj64ELb0Eii21rocsparse_complex_numIdEEEv20rocsparse_operation_T3_S4_NS_24const_host_device_scalarIT4_EEPKT2_PKS4_PKS6_PS6_lPiSC_PS4_21rocsparse_index_base_20rocsparse_fill_mode_20rocsparse_diag_type_b: ; @_ZN9rocsparseL5csrsmILj512ELj64ELb0Eii21rocsparse_complex_numIdEEEv20rocsparse_operation_T3_S4_NS_24const_host_device_scalarIT4_EEPKT2_PKS4_PKS6_PS6_lPiSC_PS4_21rocsparse_index_base_20rocsparse_fill_mode_20rocsparse_diag_type_b
; %bb.0:
	s_clause 0x1
	s_load_b128 s[4:7], s[0:1], 0x60
	s_load_b128 s[8:11], s[0:1], 0x10
	v_mbcnt_lo_u32_b32 v1, -1, 0
	s_clause 0x1
	s_load_b64 s[2:3], s[0:1], 0x20
	s_load_b64 s[16:17], s[0:1], 0x50
	s_delay_alu instid0(VALU_DEP_1) | instskip(NEXT) | instid1(VALU_DEP_1)
	v_dual_mov_b32 v2, 0 :: v_dual_lshlrev_b32 v3, 20, v1
	v_add_nc_u64_e32 v[2:3], src_flat_scratch_base_lo, v[2:3]
	s_wait_kmcnt 0x0
	s_bitcmp1_b32 s7, 0
	v_mov_b64_e32 v[4:5], s[8:9]
	s_cselect_b32 vcc_lo, -1, 0
	v_mov_b64_e32 v[8:9], s[10:11]
	s_delay_alu instid0(VALU_DEP_3)
	v_cndmask_b32_e32 v3, s9, v3, vcc_lo
	v_cndmask_b32_e32 v2, s8, v2, vcc_lo
	s_and_b32 vcc_lo, exec_lo, vcc_lo
	scratch_store_b64 off, v[4:5], off
	flat_load_b64 v[6:7], v[2:3]
	s_cbranch_vccnz .LBB41_2
; %bb.1:
	v_mov_b32_e32 v1, 0
	flat_load_b64 v[8:9], v1, s[8:9] offset:8
.LBB41_2:
	s_load_b96 s[12:14], s[0:1], 0x0
	s_bfe_u32 s9, ttmp6, 0x4000c
	s_and_b32 s8, ttmp6, 15
	s_add_co_i32 s9, s9, 1
	s_getreg_b32 s11, hwreg(HW_REG_IB_STS2, 6, 4)
	s_mul_i32 s9, ttmp9, s9
	s_delay_alu instid0(SALU_CYCLE_1) | instskip(SKIP_3) | instid1(SALU_CYCLE_2)
	s_add_co_i32 s8, s8, s9
	s_wait_kmcnt 0x0
	s_cvt_f32_u32 s7, s13
	s_sub_co_i32 s10, 0, s13
	v_rcp_iflag_f32_e32 v1, s7
	v_nop
	s_delay_alu instid0(TRANS32_DEP_1) | instskip(SKIP_1) | instid1(SALU_CYCLE_3)
	v_readfirstlane_b32 s7, v1
	s_mul_f32 s7, s7, 0x4f7ffffe
	s_cvt_u32_f32 s7, s7
	s_delay_alu instid0(SALU_CYCLE_3) | instskip(NEXT) | instid1(SALU_CYCLE_1)
	s_mul_i32 s10, s10, s7
	s_mul_hi_u32 s10, s7, s10
	s_delay_alu instid0(SALU_CYCLE_1) | instskip(SKIP_2) | instid1(SALU_CYCLE_1)
	s_add_co_i32 s7, s7, s10
	s_cmp_eq_u32 s11, 0
	s_cselect_b32 s8, ttmp9, s8
	s_mul_hi_u32 s7, s8, s7
	s_delay_alu instid0(SALU_CYCLE_1) | instskip(SKIP_2) | instid1(SALU_CYCLE_1)
	s_mul_i32 s9, s7, s13
	s_add_co_i32 s10, s7, 1
	s_sub_co_i32 s9, s8, s9
	s_sub_co_i32 s11, s9, s13
	s_cmp_ge_u32 s9, s13
	s_cselect_b32 s7, s10, s7
	s_cselect_b32 s9, s11, s9
	s_add_co_i32 s10, s7, 1
	s_cmp_ge_u32 s9, s13
	s_cselect_b32 s15, s10, s7
	s_delay_alu instid0(SALU_CYCLE_1) | instskip(SKIP_2) | instid1(SALU_CYCLE_1)
	s_mul_i32 s7, s15, s13
	v_lshl_or_b32 v10, s15, 9, v0
	s_sub_co_i32 s8, s8, s7
	s_ashr_i32 s9, s8, 31
	s_delay_alu instid0(VALU_DEP_1) | instskip(SKIP_1) | instid1(SALU_CYCLE_1)
	v_ashrrev_i32_e32 v11, 31, v10
	s_lshl_b64 s[8:9], s[8:9], 2
	s_add_nc_u64 s[18:19], s[16:17], s[8:9]
	s_load_b32 s16, s[18:19], 0x0
	s_load_b128 s[8:11], s[0:1], 0x38
	s_wait_kmcnt 0x0
	s_ashr_i32 s17, s16, 31
	s_delay_alu instid0(SALU_CYCLE_1)
	s_lshl_b64 s[18:19], s[16:17], 2
	s_cmp_lg_u32 s12, 0x71
	s_add_nc_u64 s[2:3], s[2:3], s[18:19]
	s_mul_u64 s[18:19], s[10:11], s[16:17]
	s_load_b64 s[22:23], s[2:3], 0x0
	v_add_nc_u64_e32 v[12:13], s[18:19], v[10:11]
	s_wait_xcnt 0x0
	v_cmp_gt_i32_e64 s2, s14, v10
	s_cbranch_scc0 .LBB41_47
; %bb.3:
	v_mov_b64_e32 v[4:5], 0
	v_mov_b64_e32 v[2:3], 0
	s_and_saveexec_b32 s3, s2
	s_cbranch_execz .LBB41_5
; %bb.4:
	v_lshl_add_u64 v[2:3], v[12:13], 4, s[8:9]
	global_load_b128 v[14:17], v[2:3], off
	s_wait_loadcnt_dscnt 0x0
	v_mul_f64_e64 v[2:3], v[16:17], -v[8:9]
	v_mul_f64_e32 v[4:5], v[6:7], v[16:17]
	s_delay_alu instid0(VALU_DEP_2) | instskip(NEXT) | instid1(VALU_DEP_2)
	v_fmac_f64_e32 v[2:3], v[6:7], v[14:15]
	v_fmac_f64_e32 v[4:5], v[8:9], v[14:15]
.LBB41_5:
	s_or_b32 exec_lo, exec_lo, s3
	s_load_b64 s[20:21], s[0:1], 0x48
	s_cbranch_execz .LBB41_48
; %bb.6:
	v_lshl_add_u64 v[10:11], v[10:11], 4, s[8:9]
	v_cmp_eq_u32_e64 s3, 0, v0
	s_wait_kmcnt 0x0
	s_cmp_ge_i32 s22, s23
	s_cbranch_scc1 .LBB41_51
.LBB41_7:
	s_clause 0x1
	s_load_b64 s[8:9], s[0:1], 0x58
	s_load_b128 s[12:15], s[0:1], 0x28
	v_mov_b64_e32 v[14:15], 1.0
	v_mov_b64_e32 v[12:13], 0
	s_sub_co_i32 s17, s22, s4
	s_sub_co_i32 s24, s23, s4
	v_lshl_or_b32 v1, v0, 2, 0x2000
	v_dual_mov_b32 v25, 0 :: v_dual_lshlrev_b32 v24, 4, v0
	s_cmp_eq_u32 s6, 0
	s_mov_b32 s27, s17
	s_cselect_b32 s25, -1, 0
	s_add_co_i32 s26, s16, s4
	s_wait_xcnt 0x0
	s_sub_co_i32 s0, s27, s17
	s_delay_alu instid0(SALU_CYCLE_1) | instskip(NEXT) | instid1(SALU_CYCLE_1)
	s_and_b32 s1, s0, 0x1ff
	s_cmp_lg_u32 s1, 0
	s_cbranch_scc1 .LBB41_11
.LBB41_8:
	s_sub_co_i32 s0, s24, s27
	s_wait_loadcnt_dscnt 0x0
	v_mov_b64_e32 v[6:7], -1.0
	v_mov_b64_e32 v[8:9], 0
	v_cmp_gt_u32_e32 vcc_lo, s0, v0
	v_mov_b32_e32 v16, -1
	s_and_saveexec_b32 s0, vcc_lo
	s_cbranch_execz .LBB41_10
; %bb.9:
	v_add_nc_u32_e32 v16, s27, v0
	s_wait_kmcnt 0x0
	s_clause 0x1
	global_load_b32 v17, v16, s[12:13] scale_offset
	global_load_b128 v[6:9], v16, s[14:15] scale_offset
	s_wait_loadcnt 0x1
	s_wait_xcnt 0x0
	v_subrev_nc_u32_e32 v16, s4, v17
.LBB41_10:
	s_or_b32 exec_lo, exec_lo, s0
	ds_store_b32 v1, v16
	s_wait_loadcnt 0x0
	ds_store_b128 v24, v[6:9]
.LBB41_11:                              ; =>This Loop Header: Depth=1
                                        ;     Child Loop BB41_37 Depth 2
	s_lshl_b32 s0, s1, 4
	s_wait_storecnt 0x0
	s_wait_loadcnt_dscnt 0x0
	v_mov_b32_e32 v6, s0
	s_barrier_signal -1
	s_barrier_wait -1
	s_lshl_b32 s1, s1, 2
	ds_load_b128 v[16:19], v6
	v_mov_b32_e32 v6, s1
	ds_load_b32 v6, v6 offset:8192
	s_wait_dscnt 0x1
	v_cmp_eq_f64_e32 vcc_lo, 0, v[16:17]
	v_cmp_eq_f64_e64 s0, 0, v[18:19]
	s_wait_dscnt 0x0
	v_readfirstlane_b32 s22, v6
	s_and_b32 s0, vcc_lo, s0
	s_cmp_eq_u32 s22, s16
	s_cselect_b32 s28, -1, 0
	s_cmp_lg_u32 s22, s16
	s_cselect_b32 s1, -1, 0
	s_and_b32 s0, s0, s28
	s_delay_alu instid0(SALU_CYCLE_1) | instskip(NEXT) | instid1(SALU_CYCLE_1)
	s_and_b32 s0, s25, s0
	v_cndmask_b32_e64 v7, v19, 0, s0
	v_cndmask_b32_e64 v6, v18, 0, s0
	;; [unrolled: 1-line block ×4, first 2 shown]
	s_and_b32 s23, s3, s0
	s_delay_alu instid0(SALU_CYCLE_1)
	s_and_saveexec_b32 s0, s23
	s_cbranch_execz .LBB41_15
; %bb.12:                               ;   in Loop: Header=BB41_11 Depth=1
	v_mbcnt_lo_u32_b32 v6, exec_lo, 0
	s_mov_b32 s23, exec_lo
	s_delay_alu instid0(VALU_DEP_1)
	v_cmpx_eq_u32_e32 0, v6
	s_cbranch_execz .LBB41_14
; %bb.13:                               ;   in Loop: Header=BB41_11 Depth=1
	v_mov_b32_e32 v6, s26
	s_wait_kmcnt 0x0
	global_atomic_min_i32 v25, v6, s[8:9] scope:SCOPE_DEV
.LBB41_14:                              ;   in Loop: Header=BB41_11 Depth=1
	s_wait_xcnt 0x0
	s_or_b32 exec_lo, exec_lo, s23
	v_mov_b64_e32 v[8:9], 1.0
	v_mov_b64_e32 v[6:7], 0
.LBB41_15:                              ;   in Loop: Header=BB41_11 Depth=1
	s_or_b32 exec_lo, exec_lo, s0
	s_mov_b32 s29, -1
	s_mov_b32 s0, 0
	s_cmp_lt_i32 s5, 1
	s_mov_b32 s23, 0
                                        ; implicit-def: $vgpr16_vgpr17
                                        ; implicit-def: $vgpr18_vgpr19
	s_cbranch_scc0 .LBB41_22
; %bb.16:                               ;   in Loop: Header=BB41_11 Depth=1
	s_and_b32 vcc_lo, exec_lo, s29
	s_mov_b32 s28, 4
	s_cbranch_vccnz .LBB41_29
.LBB41_17:                              ;   in Loop: Header=BB41_11 Depth=1
	v_mov_b64_e32 v[22:23], v[4:5]
	v_mov_b64_e32 v[20:21], v[2:3]
	s_and_b32 vcc_lo, exec_lo, s23
	s_cbranch_vccnz .LBB41_34
.LBB41_18:                              ;   in Loop: Header=BB41_11 Depth=1
	s_and_b32 vcc_lo, exec_lo, s0
	s_cbranch_vccnz .LBB41_41
.LBB41_19:                              ;   in Loop: Header=BB41_11 Depth=1
	s_mov_b32 s0, -1
	s_cmp_gt_i32 s28, 3
	s_mov_b32 s1, -1
	s_cbranch_scc0 .LBB41_44
.LBB41_20:                              ;   in Loop: Header=BB41_11 Depth=1
	s_and_not1_b32 vcc_lo, exec_lo, s1
	s_cbranch_vccz .LBB41_45
.LBB41_21:                              ;   in Loop: Header=BB41_11 Depth=1
	s_delay_alu instid0(VALU_DEP_1) | instskip(NEXT) | instid1(VALU_DEP_2)
	v_mov_b64_e32 v[4:5], v[22:23]
	v_mov_b64_e32 v[2:3], v[20:21]
	s_and_not1_b32 vcc_lo, exec_lo, s0
	s_cbranch_vccnz .LBB41_46
	s_branch .LBB41_52
.LBB41_22:                              ;   in Loop: Header=BB41_11 Depth=1
	s_cmp_eq_u32 s5, 1
	s_mov_b32 s23, -1
                                        ; implicit-def: $vgpr16_vgpr17
                                        ; implicit-def: $vgpr18_vgpr19
	s_cbranch_scc0 .LBB41_28
; %bb.23:                               ;   in Loop: Header=BB41_11 Depth=1
	v_mov_b64_e32 v[16:17], v[12:13]
	v_mov_b64_e32 v[18:19], v[14:15]
	s_cmp_ge_i32 s22, s16
	s_mov_b32 s23, 0
	s_cbranch_scc0 .LBB41_28
; %bb.24:                               ;   in Loop: Header=BB41_11 Depth=1
	s_and_b32 vcc_lo, exec_lo, s28
	s_mov_b32 s23, -1
                                        ; implicit-def: $vgpr16_vgpr17
                                        ; implicit-def: $vgpr18_vgpr19
	s_cbranch_vccz .LBB41_28
; %bb.25:                               ;   in Loop: Header=BB41_11 Depth=1
	v_mov_b64_e32 v[16:17], v[12:13]
	v_mov_b64_e32 v[18:19], v[14:15]
	s_and_not1_b32 vcc_lo, exec_lo, s25
	s_cbranch_vccnz .LBB41_27
; %bb.26:                               ;   in Loop: Header=BB41_11 Depth=1
	v_mul_f64_e32 v[16:17], v[6:7], v[6:7]
	s_delay_alu instid0(VALU_DEP_1) | instskip(NEXT) | instid1(VALU_DEP_1)
	v_fmac_f64_e32 v[16:17], v[8:9], v[8:9]
	v_div_scale_f64 v[18:19], null, v[16:17], v[16:17], 1.0
	v_div_scale_f64 v[26:27], vcc_lo, 1.0, v[16:17], 1.0
	s_delay_alu instid0(VALU_DEP_2) | instskip(SKIP_1) | instid1(TRANS32_DEP_1)
	v_rcp_f64_e32 v[20:21], v[18:19]
	v_nop
	v_fma_f64 v[22:23], -v[18:19], v[20:21], 1.0
	s_delay_alu instid0(VALU_DEP_1) | instskip(NEXT) | instid1(VALU_DEP_1)
	v_fmac_f64_e32 v[20:21], v[20:21], v[22:23]
	v_fma_f64 v[22:23], -v[18:19], v[20:21], 1.0
	s_delay_alu instid0(VALU_DEP_1) | instskip(NEXT) | instid1(VALU_DEP_1)
	v_fmac_f64_e32 v[20:21], v[20:21], v[22:23]
	v_mul_f64_e32 v[22:23], v[26:27], v[20:21]
	s_delay_alu instid0(VALU_DEP_1) | instskip(NEXT) | instid1(VALU_DEP_1)
	v_fma_f64 v[18:19], -v[18:19], v[22:23], v[26:27]
	v_div_fmas_f64 v[18:19], v[18:19], v[20:21], v[22:23]
	v_fma_f64 v[20:21], 0, v[6:7], v[8:9]
	v_fma_f64 v[22:23], v[8:9], 0, -v[6:7]
	s_delay_alu instid0(VALU_DEP_3) | instskip(NEXT) | instid1(VALU_DEP_1)
	v_div_fixup_f64 v[16:17], v[18:19], v[16:17], 1.0
	v_mul_f64_e32 v[18:19], v[20:21], v[16:17]
	s_delay_alu instid0(VALU_DEP_3)
	v_mul_f64_e32 v[16:17], v[22:23], v[16:17]
.LBB41_27:                              ;   in Loop: Header=BB41_11 Depth=1
	s_mov_b32 s23, 0
.LBB41_28:                              ;   in Loop: Header=BB41_11 Depth=1
	s_mov_b32 s28, 4
	s_branch .LBB41_17
.LBB41_29:                              ;   in Loop: Header=BB41_11 Depth=1
	s_cmp_eq_u32 s5, 0
	s_cbranch_scc1 .LBB41_31
; %bb.30:                               ;   in Loop: Header=BB41_11 Depth=1
	s_mov_b32 s23, -1
	s_branch .LBB41_33
.LBB41_31:                              ;   in Loop: Header=BB41_11 Depth=1
	s_cmp_le_i32 s22, s16
	s_mov_b32 s23, 0
	s_cbranch_scc0 .LBB41_33
; %bb.32:                               ;   in Loop: Header=BB41_11 Depth=1
	s_mov_b32 s0, -1
	s_mov_b32 s23, s1
.LBB41_33:                              ;   in Loop: Header=BB41_11 Depth=1
	v_mov_b64_e32 v[16:17], v[12:13]
	v_mov_b64_e32 v[18:19], v[14:15]
	s_mov_b32 s28, 2
	v_mov_b64_e32 v[22:23], v[4:5]
	v_mov_b64_e32 v[20:21], v[2:3]
	s_and_b32 vcc_lo, exec_lo, s23
	s_cbranch_vccz .LBB41_18
.LBB41_34:                              ;   in Loop: Header=BB41_11 Depth=1
	s_and_saveexec_b32 s23, s3
	s_cbranch_execz .LBB41_38
; %bb.35:                               ;   in Loop: Header=BB41_11 Depth=1
	s_add_co_i32 s0, s22, s7
	s_delay_alu instid0(SALU_CYCLE_1)
	v_mov_b32_e32 v16, s0
	global_load_b32 v16, v16, s[20:21] scale_offset scope:SCOPE_DEV
	s_wait_loadcnt 0x0
	v_cmp_ne_u32_e32 vcc_lo, 0, v16
	s_cbranch_vccnz .LBB41_38
; %bb.36:                               ;   in Loop: Header=BB41_11 Depth=1
	s_ashr_i32 s1, s0, 31
	s_delay_alu instid0(SALU_CYCLE_1) | instskip(NEXT) | instid1(SALU_CYCLE_1)
	s_lshl_b64 s[0:1], s[0:1], 2
	s_add_nc_u64 s[0:1], s[20:21], s[0:1]
.LBB41_37:                              ;   Parent Loop BB41_11 Depth=1
                                        ; =>  This Inner Loop Header: Depth=2
	global_load_b32 v16, v25, s[0:1] scope:SCOPE_DEV
	s_wait_loadcnt 0x0
	v_cmp_eq_u32_e32 vcc_lo, 0, v16
	s_cbranch_vccnz .LBB41_37
.LBB41_38:                              ;   in Loop: Header=BB41_11 Depth=1
	s_wait_xcnt 0x0
	s_or_b32 exec_lo, exec_lo, s23
	v_mov_b64_e32 v[22:23], 0
	v_mov_b64_e32 v[20:21], 0
	s_wait_storecnt 0x0
	s_barrier_signal -1
	s_barrier_wait -1
	global_inv scope:SCOPE_DEV
	s_and_saveexec_b32 s0, s2
	s_cbranch_execz .LBB41_40
; %bb.39:                               ;   in Loop: Header=BB41_11 Depth=1
	s_ashr_i32 s23, s22, 31
	s_delay_alu instid0(SALU_CYCLE_1) | instskip(NEXT) | instid1(SALU_CYCLE_1)
	s_mul_u64 s[22:23], s[10:11], s[22:23]
	v_lshl_add_u64 v[16:17], s[22:23], 4, v[10:11]
	global_load_b128 v[16:19], v[16:17], off
	s_wait_loadcnt 0x0
	v_fma_f64 v[20:21], -v[8:9], v[16:17], v[2:3]
	v_fma_f64 v[16:17], -v[6:7], v[16:17], v[4:5]
	s_delay_alu instid0(VALU_DEP_2) | instskip(NEXT) | instid1(VALU_DEP_2)
	v_fmac_f64_e32 v[20:21], v[6:7], v[18:19]
	v_fma_f64 v[22:23], -v[8:9], v[18:19], v[16:17]
.LBB41_40:                              ;   in Loop: Header=BB41_11 Depth=1
	s_or_b32 exec_lo, exec_lo, s0
	v_mov_b64_e32 v[16:17], v[12:13]
	v_mov_b64_e32 v[18:19], v[14:15]
	s_mov_b32 s28, 0
	s_branch .LBB41_19
.LBB41_41:                              ;   in Loop: Header=BB41_11 Depth=1
	s_and_not1_b32 vcc_lo, exec_lo, s25
	s_cbranch_vccnz .LBB41_43
; %bb.42:                               ;   in Loop: Header=BB41_11 Depth=1
	v_mul_f64_e32 v[12:13], v[6:7], v[6:7]
	s_delay_alu instid0(VALU_DEP_1) | instskip(NEXT) | instid1(VALU_DEP_1)
	v_fmac_f64_e32 v[12:13], v[8:9], v[8:9]
	v_div_scale_f64 v[14:15], null, v[12:13], v[12:13], 1.0
	v_div_scale_f64 v[20:21], vcc_lo, 1.0, v[12:13], 1.0
	s_delay_alu instid0(VALU_DEP_2) | instskip(SKIP_1) | instid1(TRANS32_DEP_1)
	v_rcp_f64_e32 v[16:17], v[14:15]
	v_nop
	v_fma_f64 v[18:19], -v[14:15], v[16:17], 1.0
	s_delay_alu instid0(VALU_DEP_1) | instskip(NEXT) | instid1(VALU_DEP_1)
	v_fmac_f64_e32 v[16:17], v[16:17], v[18:19]
	v_fma_f64 v[18:19], -v[14:15], v[16:17], 1.0
	s_delay_alu instid0(VALU_DEP_1) | instskip(NEXT) | instid1(VALU_DEP_1)
	v_fmac_f64_e32 v[16:17], v[16:17], v[18:19]
	v_mul_f64_e32 v[18:19], v[20:21], v[16:17]
	s_delay_alu instid0(VALU_DEP_1) | instskip(NEXT) | instid1(VALU_DEP_1)
	v_fma_f64 v[14:15], -v[14:15], v[18:19], v[20:21]
	v_div_fmas_f64 v[14:15], v[14:15], v[16:17], v[18:19]
	v_fma_f64 v[16:17], 0, v[6:7], v[8:9]
	v_fma_f64 v[6:7], v[8:9], 0, -v[6:7]
	s_delay_alu instid0(VALU_DEP_3) | instskip(NEXT) | instid1(VALU_DEP_1)
	v_div_fixup_f64 v[12:13], v[14:15], v[12:13], 1.0
	v_mul_f64_e32 v[14:15], v[16:17], v[12:13]
	s_delay_alu instid0(VALU_DEP_3)
	v_mul_f64_e32 v[12:13], v[6:7], v[12:13]
.LBB41_43:                              ;   in Loop: Header=BB41_11 Depth=1
	s_delay_alu instid0(VALU_DEP_2) | instskip(NEXT) | instid1(VALU_DEP_2)
	v_mov_b64_e32 v[18:19], v[14:15]
	v_mov_b64_e32 v[16:17], v[12:13]
	;; [unrolled: 1-line block ×4, first 2 shown]
	s_mov_b32 s28, 2
	s_mov_b32 s0, -1
	s_cmp_gt_i32 s28, 3
	s_mov_b32 s1, -1
	s_cbranch_scc1 .LBB41_20
.LBB41_44:                              ;   in Loop: Header=BB41_11 Depth=1
	s_cmp_eq_u32 s28, 0
	s_cselect_b32 s1, -1, 0
	s_delay_alu instid0(SALU_CYCLE_1)
	s_and_not1_b32 vcc_lo, exec_lo, s1
	s_cbranch_vccnz .LBB41_21
.LBB41_45:                              ;   in Loop: Header=BB41_11 Depth=1
	s_add_co_i32 s27, s27, 1
	s_delay_alu instid0(SALU_CYCLE_1) | instskip(SKIP_1) | instid1(VALU_DEP_1)
	s_cmp_ge_i32 s27, s24
	s_cselect_b32 s0, -1, 0
	v_mov_b64_e32 v[4:5], v[22:23]
	s_delay_alu instid0(VALU_DEP_2)
	v_mov_b64_e32 v[2:3], v[20:21]
	s_and_not1_b32 vcc_lo, exec_lo, s0
	s_cbranch_vccz .LBB41_52
.LBB41_46:                              ;   in Loop: Header=BB41_11 Depth=1
	s_delay_alu instid0(VALU_DEP_4) | instskip(NEXT) | instid1(VALU_DEP_4)
	v_mov_b64_e32 v[12:13], v[16:17]
	v_mov_b64_e32 v[14:15], v[18:19]
	s_sub_co_i32 s0, s27, s17
	s_delay_alu instid0(SALU_CYCLE_1) | instskip(NEXT) | instid1(SALU_CYCLE_1)
	s_and_b32 s1, s0, 0x1ff
	s_cmp_lg_u32 s1, 0
	s_cbranch_scc1 .LBB41_11
	s_branch .LBB41_8
.LBB41_47:
                                        ; implicit-def: $vgpr4_vgpr5
	s_load_b64 s[20:21], s[0:1], 0x48
.LBB41_48:
	v_mov_b64_e32 v[4:5], 0
	v_mov_b64_e32 v[2:3], 0
	s_and_saveexec_b32 s3, s2
	s_cbranch_execz .LBB41_50
; %bb.49:
	v_lshl_add_u64 v[2:3], v[12:13], 4, s[8:9]
	global_load_b128 v[12:15], v[2:3], off
	s_wait_loadcnt_dscnt 0x0
	v_mul_f64_e32 v[2:3], v[8:9], v[14:15]
	v_mul_f64_e64 v[4:5], v[6:7], -v[14:15]
	s_delay_alu instid0(VALU_DEP_2) | instskip(NEXT) | instid1(VALU_DEP_2)
	v_fmac_f64_e32 v[2:3], v[6:7], v[12:13]
	v_fmac_f64_e32 v[4:5], v[8:9], v[12:13]
.LBB41_50:
	s_or_b32 exec_lo, exec_lo, s3
	v_lshl_add_u64 v[10:11], v[10:11], 4, s[8:9]
	v_cmp_eq_u32_e64 s3, 0, v0
	s_wait_kmcnt 0x0
	s_cmp_ge_i32 s22, s23
	s_cbranch_scc0 .LBB41_7
.LBB41_51:
	v_mov_b64_e32 v[18:19], 1.0
	v_mov_b64_e32 v[16:17], 0
.LBB41_52:
	s_cmp_lg_u32 s6, 0
	s_cbranch_scc0 .LBB41_58
; %bb.53:
	s_and_saveexec_b32 s0, s2
	s_cbranch_execz .LBB41_55
.LBB41_54:
	s_wait_loadcnt_dscnt 0x0
	v_lshl_add_u64 v[6:7], s[18:19], 4, v[10:11]
	global_store_b128 v[6:7], v[2:5], off
.LBB41_55:
	s_wait_xcnt 0x0
	s_or_b32 exec_lo, exec_lo, s0
	global_wb scope:SCOPE_DEV
	s_wait_storecnt 0x0
	s_wait_loadcnt_dscnt 0x0
	global_inv scope:SCOPE_DEV
	s_wait_loadcnt 0x0
	s_barrier_signal -1
	s_barrier_wait -1
	s_mov_b32 s0, exec_lo
	v_cmpx_eq_u32_e32 0, v0
	s_cbranch_execz .LBB41_57
; %bb.56:
	s_add_co_i32 s0, s16, s7
	s_delay_alu instid0(SALU_CYCLE_1)
	v_dual_mov_b32 v0, 1 :: v_dual_mov_b32 v1, s0
	global_store_b32 v1, v0, s[20:21] scale_offset scope:SCOPE_DEV
.LBB41_57:
	s_endpgm
.LBB41_58:
	s_wait_loadcnt_dscnt 0x0
	s_delay_alu instid0(VALU_DEP_1) | instskip(SKIP_1) | instid1(VALU_DEP_2)
	v_mul_f64_e64 v[6:7], v[16:17], -v[4:5]
	v_mul_f64_e32 v[8:9], v[16:17], v[2:3]
	v_fmac_f64_e32 v[6:7], v[2:3], v[18:19]
	s_delay_alu instid0(VALU_DEP_2) | instskip(NEXT) | instid1(VALU_DEP_2)
	v_fmac_f64_e32 v[8:9], v[4:5], v[18:19]
	v_mov_b64_e32 v[2:3], v[6:7]
	s_delay_alu instid0(VALU_DEP_2)
	v_mov_b64_e32 v[4:5], v[8:9]
	s_and_saveexec_b32 s0, s2
	s_cbranch_execnz .LBB41_54
	s_branch .LBB41_55
	.section	.rodata,"a",@progbits
	.p2align	6, 0x0
	.amdhsa_kernel _ZN9rocsparseL5csrsmILj512ELj64ELb0Eii21rocsparse_complex_numIdEEEv20rocsparse_operation_T3_S4_NS_24const_host_device_scalarIT4_EEPKT2_PKS4_PKS6_PS6_lPiSC_PS4_21rocsparse_index_base_20rocsparse_fill_mode_20rocsparse_diag_type_b
		.amdhsa_group_segment_fixed_size 10240
		.amdhsa_private_segment_fixed_size 16
		.amdhsa_kernarg_size 112
		.amdhsa_user_sgpr_count 2
		.amdhsa_user_sgpr_dispatch_ptr 0
		.amdhsa_user_sgpr_queue_ptr 0
		.amdhsa_user_sgpr_kernarg_segment_ptr 1
		.amdhsa_user_sgpr_dispatch_id 0
		.amdhsa_user_sgpr_kernarg_preload_length 0
		.amdhsa_user_sgpr_kernarg_preload_offset 0
		.amdhsa_user_sgpr_private_segment_size 0
		.amdhsa_wavefront_size32 1
		.amdhsa_uses_dynamic_stack 0
		.amdhsa_enable_private_segment 1
		.amdhsa_system_sgpr_workgroup_id_x 1
		.amdhsa_system_sgpr_workgroup_id_y 0
		.amdhsa_system_sgpr_workgroup_id_z 0
		.amdhsa_system_sgpr_workgroup_info 0
		.amdhsa_system_vgpr_workitem_id 0
		.amdhsa_next_free_vgpr 28
		.amdhsa_next_free_sgpr 30
		.amdhsa_named_barrier_count 0
		.amdhsa_reserve_vcc 1
		.amdhsa_float_round_mode_32 0
		.amdhsa_float_round_mode_16_64 0
		.amdhsa_float_denorm_mode_32 3
		.amdhsa_float_denorm_mode_16_64 3
		.amdhsa_fp16_overflow 0
		.amdhsa_memory_ordered 1
		.amdhsa_forward_progress 1
		.amdhsa_inst_pref_size 17
		.amdhsa_round_robin_scheduling 0
		.amdhsa_exception_fp_ieee_invalid_op 0
		.amdhsa_exception_fp_denorm_src 0
		.amdhsa_exception_fp_ieee_div_zero 0
		.amdhsa_exception_fp_ieee_overflow 0
		.amdhsa_exception_fp_ieee_underflow 0
		.amdhsa_exception_fp_ieee_inexact 0
		.amdhsa_exception_int_div_zero 0
	.end_amdhsa_kernel
	.section	.text._ZN9rocsparseL5csrsmILj512ELj64ELb0Eii21rocsparse_complex_numIdEEEv20rocsparse_operation_T3_S4_NS_24const_host_device_scalarIT4_EEPKT2_PKS4_PKS6_PS6_lPiSC_PS4_21rocsparse_index_base_20rocsparse_fill_mode_20rocsparse_diag_type_b,"axG",@progbits,_ZN9rocsparseL5csrsmILj512ELj64ELb0Eii21rocsparse_complex_numIdEEEv20rocsparse_operation_T3_S4_NS_24const_host_device_scalarIT4_EEPKT2_PKS4_PKS6_PS6_lPiSC_PS4_21rocsparse_index_base_20rocsparse_fill_mode_20rocsparse_diag_type_b,comdat
.Lfunc_end41:
	.size	_ZN9rocsparseL5csrsmILj512ELj64ELb0Eii21rocsparse_complex_numIdEEEv20rocsparse_operation_T3_S4_NS_24const_host_device_scalarIT4_EEPKT2_PKS4_PKS6_PS6_lPiSC_PS4_21rocsparse_index_base_20rocsparse_fill_mode_20rocsparse_diag_type_b, .Lfunc_end41-_ZN9rocsparseL5csrsmILj512ELj64ELb0Eii21rocsparse_complex_numIdEEEv20rocsparse_operation_T3_S4_NS_24const_host_device_scalarIT4_EEPKT2_PKS4_PKS6_PS6_lPiSC_PS4_21rocsparse_index_base_20rocsparse_fill_mode_20rocsparse_diag_type_b
                                        ; -- End function
	.set _ZN9rocsparseL5csrsmILj512ELj64ELb0Eii21rocsparse_complex_numIdEEEv20rocsparse_operation_T3_S4_NS_24const_host_device_scalarIT4_EEPKT2_PKS4_PKS6_PS6_lPiSC_PS4_21rocsparse_index_base_20rocsparse_fill_mode_20rocsparse_diag_type_b.num_vgpr, 28
	.set _ZN9rocsparseL5csrsmILj512ELj64ELb0Eii21rocsparse_complex_numIdEEEv20rocsparse_operation_T3_S4_NS_24const_host_device_scalarIT4_EEPKT2_PKS4_PKS6_PS6_lPiSC_PS4_21rocsparse_index_base_20rocsparse_fill_mode_20rocsparse_diag_type_b.num_agpr, 0
	.set _ZN9rocsparseL5csrsmILj512ELj64ELb0Eii21rocsparse_complex_numIdEEEv20rocsparse_operation_T3_S4_NS_24const_host_device_scalarIT4_EEPKT2_PKS4_PKS6_PS6_lPiSC_PS4_21rocsparse_index_base_20rocsparse_fill_mode_20rocsparse_diag_type_b.numbered_sgpr, 30
	.set _ZN9rocsparseL5csrsmILj512ELj64ELb0Eii21rocsparse_complex_numIdEEEv20rocsparse_operation_T3_S4_NS_24const_host_device_scalarIT4_EEPKT2_PKS4_PKS6_PS6_lPiSC_PS4_21rocsparse_index_base_20rocsparse_fill_mode_20rocsparse_diag_type_b.num_named_barrier, 0
	.set _ZN9rocsparseL5csrsmILj512ELj64ELb0Eii21rocsparse_complex_numIdEEEv20rocsparse_operation_T3_S4_NS_24const_host_device_scalarIT4_EEPKT2_PKS4_PKS6_PS6_lPiSC_PS4_21rocsparse_index_base_20rocsparse_fill_mode_20rocsparse_diag_type_b.private_seg_size, 16
	.set _ZN9rocsparseL5csrsmILj512ELj64ELb0Eii21rocsparse_complex_numIdEEEv20rocsparse_operation_T3_S4_NS_24const_host_device_scalarIT4_EEPKT2_PKS4_PKS6_PS6_lPiSC_PS4_21rocsparse_index_base_20rocsparse_fill_mode_20rocsparse_diag_type_b.uses_vcc, 1
	.set _ZN9rocsparseL5csrsmILj512ELj64ELb0Eii21rocsparse_complex_numIdEEEv20rocsparse_operation_T3_S4_NS_24const_host_device_scalarIT4_EEPKT2_PKS4_PKS6_PS6_lPiSC_PS4_21rocsparse_index_base_20rocsparse_fill_mode_20rocsparse_diag_type_b.uses_flat_scratch, 0
	.set _ZN9rocsparseL5csrsmILj512ELj64ELb0Eii21rocsparse_complex_numIdEEEv20rocsparse_operation_T3_S4_NS_24const_host_device_scalarIT4_EEPKT2_PKS4_PKS6_PS6_lPiSC_PS4_21rocsparse_index_base_20rocsparse_fill_mode_20rocsparse_diag_type_b.has_dyn_sized_stack, 0
	.set _ZN9rocsparseL5csrsmILj512ELj64ELb0Eii21rocsparse_complex_numIdEEEv20rocsparse_operation_T3_S4_NS_24const_host_device_scalarIT4_EEPKT2_PKS4_PKS6_PS6_lPiSC_PS4_21rocsparse_index_base_20rocsparse_fill_mode_20rocsparse_diag_type_b.has_recursion, 0
	.set _ZN9rocsparseL5csrsmILj512ELj64ELb0Eii21rocsparse_complex_numIdEEEv20rocsparse_operation_T3_S4_NS_24const_host_device_scalarIT4_EEPKT2_PKS4_PKS6_PS6_lPiSC_PS4_21rocsparse_index_base_20rocsparse_fill_mode_20rocsparse_diag_type_b.has_indirect_call, 0
	.section	.AMDGPU.csdata,"",@progbits
; Kernel info:
; codeLenInByte = 2128
; TotalNumSgprs: 32
; NumVgprs: 28
; ScratchSize: 16
; MemoryBound: 0
; FloatMode: 240
; IeeeMode: 1
; LDSByteSize: 10240 bytes/workgroup (compile time only)
; SGPRBlocks: 0
; VGPRBlocks: 1
; NumSGPRsForWavesPerEU: 32
; NumVGPRsForWavesPerEU: 28
; NamedBarCnt: 0
; Occupancy: 16
; WaveLimiterHint : 1
; COMPUTE_PGM_RSRC2:SCRATCH_EN: 1
; COMPUTE_PGM_RSRC2:USER_SGPR: 2
; COMPUTE_PGM_RSRC2:TRAP_HANDLER: 0
; COMPUTE_PGM_RSRC2:TGID_X_EN: 1
; COMPUTE_PGM_RSRC2:TGID_Y_EN: 0
; COMPUTE_PGM_RSRC2:TGID_Z_EN: 0
; COMPUTE_PGM_RSRC2:TIDIG_COMP_CNT: 0
	.section	.text._ZN9rocsparseL5csrsmILj1024ELj64ELb1Eii21rocsparse_complex_numIdEEEv20rocsparse_operation_T3_S4_NS_24const_host_device_scalarIT4_EEPKT2_PKS4_PKS6_PS6_lPiSC_PS4_21rocsparse_index_base_20rocsparse_fill_mode_20rocsparse_diag_type_b,"axG",@progbits,_ZN9rocsparseL5csrsmILj1024ELj64ELb1Eii21rocsparse_complex_numIdEEEv20rocsparse_operation_T3_S4_NS_24const_host_device_scalarIT4_EEPKT2_PKS4_PKS6_PS6_lPiSC_PS4_21rocsparse_index_base_20rocsparse_fill_mode_20rocsparse_diag_type_b,comdat
	.globl	_ZN9rocsparseL5csrsmILj1024ELj64ELb1Eii21rocsparse_complex_numIdEEEv20rocsparse_operation_T3_S4_NS_24const_host_device_scalarIT4_EEPKT2_PKS4_PKS6_PS6_lPiSC_PS4_21rocsparse_index_base_20rocsparse_fill_mode_20rocsparse_diag_type_b ; -- Begin function _ZN9rocsparseL5csrsmILj1024ELj64ELb1Eii21rocsparse_complex_numIdEEEv20rocsparse_operation_T3_S4_NS_24const_host_device_scalarIT4_EEPKT2_PKS4_PKS6_PS6_lPiSC_PS4_21rocsparse_index_base_20rocsparse_fill_mode_20rocsparse_diag_type_b
	.p2align	8
	.type	_ZN9rocsparseL5csrsmILj1024ELj64ELb1Eii21rocsparse_complex_numIdEEEv20rocsparse_operation_T3_S4_NS_24const_host_device_scalarIT4_EEPKT2_PKS4_PKS6_PS6_lPiSC_PS4_21rocsparse_index_base_20rocsparse_fill_mode_20rocsparse_diag_type_b,@function
_ZN9rocsparseL5csrsmILj1024ELj64ELb1Eii21rocsparse_complex_numIdEEEv20rocsparse_operation_T3_S4_NS_24const_host_device_scalarIT4_EEPKT2_PKS4_PKS6_PS6_lPiSC_PS4_21rocsparse_index_base_20rocsparse_fill_mode_20rocsparse_diag_type_b: ; @_ZN9rocsparseL5csrsmILj1024ELj64ELb1Eii21rocsparse_complex_numIdEEEv20rocsparse_operation_T3_S4_NS_24const_host_device_scalarIT4_EEPKT2_PKS4_PKS6_PS6_lPiSC_PS4_21rocsparse_index_base_20rocsparse_fill_mode_20rocsparse_diag_type_b
; %bb.0:
	s_clause 0x1
	s_load_b128 s[4:7], s[0:1], 0x60
	s_load_b128 s[8:11], s[0:1], 0x10
	v_mbcnt_lo_u32_b32 v1, -1, 0
	s_clause 0x1
	s_load_b64 s[2:3], s[0:1], 0x20
	s_load_b64 s[16:17], s[0:1], 0x50
	s_delay_alu instid0(VALU_DEP_1) | instskip(NEXT) | instid1(VALU_DEP_1)
	v_dual_mov_b32 v2, 0 :: v_dual_lshlrev_b32 v3, 20, v1
	v_add_nc_u64_e32 v[2:3], src_flat_scratch_base_lo, v[2:3]
	s_wait_kmcnt 0x0
	s_bitcmp1_b32 s7, 0
	v_mov_b64_e32 v[4:5], s[8:9]
	s_cselect_b32 vcc_lo, -1, 0
	v_mov_b64_e32 v[8:9], s[10:11]
	s_delay_alu instid0(VALU_DEP_3)
	v_cndmask_b32_e32 v3, s9, v3, vcc_lo
	v_cndmask_b32_e32 v2, s8, v2, vcc_lo
	s_and_b32 vcc_lo, exec_lo, vcc_lo
	scratch_store_b64 off, v[4:5], off
	flat_load_b64 v[6:7], v[2:3]
	s_cbranch_vccnz .LBB42_2
; %bb.1:
	v_mov_b32_e32 v1, 0
	flat_load_b64 v[8:9], v1, s[8:9] offset:8
.LBB42_2:
	s_load_b96 s[12:14], s[0:1], 0x0
	s_bfe_u32 s9, ttmp6, 0x4000c
	s_and_b32 s8, ttmp6, 15
	s_add_co_i32 s9, s9, 1
	s_getreg_b32 s10, hwreg(HW_REG_IB_STS2, 6, 4)
	s_mul_i32 s9, ttmp9, s9
	s_delay_alu instid0(SALU_CYCLE_1) | instskip(SKIP_3) | instid1(SALU_CYCLE_2)
	s_add_co_i32 s8, s8, s9
	s_wait_kmcnt 0x0
	s_cvt_f32_u32 s7, s13
	s_sub_co_i32 s11, 0, s13
	v_rcp_iflag_f32_e32 v1, s7
	v_nop
	s_delay_alu instid0(TRANS32_DEP_1) | instskip(SKIP_1) | instid1(SALU_CYCLE_3)
	v_readfirstlane_b32 s7, v1
	s_mul_f32 s7, s7, 0x4f7ffffe
	s_cvt_u32_f32 s7, s7
	s_delay_alu instid0(SALU_CYCLE_3) | instskip(NEXT) | instid1(SALU_CYCLE_1)
	s_mul_i32 s11, s11, s7
	s_mul_hi_u32 s11, s7, s11
	s_delay_alu instid0(SALU_CYCLE_1) | instskip(SKIP_2) | instid1(SALU_CYCLE_1)
	s_add_co_i32 s7, s7, s11
	s_cmp_eq_u32 s10, 0
	s_cselect_b32 s8, ttmp9, s8
	s_mul_hi_u32 s7, s8, s7
	s_delay_alu instid0(SALU_CYCLE_1) | instskip(SKIP_2) | instid1(SALU_CYCLE_1)
	s_mul_i32 s9, s7, s13
	s_add_co_i32 s10, s7, 1
	s_sub_co_i32 s9, s8, s9
	s_sub_co_i32 s11, s9, s13
	s_cmp_ge_u32 s9, s13
	s_cselect_b32 s7, s10, s7
	s_cselect_b32 s9, s11, s9
	s_add_co_i32 s10, s7, 1
	s_cmp_ge_u32 s9, s13
	s_cselect_b32 s15, s10, s7
	s_delay_alu instid0(SALU_CYCLE_1) | instskip(SKIP_2) | instid1(SALU_CYCLE_1)
	s_mul_i32 s7, s15, s13
	v_lshl_or_b32 v12, s15, 10, v0
	s_sub_co_i32 s8, s8, s7
	s_ashr_i32 s9, s8, 31
	s_delay_alu instid0(VALU_DEP_1) | instskip(SKIP_1) | instid1(SALU_CYCLE_1)
	v_ashrrev_i32_e32 v13, 31, v12
	s_lshl_b64 s[8:9], s[8:9], 2
	s_add_nc_u64 s[18:19], s[16:17], s[8:9]
	s_load_b32 s16, s[18:19], 0x0
	s_load_b128 s[8:11], s[0:1], 0x38
	s_wait_kmcnt 0x0
	s_ashr_i32 s17, s16, 31
	v_mad_nc_u64_u32 v[10:11], s10, s16, v[12:13]
	s_lshl_b64 s[18:19], s[16:17], 2
	s_cmp_lg_u32 s12, 0x71
	s_add_nc_u64 s[2:3], s[2:3], s[18:19]
	s_load_b64 s[22:23], s[2:3], 0x0
	s_wait_xcnt 0x0
	s_mul_i32 s2, s10, s17
	s_mul_i32 s3, s11, s16
	s_delay_alu instid0(VALU_DEP_1) | instid1(SALU_CYCLE_1)
	v_add3_u32 v11, s2, s3, v11
	v_cmp_gt_i32_e64 s2, s14, v12
	s_cbranch_scc0 .LBB42_49
; %bb.3:
	v_mov_b64_e32 v[4:5], 0
	v_mov_b64_e32 v[2:3], 0
	s_and_saveexec_b32 s3, s2
	s_cbranch_execz .LBB42_5
; %bb.4:
	v_lshl_add_u64 v[2:3], v[10:11], 4, s[8:9]
	global_load_b128 v[14:17], v[2:3], off
	s_wait_loadcnt_dscnt 0x0
	v_mul_f64_e64 v[2:3], v[16:17], -v[8:9]
	v_mul_f64_e32 v[4:5], v[6:7], v[16:17]
	s_delay_alu instid0(VALU_DEP_2) | instskip(NEXT) | instid1(VALU_DEP_2)
	v_fmac_f64_e32 v[2:3], v[6:7], v[14:15]
	v_fmac_f64_e32 v[4:5], v[8:9], v[14:15]
.LBB42_5:
	s_or_b32 exec_lo, exec_lo, s3
	s_load_b64 s[18:19], s[0:1], 0x48
	s_cbranch_execz .LBB42_50
; %bb.6:
	v_cmp_eq_u32_e64 s3, 0, v0
	s_wait_kmcnt 0x0
	s_cmp_ge_i32 s22, s23
	s_cbranch_scc1 .LBB42_53
.LBB42_7:
	s_clause 0x1
	s_load_b64 s[20:21], s[0:1], 0x58
	s_load_b128 s[12:15], s[0:1], 0x28
	v_mov_b64_e32 v[16:17], 1.0
	v_mov_b64_e32 v[14:15], 0
	v_lshl_add_u64 v[12:13], v[12:13], 4, s[8:9]
	s_sub_co_i32 s17, s22, s4
	s_sub_co_i32 s24, s23, s4
	v_lshl_or_b32 v1, v0, 2, 0x4000
	v_dual_mov_b32 v27, 0 :: v_dual_lshlrev_b32 v26, 4, v0
	s_cmp_eq_u32 s6, 0
	s_mov_b32 s27, s17
	s_cselect_b32 s25, -1, 0
	s_add_co_i32 s26, s16, s4
	s_wait_xcnt 0x0
	s_sub_co_i32 s0, s27, s17
	s_delay_alu instid0(SALU_CYCLE_1) | instskip(NEXT) | instid1(SALU_CYCLE_1)
	s_and_b32 s1, s0, 0x3ff
	s_cmp_lg_u32 s1, 0
	s_cbranch_scc1 .LBB42_11
.LBB42_8:
	s_sub_co_i32 s0, s24, s27
	s_wait_loadcnt_dscnt 0x0
	v_mov_b64_e32 v[6:7], -1.0
	v_mov_b64_e32 v[8:9], 0
	v_cmp_gt_u32_e32 vcc_lo, s0, v0
	v_mov_b32_e32 v18, -1
	s_and_saveexec_b32 s0, vcc_lo
	s_cbranch_execz .LBB42_10
; %bb.9:
	v_add_nc_u32_e32 v18, s27, v0
	s_wait_kmcnt 0x0
	s_clause 0x1
	global_load_b32 v19, v18, s[12:13] scale_offset
	global_load_b128 v[6:9], v18, s[14:15] scale_offset
	s_wait_loadcnt 0x1
	s_wait_xcnt 0x0
	v_subrev_nc_u32_e32 v18, s4, v19
.LBB42_10:
	s_or_b32 exec_lo, exec_lo, s0
	ds_store_b32 v1, v18
	s_wait_loadcnt 0x0
	ds_store_b128 v26, v[6:9]
.LBB42_11:                              ; =>This Loop Header: Depth=1
                                        ;     Child Loop BB42_47 Depth 2
                                        ;       Child Loop BB42_48 Depth 3
	s_lshl_b32 s0, s1, 4
	s_wait_storecnt 0x0
	s_wait_loadcnt_dscnt 0x0
	v_mov_b32_e32 v6, s0
	s_barrier_signal -1
	s_barrier_wait -1
	s_lshl_b32 s1, s1, 2
	ds_load_b128 v[18:21], v6
	v_mov_b32_e32 v6, s1
	ds_load_b32 v6, v6 offset:16384
	s_wait_dscnt 0x1
	v_cmp_eq_f64_e32 vcc_lo, 0, v[18:19]
	v_cmp_eq_f64_e64 s0, 0, v[20:21]
	s_wait_dscnt 0x0
	v_readfirstlane_b32 s22, v6
	s_and_b32 s0, vcc_lo, s0
	s_cmp_eq_u32 s22, s16
	s_cselect_b32 s28, -1, 0
	s_cmp_lg_u32 s22, s16
	s_cselect_b32 s1, -1, 0
	s_and_b32 s0, s0, s28
	s_delay_alu instid0(SALU_CYCLE_1) | instskip(NEXT) | instid1(SALU_CYCLE_1)
	s_and_b32 s0, s25, s0
	v_cndmask_b32_e64 v7, v21, 0, s0
	v_cndmask_b32_e64 v6, v20, 0, s0
	;; [unrolled: 1-line block ×4, first 2 shown]
	s_and_b32 s23, s3, s0
	s_delay_alu instid0(SALU_CYCLE_1)
	s_and_saveexec_b32 s0, s23
	s_cbranch_execz .LBB42_15
; %bb.12:                               ;   in Loop: Header=BB42_11 Depth=1
	v_mbcnt_lo_u32_b32 v6, exec_lo, 0
	s_mov_b32 s23, exec_lo
	s_delay_alu instid0(VALU_DEP_1)
	v_cmpx_eq_u32_e32 0, v6
	s_cbranch_execz .LBB42_14
; %bb.13:                               ;   in Loop: Header=BB42_11 Depth=1
	v_mov_b32_e32 v6, s26
	s_wait_kmcnt 0x0
	global_atomic_min_i32 v27, v6, s[20:21] scope:SCOPE_DEV
.LBB42_14:                              ;   in Loop: Header=BB42_11 Depth=1
	s_wait_xcnt 0x0
	s_or_b32 exec_lo, exec_lo, s23
	v_mov_b64_e32 v[8:9], 1.0
	v_mov_b64_e32 v[6:7], 0
.LBB42_15:                              ;   in Loop: Header=BB42_11 Depth=1
	s_or_b32 exec_lo, exec_lo, s0
	s_mov_b32 s29, -1
	s_mov_b32 s0, 0
	s_cmp_lt_i32 s5, 1
	s_mov_b32 s23, 0
                                        ; implicit-def: $vgpr18_vgpr19
                                        ; implicit-def: $vgpr20_vgpr21
	s_cbranch_scc0 .LBB42_22
; %bb.16:                               ;   in Loop: Header=BB42_11 Depth=1
	s_and_b32 vcc_lo, exec_lo, s29
	s_mov_b32 s28, 4
	s_cbranch_vccnz .LBB42_29
.LBB42_17:                              ;   in Loop: Header=BB42_11 Depth=1
	v_mov_b64_e32 v[24:25], v[4:5]
	v_mov_b64_e32 v[22:23], v[2:3]
	s_and_b32 vcc_lo, exec_lo, s23
	s_cbranch_vccnz .LBB42_34
.LBB42_18:                              ;   in Loop: Header=BB42_11 Depth=1
	s_and_b32 vcc_lo, exec_lo, s0
	s_cbranch_vccnz .LBB42_39
.LBB42_19:                              ;   in Loop: Header=BB42_11 Depth=1
	s_mov_b32 s0, -1
	s_cmp_gt_i32 s28, 3
	s_mov_b32 s1, -1
	s_cbranch_scc0 .LBB42_42
.LBB42_20:                              ;   in Loop: Header=BB42_11 Depth=1
	s_and_not1_b32 vcc_lo, exec_lo, s1
	s_cbranch_vccz .LBB42_43
.LBB42_21:                              ;   in Loop: Header=BB42_11 Depth=1
	s_delay_alu instid0(VALU_DEP_1) | instskip(NEXT) | instid1(VALU_DEP_2)
	v_mov_b64_e32 v[4:5], v[24:25]
	v_mov_b64_e32 v[2:3], v[22:23]
	s_and_not1_b32 vcc_lo, exec_lo, s0
	s_cbranch_vccnz .LBB42_44
	s_branch .LBB42_54
.LBB42_22:                              ;   in Loop: Header=BB42_11 Depth=1
	s_cmp_eq_u32 s5, 1
	s_mov_b32 s23, -1
                                        ; implicit-def: $vgpr18_vgpr19
                                        ; implicit-def: $vgpr20_vgpr21
	s_cbranch_scc0 .LBB42_28
; %bb.23:                               ;   in Loop: Header=BB42_11 Depth=1
	v_mov_b64_e32 v[18:19], v[14:15]
	v_mov_b64_e32 v[20:21], v[16:17]
	s_cmp_ge_i32 s22, s16
	s_mov_b32 s23, 0
	s_cbranch_scc0 .LBB42_28
; %bb.24:                               ;   in Loop: Header=BB42_11 Depth=1
	s_and_b32 vcc_lo, exec_lo, s28
	s_mov_b32 s23, -1
                                        ; implicit-def: $vgpr18_vgpr19
                                        ; implicit-def: $vgpr20_vgpr21
	s_cbranch_vccz .LBB42_28
; %bb.25:                               ;   in Loop: Header=BB42_11 Depth=1
	v_mov_b64_e32 v[18:19], v[14:15]
	v_mov_b64_e32 v[20:21], v[16:17]
	s_and_not1_b32 vcc_lo, exec_lo, s25
	s_cbranch_vccnz .LBB42_27
; %bb.26:                               ;   in Loop: Header=BB42_11 Depth=1
	v_mul_f64_e32 v[18:19], v[6:7], v[6:7]
	s_delay_alu instid0(VALU_DEP_1) | instskip(NEXT) | instid1(VALU_DEP_1)
	v_fmac_f64_e32 v[18:19], v[8:9], v[8:9]
	v_div_scale_f64 v[20:21], null, v[18:19], v[18:19], 1.0
	v_div_scale_f64 v[28:29], vcc_lo, 1.0, v[18:19], 1.0
	s_delay_alu instid0(VALU_DEP_2) | instskip(SKIP_1) | instid1(TRANS32_DEP_1)
	v_rcp_f64_e32 v[22:23], v[20:21]
	v_nop
	v_fma_f64 v[24:25], -v[20:21], v[22:23], 1.0
	s_delay_alu instid0(VALU_DEP_1) | instskip(NEXT) | instid1(VALU_DEP_1)
	v_fmac_f64_e32 v[22:23], v[22:23], v[24:25]
	v_fma_f64 v[24:25], -v[20:21], v[22:23], 1.0
	s_delay_alu instid0(VALU_DEP_1) | instskip(NEXT) | instid1(VALU_DEP_1)
	v_fmac_f64_e32 v[22:23], v[22:23], v[24:25]
	v_mul_f64_e32 v[24:25], v[28:29], v[22:23]
	s_delay_alu instid0(VALU_DEP_1) | instskip(NEXT) | instid1(VALU_DEP_1)
	v_fma_f64 v[20:21], -v[20:21], v[24:25], v[28:29]
	v_div_fmas_f64 v[20:21], v[20:21], v[22:23], v[24:25]
	v_fma_f64 v[22:23], 0, v[6:7], v[8:9]
	v_fma_f64 v[24:25], v[8:9], 0, -v[6:7]
	s_delay_alu instid0(VALU_DEP_3) | instskip(NEXT) | instid1(VALU_DEP_1)
	v_div_fixup_f64 v[18:19], v[20:21], v[18:19], 1.0
	v_mul_f64_e32 v[20:21], v[22:23], v[18:19]
	s_delay_alu instid0(VALU_DEP_3)
	v_mul_f64_e32 v[18:19], v[24:25], v[18:19]
.LBB42_27:                              ;   in Loop: Header=BB42_11 Depth=1
	s_mov_b32 s23, 0
.LBB42_28:                              ;   in Loop: Header=BB42_11 Depth=1
	s_mov_b32 s28, 4
	s_branch .LBB42_17
.LBB42_29:                              ;   in Loop: Header=BB42_11 Depth=1
	s_cmp_eq_u32 s5, 0
	s_cbranch_scc1 .LBB42_31
; %bb.30:                               ;   in Loop: Header=BB42_11 Depth=1
	s_mov_b32 s23, -1
	s_branch .LBB42_33
.LBB42_31:                              ;   in Loop: Header=BB42_11 Depth=1
	s_cmp_le_i32 s22, s16
	s_mov_b32 s23, 0
	s_cbranch_scc0 .LBB42_33
; %bb.32:                               ;   in Loop: Header=BB42_11 Depth=1
	s_mov_b32 s0, -1
	s_mov_b32 s23, s1
.LBB42_33:                              ;   in Loop: Header=BB42_11 Depth=1
	v_mov_b64_e32 v[18:19], v[14:15]
	v_mov_b64_e32 v[20:21], v[16:17]
	s_mov_b32 s28, 2
	v_mov_b64_e32 v[24:25], v[4:5]
	v_mov_b64_e32 v[22:23], v[2:3]
	s_and_b32 vcc_lo, exec_lo, s23
	s_cbranch_vccz .LBB42_18
.LBB42_34:                              ;   in Loop: Header=BB42_11 Depth=1
	s_and_saveexec_b32 s23, s3
	s_cbranch_execz .LBB42_36
; %bb.35:                               ;   in Loop: Header=BB42_11 Depth=1
	s_add_co_i32 s0, s22, s7
	s_delay_alu instid0(SALU_CYCLE_1)
	v_mov_b32_e32 v18, s0
	global_load_b32 v18, v18, s[18:19] scale_offset scope:SCOPE_DEV
	s_wait_loadcnt 0x0
	v_cmp_ne_u32_e32 vcc_lo, 0, v18
	s_cbranch_vccz .LBB42_45
.LBB42_36:                              ;   in Loop: Header=BB42_11 Depth=1
	s_wait_xcnt 0x0
	s_or_b32 exec_lo, exec_lo, s23
	v_mov_b64_e32 v[24:25], 0
	v_mov_b64_e32 v[22:23], 0
	s_wait_storecnt 0x0
	s_barrier_signal -1
	s_barrier_wait -1
	global_inv scope:SCOPE_DEV
	s_and_saveexec_b32 s0, s2
	s_cbranch_execz .LBB42_38
; %bb.37:                               ;   in Loop: Header=BB42_11 Depth=1
	s_ashr_i32 s23, s22, 31
	s_delay_alu instid0(SALU_CYCLE_1) | instskip(NEXT) | instid1(SALU_CYCLE_1)
	s_mul_u64 s[22:23], s[10:11], s[22:23]
	v_lshl_add_u64 v[18:19], s[22:23], 4, v[12:13]
	global_load_b128 v[18:21], v[18:19], off
	s_wait_loadcnt 0x0
	v_fma_f64 v[22:23], -v[8:9], v[18:19], v[2:3]
	v_fma_f64 v[18:19], -v[6:7], v[18:19], v[4:5]
	s_delay_alu instid0(VALU_DEP_2) | instskip(NEXT) | instid1(VALU_DEP_2)
	v_fmac_f64_e32 v[22:23], v[6:7], v[20:21]
	v_fma_f64 v[24:25], -v[8:9], v[20:21], v[18:19]
.LBB42_38:                              ;   in Loop: Header=BB42_11 Depth=1
	s_or_b32 exec_lo, exec_lo, s0
	v_mov_b64_e32 v[18:19], v[14:15]
	v_mov_b64_e32 v[20:21], v[16:17]
	s_mov_b32 s28, 0
	s_branch .LBB42_19
.LBB42_39:                              ;   in Loop: Header=BB42_11 Depth=1
	s_and_not1_b32 vcc_lo, exec_lo, s25
	s_cbranch_vccnz .LBB42_41
; %bb.40:                               ;   in Loop: Header=BB42_11 Depth=1
	v_mul_f64_e32 v[14:15], v[6:7], v[6:7]
	s_delay_alu instid0(VALU_DEP_1) | instskip(NEXT) | instid1(VALU_DEP_1)
	v_fmac_f64_e32 v[14:15], v[8:9], v[8:9]
	v_div_scale_f64 v[16:17], null, v[14:15], v[14:15], 1.0
	v_div_scale_f64 v[22:23], vcc_lo, 1.0, v[14:15], 1.0
	s_delay_alu instid0(VALU_DEP_2) | instskip(SKIP_1) | instid1(TRANS32_DEP_1)
	v_rcp_f64_e32 v[18:19], v[16:17]
	v_nop
	v_fma_f64 v[20:21], -v[16:17], v[18:19], 1.0
	s_delay_alu instid0(VALU_DEP_1) | instskip(NEXT) | instid1(VALU_DEP_1)
	v_fmac_f64_e32 v[18:19], v[18:19], v[20:21]
	v_fma_f64 v[20:21], -v[16:17], v[18:19], 1.0
	s_delay_alu instid0(VALU_DEP_1) | instskip(NEXT) | instid1(VALU_DEP_1)
	v_fmac_f64_e32 v[18:19], v[18:19], v[20:21]
	v_mul_f64_e32 v[20:21], v[22:23], v[18:19]
	s_delay_alu instid0(VALU_DEP_1) | instskip(NEXT) | instid1(VALU_DEP_1)
	v_fma_f64 v[16:17], -v[16:17], v[20:21], v[22:23]
	v_div_fmas_f64 v[16:17], v[16:17], v[18:19], v[20:21]
	v_fma_f64 v[18:19], 0, v[6:7], v[8:9]
	v_fma_f64 v[6:7], v[8:9], 0, -v[6:7]
	s_delay_alu instid0(VALU_DEP_3) | instskip(NEXT) | instid1(VALU_DEP_1)
	v_div_fixup_f64 v[14:15], v[16:17], v[14:15], 1.0
	v_mul_f64_e32 v[16:17], v[18:19], v[14:15]
	s_delay_alu instid0(VALU_DEP_3)
	v_mul_f64_e32 v[14:15], v[6:7], v[14:15]
.LBB42_41:                              ;   in Loop: Header=BB42_11 Depth=1
	s_delay_alu instid0(VALU_DEP_2) | instskip(NEXT) | instid1(VALU_DEP_2)
	v_mov_b64_e32 v[20:21], v[16:17]
	v_mov_b64_e32 v[18:19], v[14:15]
	;; [unrolled: 1-line block ×4, first 2 shown]
	s_mov_b32 s28, 2
	s_mov_b32 s0, -1
	s_cmp_gt_i32 s28, 3
	s_mov_b32 s1, -1
	s_cbranch_scc1 .LBB42_20
.LBB42_42:                              ;   in Loop: Header=BB42_11 Depth=1
	s_cmp_eq_u32 s28, 0
	s_cselect_b32 s1, -1, 0
	s_delay_alu instid0(SALU_CYCLE_1)
	s_and_not1_b32 vcc_lo, exec_lo, s1
	s_cbranch_vccnz .LBB42_21
.LBB42_43:                              ;   in Loop: Header=BB42_11 Depth=1
	s_add_co_i32 s27, s27, 1
	s_delay_alu instid0(SALU_CYCLE_1) | instskip(SKIP_1) | instid1(VALU_DEP_1)
	s_cmp_ge_i32 s27, s24
	s_cselect_b32 s0, -1, 0
	v_mov_b64_e32 v[4:5], v[24:25]
	s_delay_alu instid0(VALU_DEP_2)
	v_mov_b64_e32 v[2:3], v[22:23]
	s_and_not1_b32 vcc_lo, exec_lo, s0
	s_cbranch_vccz .LBB42_54
.LBB42_44:                              ;   in Loop: Header=BB42_11 Depth=1
	s_delay_alu instid0(VALU_DEP_4) | instskip(NEXT) | instid1(VALU_DEP_4)
	v_mov_b64_e32 v[14:15], v[18:19]
	v_mov_b64_e32 v[16:17], v[20:21]
	s_sub_co_i32 s0, s27, s17
	s_delay_alu instid0(SALU_CYCLE_1) | instskip(NEXT) | instid1(SALU_CYCLE_1)
	s_and_b32 s1, s0, 0x3ff
	s_cmp_lg_u32 s1, 0
	s_cbranch_scc1 .LBB42_11
	s_branch .LBB42_8
.LBB42_45:                              ;   in Loop: Header=BB42_11 Depth=1
	s_ashr_i32 s1, s0, 31
	s_mov_b32 s28, 0
	s_lshl_b64 s[0:1], s[0:1], 2
	s_delay_alu instid0(SALU_CYCLE_1)
	s_add_nc_u64 s[0:1], s[18:19], s[0:1]
	s_branch .LBB42_47
.LBB42_46:                              ;   in Loop: Header=BB42_47 Depth=2
	global_load_b32 v18, v27, s[0:1] scope:SCOPE_DEV
	s_cmp_lt_u32 s28, 0xf43
	s_cselect_b32 s29, -1, 0
	s_delay_alu instid0(SALU_CYCLE_1)
	s_cmp_lg_u32 s29, 0
	s_add_co_ci_u32 s28, s28, 0
	s_wait_loadcnt 0x0
	v_cmp_ne_u32_e32 vcc_lo, 0, v18
	s_cbranch_vccnz .LBB42_36
.LBB42_47:                              ;   Parent Loop BB42_11 Depth=1
                                        ; =>  This Loop Header: Depth=2
                                        ;       Child Loop BB42_48 Depth 3
	s_cmp_eq_u32 s28, 0
	s_mov_b32 s29, s28
	s_cbranch_scc1 .LBB42_46
.LBB42_48:                              ;   Parent Loop BB42_11 Depth=1
                                        ;     Parent Loop BB42_47 Depth=2
                                        ; =>    This Inner Loop Header: Depth=3
	s_add_co_i32 s29, s29, -1
	s_sleep 1
	s_cmp_eq_u32 s29, 0
	s_cbranch_scc0 .LBB42_48
	s_branch .LBB42_46
.LBB42_49:
                                        ; implicit-def: $vgpr4_vgpr5
	s_load_b64 s[18:19], s[0:1], 0x48
.LBB42_50:
	v_mov_b64_e32 v[4:5], 0
	v_mov_b64_e32 v[2:3], 0
	s_and_saveexec_b32 s3, s2
	s_cbranch_execz .LBB42_52
; %bb.51:
	v_lshl_add_u64 v[2:3], v[10:11], 4, s[8:9]
	global_load_b128 v[14:17], v[2:3], off
	s_wait_loadcnt_dscnt 0x0
	v_mul_f64_e32 v[2:3], v[8:9], v[16:17]
	v_mul_f64_e64 v[4:5], v[6:7], -v[16:17]
	s_delay_alu instid0(VALU_DEP_2) | instskip(NEXT) | instid1(VALU_DEP_2)
	v_fmac_f64_e32 v[2:3], v[6:7], v[14:15]
	v_fmac_f64_e32 v[4:5], v[8:9], v[14:15]
.LBB42_52:
	s_or_b32 exec_lo, exec_lo, s3
	v_cmp_eq_u32_e64 s3, 0, v0
	s_wait_kmcnt 0x0
	s_cmp_ge_i32 s22, s23
	s_cbranch_scc0 .LBB42_7
.LBB42_53:
	v_mov_b64_e32 v[20:21], 1.0
	v_mov_b64_e32 v[18:19], 0
.LBB42_54:
	s_cmp_lg_u32 s6, 0
	s_cbranch_scc0 .LBB42_60
; %bb.55:
	s_and_saveexec_b32 s0, s2
	s_cbranch_execz .LBB42_57
.LBB42_56:
	s_wait_loadcnt_dscnt 0x0
	v_lshl_add_u64 v[6:7], v[10:11], 4, s[8:9]
	global_store_b128 v[6:7], v[2:5], off
.LBB42_57:
	s_wait_xcnt 0x0
	s_or_b32 exec_lo, exec_lo, s0
	global_wb scope:SCOPE_DEV
	s_wait_storecnt 0x0
	s_wait_loadcnt_dscnt 0x0
	global_inv scope:SCOPE_DEV
	s_wait_loadcnt 0x0
	s_barrier_signal -1
	s_barrier_wait -1
	s_mov_b32 s0, exec_lo
	v_cmpx_eq_u32_e32 0, v0
	s_cbranch_execz .LBB42_59
; %bb.58:
	s_add_co_i32 s0, s16, s7
	s_delay_alu instid0(SALU_CYCLE_1)
	v_dual_mov_b32 v0, 1 :: v_dual_mov_b32 v1, s0
	global_store_b32 v1, v0, s[18:19] scale_offset scope:SCOPE_DEV
.LBB42_59:
	s_endpgm
.LBB42_60:
	s_wait_loadcnt_dscnt 0x0
	s_delay_alu instid0(VALU_DEP_1) | instskip(SKIP_1) | instid1(VALU_DEP_2)
	v_mul_f64_e64 v[6:7], v[18:19], -v[4:5]
	v_mul_f64_e32 v[8:9], v[18:19], v[2:3]
	v_fmac_f64_e32 v[6:7], v[2:3], v[20:21]
	s_delay_alu instid0(VALU_DEP_2) | instskip(NEXT) | instid1(VALU_DEP_2)
	v_fmac_f64_e32 v[8:9], v[4:5], v[20:21]
	v_mov_b64_e32 v[2:3], v[6:7]
	s_delay_alu instid0(VALU_DEP_2)
	v_mov_b64_e32 v[4:5], v[8:9]
	s_and_saveexec_b32 s0, s2
	s_cbranch_execnz .LBB42_56
	s_branch .LBB42_57
	.section	.rodata,"a",@progbits
	.p2align	6, 0x0
	.amdhsa_kernel _ZN9rocsparseL5csrsmILj1024ELj64ELb1Eii21rocsparse_complex_numIdEEEv20rocsparse_operation_T3_S4_NS_24const_host_device_scalarIT4_EEPKT2_PKS4_PKS6_PS6_lPiSC_PS4_21rocsparse_index_base_20rocsparse_fill_mode_20rocsparse_diag_type_b
		.amdhsa_group_segment_fixed_size 20480
		.amdhsa_private_segment_fixed_size 16
		.amdhsa_kernarg_size 112
		.amdhsa_user_sgpr_count 2
		.amdhsa_user_sgpr_dispatch_ptr 0
		.amdhsa_user_sgpr_queue_ptr 0
		.amdhsa_user_sgpr_kernarg_segment_ptr 1
		.amdhsa_user_sgpr_dispatch_id 0
		.amdhsa_user_sgpr_kernarg_preload_length 0
		.amdhsa_user_sgpr_kernarg_preload_offset 0
		.amdhsa_user_sgpr_private_segment_size 0
		.amdhsa_wavefront_size32 1
		.amdhsa_uses_dynamic_stack 0
		.amdhsa_enable_private_segment 1
		.amdhsa_system_sgpr_workgroup_id_x 1
		.amdhsa_system_sgpr_workgroup_id_y 0
		.amdhsa_system_sgpr_workgroup_id_z 0
		.amdhsa_system_sgpr_workgroup_info 0
		.amdhsa_system_vgpr_workitem_id 0
		.amdhsa_next_free_vgpr 30
		.amdhsa_next_free_sgpr 30
		.amdhsa_named_barrier_count 0
		.amdhsa_reserve_vcc 1
		.amdhsa_float_round_mode_32 0
		.amdhsa_float_round_mode_16_64 0
		.amdhsa_float_denorm_mode_32 3
		.amdhsa_float_denorm_mode_16_64 3
		.amdhsa_fp16_overflow 0
		.amdhsa_memory_ordered 1
		.amdhsa_forward_progress 1
		.amdhsa_inst_pref_size 18
		.amdhsa_round_robin_scheduling 0
		.amdhsa_exception_fp_ieee_invalid_op 0
		.amdhsa_exception_fp_denorm_src 0
		.amdhsa_exception_fp_ieee_div_zero 0
		.amdhsa_exception_fp_ieee_overflow 0
		.amdhsa_exception_fp_ieee_underflow 0
		.amdhsa_exception_fp_ieee_inexact 0
		.amdhsa_exception_int_div_zero 0
	.end_amdhsa_kernel
	.section	.text._ZN9rocsparseL5csrsmILj1024ELj64ELb1Eii21rocsparse_complex_numIdEEEv20rocsparse_operation_T3_S4_NS_24const_host_device_scalarIT4_EEPKT2_PKS4_PKS6_PS6_lPiSC_PS4_21rocsparse_index_base_20rocsparse_fill_mode_20rocsparse_diag_type_b,"axG",@progbits,_ZN9rocsparseL5csrsmILj1024ELj64ELb1Eii21rocsparse_complex_numIdEEEv20rocsparse_operation_T3_S4_NS_24const_host_device_scalarIT4_EEPKT2_PKS4_PKS6_PS6_lPiSC_PS4_21rocsparse_index_base_20rocsparse_fill_mode_20rocsparse_diag_type_b,comdat
.Lfunc_end42:
	.size	_ZN9rocsparseL5csrsmILj1024ELj64ELb1Eii21rocsparse_complex_numIdEEEv20rocsparse_operation_T3_S4_NS_24const_host_device_scalarIT4_EEPKT2_PKS4_PKS6_PS6_lPiSC_PS4_21rocsparse_index_base_20rocsparse_fill_mode_20rocsparse_diag_type_b, .Lfunc_end42-_ZN9rocsparseL5csrsmILj1024ELj64ELb1Eii21rocsparse_complex_numIdEEEv20rocsparse_operation_T3_S4_NS_24const_host_device_scalarIT4_EEPKT2_PKS4_PKS6_PS6_lPiSC_PS4_21rocsparse_index_base_20rocsparse_fill_mode_20rocsparse_diag_type_b
                                        ; -- End function
	.set _ZN9rocsparseL5csrsmILj1024ELj64ELb1Eii21rocsparse_complex_numIdEEEv20rocsparse_operation_T3_S4_NS_24const_host_device_scalarIT4_EEPKT2_PKS4_PKS6_PS6_lPiSC_PS4_21rocsparse_index_base_20rocsparse_fill_mode_20rocsparse_diag_type_b.num_vgpr, 30
	.set _ZN9rocsparseL5csrsmILj1024ELj64ELb1Eii21rocsparse_complex_numIdEEEv20rocsparse_operation_T3_S4_NS_24const_host_device_scalarIT4_EEPKT2_PKS4_PKS6_PS6_lPiSC_PS4_21rocsparse_index_base_20rocsparse_fill_mode_20rocsparse_diag_type_b.num_agpr, 0
	.set _ZN9rocsparseL5csrsmILj1024ELj64ELb1Eii21rocsparse_complex_numIdEEEv20rocsparse_operation_T3_S4_NS_24const_host_device_scalarIT4_EEPKT2_PKS4_PKS6_PS6_lPiSC_PS4_21rocsparse_index_base_20rocsparse_fill_mode_20rocsparse_diag_type_b.numbered_sgpr, 30
	.set _ZN9rocsparseL5csrsmILj1024ELj64ELb1Eii21rocsparse_complex_numIdEEEv20rocsparse_operation_T3_S4_NS_24const_host_device_scalarIT4_EEPKT2_PKS4_PKS6_PS6_lPiSC_PS4_21rocsparse_index_base_20rocsparse_fill_mode_20rocsparse_diag_type_b.num_named_barrier, 0
	.set _ZN9rocsparseL5csrsmILj1024ELj64ELb1Eii21rocsparse_complex_numIdEEEv20rocsparse_operation_T3_S4_NS_24const_host_device_scalarIT4_EEPKT2_PKS4_PKS6_PS6_lPiSC_PS4_21rocsparse_index_base_20rocsparse_fill_mode_20rocsparse_diag_type_b.private_seg_size, 16
	.set _ZN9rocsparseL5csrsmILj1024ELj64ELb1Eii21rocsparse_complex_numIdEEEv20rocsparse_operation_T3_S4_NS_24const_host_device_scalarIT4_EEPKT2_PKS4_PKS6_PS6_lPiSC_PS4_21rocsparse_index_base_20rocsparse_fill_mode_20rocsparse_diag_type_b.uses_vcc, 1
	.set _ZN9rocsparseL5csrsmILj1024ELj64ELb1Eii21rocsparse_complex_numIdEEEv20rocsparse_operation_T3_S4_NS_24const_host_device_scalarIT4_EEPKT2_PKS4_PKS6_PS6_lPiSC_PS4_21rocsparse_index_base_20rocsparse_fill_mode_20rocsparse_diag_type_b.uses_flat_scratch, 0
	.set _ZN9rocsparseL5csrsmILj1024ELj64ELb1Eii21rocsparse_complex_numIdEEEv20rocsparse_operation_T3_S4_NS_24const_host_device_scalarIT4_EEPKT2_PKS4_PKS6_PS6_lPiSC_PS4_21rocsparse_index_base_20rocsparse_fill_mode_20rocsparse_diag_type_b.has_dyn_sized_stack, 0
	.set _ZN9rocsparseL5csrsmILj1024ELj64ELb1Eii21rocsparse_complex_numIdEEEv20rocsparse_operation_T3_S4_NS_24const_host_device_scalarIT4_EEPKT2_PKS4_PKS6_PS6_lPiSC_PS4_21rocsparse_index_base_20rocsparse_fill_mode_20rocsparse_diag_type_b.has_recursion, 0
	.set _ZN9rocsparseL5csrsmILj1024ELj64ELb1Eii21rocsparse_complex_numIdEEEv20rocsparse_operation_T3_S4_NS_24const_host_device_scalarIT4_EEPKT2_PKS4_PKS6_PS6_lPiSC_PS4_21rocsparse_index_base_20rocsparse_fill_mode_20rocsparse_diag_type_b.has_indirect_call, 0
	.section	.AMDGPU.csdata,"",@progbits
; Kernel info:
; codeLenInByte = 2200
; TotalNumSgprs: 32
; NumVgprs: 30
; ScratchSize: 16
; MemoryBound: 0
; FloatMode: 240
; IeeeMode: 1
; LDSByteSize: 20480 bytes/workgroup (compile time only)
; SGPRBlocks: 0
; VGPRBlocks: 1
; NumSGPRsForWavesPerEU: 32
; NumVGPRsForWavesPerEU: 30
; NamedBarCnt: 0
; Occupancy: 16
; WaveLimiterHint : 1
; COMPUTE_PGM_RSRC2:SCRATCH_EN: 1
; COMPUTE_PGM_RSRC2:USER_SGPR: 2
; COMPUTE_PGM_RSRC2:TRAP_HANDLER: 0
; COMPUTE_PGM_RSRC2:TGID_X_EN: 1
; COMPUTE_PGM_RSRC2:TGID_Y_EN: 0
; COMPUTE_PGM_RSRC2:TGID_Z_EN: 0
; COMPUTE_PGM_RSRC2:TIDIG_COMP_CNT: 0
	.section	.text._ZN9rocsparseL5csrsmILj1024ELj64ELb0Eii21rocsparse_complex_numIdEEEv20rocsparse_operation_T3_S4_NS_24const_host_device_scalarIT4_EEPKT2_PKS4_PKS6_PS6_lPiSC_PS4_21rocsparse_index_base_20rocsparse_fill_mode_20rocsparse_diag_type_b,"axG",@progbits,_ZN9rocsparseL5csrsmILj1024ELj64ELb0Eii21rocsparse_complex_numIdEEEv20rocsparse_operation_T3_S4_NS_24const_host_device_scalarIT4_EEPKT2_PKS4_PKS6_PS6_lPiSC_PS4_21rocsparse_index_base_20rocsparse_fill_mode_20rocsparse_diag_type_b,comdat
	.globl	_ZN9rocsparseL5csrsmILj1024ELj64ELb0Eii21rocsparse_complex_numIdEEEv20rocsparse_operation_T3_S4_NS_24const_host_device_scalarIT4_EEPKT2_PKS4_PKS6_PS6_lPiSC_PS4_21rocsparse_index_base_20rocsparse_fill_mode_20rocsparse_diag_type_b ; -- Begin function _ZN9rocsparseL5csrsmILj1024ELj64ELb0Eii21rocsparse_complex_numIdEEEv20rocsparse_operation_T3_S4_NS_24const_host_device_scalarIT4_EEPKT2_PKS4_PKS6_PS6_lPiSC_PS4_21rocsparse_index_base_20rocsparse_fill_mode_20rocsparse_diag_type_b
	.p2align	8
	.type	_ZN9rocsparseL5csrsmILj1024ELj64ELb0Eii21rocsparse_complex_numIdEEEv20rocsparse_operation_T3_S4_NS_24const_host_device_scalarIT4_EEPKT2_PKS4_PKS6_PS6_lPiSC_PS4_21rocsparse_index_base_20rocsparse_fill_mode_20rocsparse_diag_type_b,@function
_ZN9rocsparseL5csrsmILj1024ELj64ELb0Eii21rocsparse_complex_numIdEEEv20rocsparse_operation_T3_S4_NS_24const_host_device_scalarIT4_EEPKT2_PKS4_PKS6_PS6_lPiSC_PS4_21rocsparse_index_base_20rocsparse_fill_mode_20rocsparse_diag_type_b: ; @_ZN9rocsparseL5csrsmILj1024ELj64ELb0Eii21rocsparse_complex_numIdEEEv20rocsparse_operation_T3_S4_NS_24const_host_device_scalarIT4_EEPKT2_PKS4_PKS6_PS6_lPiSC_PS4_21rocsparse_index_base_20rocsparse_fill_mode_20rocsparse_diag_type_b
; %bb.0:
	s_clause 0x1
	s_load_b128 s[4:7], s[0:1], 0x60
	s_load_b128 s[8:11], s[0:1], 0x10
	v_mbcnt_lo_u32_b32 v1, -1, 0
	s_clause 0x1
	s_load_b64 s[2:3], s[0:1], 0x20
	s_load_b64 s[16:17], s[0:1], 0x50
	s_delay_alu instid0(VALU_DEP_1) | instskip(NEXT) | instid1(VALU_DEP_1)
	v_dual_mov_b32 v2, 0 :: v_dual_lshlrev_b32 v3, 20, v1
	v_add_nc_u64_e32 v[2:3], src_flat_scratch_base_lo, v[2:3]
	s_wait_kmcnt 0x0
	s_bitcmp1_b32 s7, 0
	v_mov_b64_e32 v[4:5], s[8:9]
	s_cselect_b32 vcc_lo, -1, 0
	v_mov_b64_e32 v[8:9], s[10:11]
	s_delay_alu instid0(VALU_DEP_3)
	v_cndmask_b32_e32 v3, s9, v3, vcc_lo
	v_cndmask_b32_e32 v2, s8, v2, vcc_lo
	s_and_b32 vcc_lo, exec_lo, vcc_lo
	scratch_store_b64 off, v[4:5], off
	flat_load_b64 v[6:7], v[2:3]
	s_cbranch_vccnz .LBB43_2
; %bb.1:
	v_mov_b32_e32 v1, 0
	flat_load_b64 v[8:9], v1, s[8:9] offset:8
.LBB43_2:
	s_load_b96 s[12:14], s[0:1], 0x0
	s_bfe_u32 s9, ttmp6, 0x4000c
	s_and_b32 s8, ttmp6, 15
	s_add_co_i32 s9, s9, 1
	s_getreg_b32 s10, hwreg(HW_REG_IB_STS2, 6, 4)
	s_mul_i32 s9, ttmp9, s9
	s_delay_alu instid0(SALU_CYCLE_1) | instskip(SKIP_3) | instid1(SALU_CYCLE_2)
	s_add_co_i32 s8, s8, s9
	s_wait_kmcnt 0x0
	s_cvt_f32_u32 s7, s13
	s_sub_co_i32 s11, 0, s13
	v_rcp_iflag_f32_e32 v1, s7
	v_nop
	s_delay_alu instid0(TRANS32_DEP_1) | instskip(SKIP_1) | instid1(SALU_CYCLE_3)
	v_readfirstlane_b32 s7, v1
	s_mul_f32 s7, s7, 0x4f7ffffe
	s_cvt_u32_f32 s7, s7
	s_delay_alu instid0(SALU_CYCLE_3) | instskip(NEXT) | instid1(SALU_CYCLE_1)
	s_mul_i32 s11, s11, s7
	s_mul_hi_u32 s11, s7, s11
	s_delay_alu instid0(SALU_CYCLE_1) | instskip(SKIP_2) | instid1(SALU_CYCLE_1)
	s_add_co_i32 s7, s7, s11
	s_cmp_eq_u32 s10, 0
	s_cselect_b32 s8, ttmp9, s8
	s_mul_hi_u32 s7, s8, s7
	s_delay_alu instid0(SALU_CYCLE_1) | instskip(SKIP_2) | instid1(SALU_CYCLE_1)
	s_mul_i32 s9, s7, s13
	s_add_co_i32 s10, s7, 1
	s_sub_co_i32 s9, s8, s9
	s_sub_co_i32 s11, s9, s13
	s_cmp_ge_u32 s9, s13
	s_cselect_b32 s7, s10, s7
	s_cselect_b32 s9, s11, s9
	s_add_co_i32 s10, s7, 1
	s_cmp_ge_u32 s9, s13
	s_cselect_b32 s15, s10, s7
	s_delay_alu instid0(SALU_CYCLE_1) | instskip(SKIP_2) | instid1(SALU_CYCLE_1)
	s_mul_i32 s7, s15, s13
	v_lshl_or_b32 v12, s15, 10, v0
	s_sub_co_i32 s8, s8, s7
	s_ashr_i32 s9, s8, 31
	s_delay_alu instid0(VALU_DEP_1) | instskip(SKIP_1) | instid1(SALU_CYCLE_1)
	v_ashrrev_i32_e32 v13, 31, v12
	s_lshl_b64 s[8:9], s[8:9], 2
	s_add_nc_u64 s[18:19], s[16:17], s[8:9]
	s_load_b32 s16, s[18:19], 0x0
	s_load_b128 s[8:11], s[0:1], 0x38
	s_wait_kmcnt 0x0
	s_ashr_i32 s17, s16, 31
	v_mad_nc_u64_u32 v[10:11], s10, s16, v[12:13]
	s_lshl_b64 s[18:19], s[16:17], 2
	s_cmp_lg_u32 s12, 0x71
	s_add_nc_u64 s[2:3], s[2:3], s[18:19]
	s_load_b64 s[22:23], s[2:3], 0x0
	s_wait_xcnt 0x0
	s_mul_i32 s2, s10, s17
	s_mul_i32 s3, s11, s16
	s_delay_alu instid0(VALU_DEP_1) | instid1(SALU_CYCLE_1)
	v_add3_u32 v11, s2, s3, v11
	v_cmp_gt_i32_e64 s2, s14, v12
	s_cbranch_scc0 .LBB43_47
; %bb.3:
	v_mov_b64_e32 v[4:5], 0
	v_mov_b64_e32 v[2:3], 0
	s_and_saveexec_b32 s3, s2
	s_cbranch_execz .LBB43_5
; %bb.4:
	v_lshl_add_u64 v[2:3], v[10:11], 4, s[8:9]
	global_load_b128 v[14:17], v[2:3], off
	s_wait_loadcnt_dscnt 0x0
	v_mul_f64_e64 v[2:3], v[16:17], -v[8:9]
	v_mul_f64_e32 v[4:5], v[6:7], v[16:17]
	s_delay_alu instid0(VALU_DEP_2) | instskip(NEXT) | instid1(VALU_DEP_2)
	v_fmac_f64_e32 v[2:3], v[6:7], v[14:15]
	v_fmac_f64_e32 v[4:5], v[8:9], v[14:15]
.LBB43_5:
	s_or_b32 exec_lo, exec_lo, s3
	s_load_b64 s[18:19], s[0:1], 0x48
	s_cbranch_execz .LBB43_48
; %bb.6:
	v_cmp_eq_u32_e64 s3, 0, v0
	s_wait_kmcnt 0x0
	s_cmp_ge_i32 s22, s23
	s_cbranch_scc1 .LBB43_51
.LBB43_7:
	s_clause 0x1
	s_load_b64 s[20:21], s[0:1], 0x58
	s_load_b128 s[12:15], s[0:1], 0x28
	v_mov_b64_e32 v[16:17], 1.0
	v_mov_b64_e32 v[14:15], 0
	v_lshl_add_u64 v[12:13], v[12:13], 4, s[8:9]
	s_sub_co_i32 s17, s22, s4
	s_sub_co_i32 s24, s23, s4
	v_lshl_or_b32 v1, v0, 2, 0x4000
	v_dual_mov_b32 v27, 0 :: v_dual_lshlrev_b32 v26, 4, v0
	s_cmp_eq_u32 s6, 0
	s_mov_b32 s27, s17
	s_cselect_b32 s25, -1, 0
	s_add_co_i32 s26, s16, s4
	s_wait_xcnt 0x0
	s_sub_co_i32 s0, s27, s17
	s_delay_alu instid0(SALU_CYCLE_1) | instskip(NEXT) | instid1(SALU_CYCLE_1)
	s_and_b32 s1, s0, 0x3ff
	s_cmp_lg_u32 s1, 0
	s_cbranch_scc1 .LBB43_11
.LBB43_8:
	s_sub_co_i32 s0, s24, s27
	s_wait_loadcnt_dscnt 0x0
	v_mov_b64_e32 v[6:7], -1.0
	v_mov_b64_e32 v[8:9], 0
	v_cmp_gt_u32_e32 vcc_lo, s0, v0
	v_mov_b32_e32 v18, -1
	s_and_saveexec_b32 s0, vcc_lo
	s_cbranch_execz .LBB43_10
; %bb.9:
	v_add_nc_u32_e32 v18, s27, v0
	s_wait_kmcnt 0x0
	s_clause 0x1
	global_load_b32 v19, v18, s[12:13] scale_offset
	global_load_b128 v[6:9], v18, s[14:15] scale_offset
	s_wait_loadcnt 0x1
	s_wait_xcnt 0x0
	v_subrev_nc_u32_e32 v18, s4, v19
.LBB43_10:
	s_or_b32 exec_lo, exec_lo, s0
	ds_store_b32 v1, v18
	s_wait_loadcnt 0x0
	ds_store_b128 v26, v[6:9]
.LBB43_11:                              ; =>This Loop Header: Depth=1
                                        ;     Child Loop BB43_37 Depth 2
	s_lshl_b32 s0, s1, 4
	s_wait_storecnt 0x0
	s_wait_loadcnt_dscnt 0x0
	v_mov_b32_e32 v6, s0
	s_barrier_signal -1
	s_barrier_wait -1
	s_lshl_b32 s1, s1, 2
	ds_load_b128 v[18:21], v6
	v_mov_b32_e32 v6, s1
	ds_load_b32 v6, v6 offset:16384
	s_wait_dscnt 0x1
	v_cmp_eq_f64_e32 vcc_lo, 0, v[18:19]
	v_cmp_eq_f64_e64 s0, 0, v[20:21]
	s_wait_dscnt 0x0
	v_readfirstlane_b32 s22, v6
	s_and_b32 s0, vcc_lo, s0
	s_cmp_eq_u32 s22, s16
	s_cselect_b32 s28, -1, 0
	s_cmp_lg_u32 s22, s16
	s_cselect_b32 s1, -1, 0
	s_and_b32 s0, s0, s28
	s_delay_alu instid0(SALU_CYCLE_1) | instskip(NEXT) | instid1(SALU_CYCLE_1)
	s_and_b32 s0, s25, s0
	v_cndmask_b32_e64 v7, v21, 0, s0
	v_cndmask_b32_e64 v6, v20, 0, s0
	;; [unrolled: 1-line block ×4, first 2 shown]
	s_and_b32 s23, s3, s0
	s_delay_alu instid0(SALU_CYCLE_1)
	s_and_saveexec_b32 s0, s23
	s_cbranch_execz .LBB43_15
; %bb.12:                               ;   in Loop: Header=BB43_11 Depth=1
	v_mbcnt_lo_u32_b32 v6, exec_lo, 0
	s_mov_b32 s23, exec_lo
	s_delay_alu instid0(VALU_DEP_1)
	v_cmpx_eq_u32_e32 0, v6
	s_cbranch_execz .LBB43_14
; %bb.13:                               ;   in Loop: Header=BB43_11 Depth=1
	v_mov_b32_e32 v6, s26
	s_wait_kmcnt 0x0
	global_atomic_min_i32 v27, v6, s[20:21] scope:SCOPE_DEV
.LBB43_14:                              ;   in Loop: Header=BB43_11 Depth=1
	s_wait_xcnt 0x0
	s_or_b32 exec_lo, exec_lo, s23
	v_mov_b64_e32 v[8:9], 1.0
	v_mov_b64_e32 v[6:7], 0
.LBB43_15:                              ;   in Loop: Header=BB43_11 Depth=1
	s_or_b32 exec_lo, exec_lo, s0
	s_mov_b32 s29, -1
	s_mov_b32 s0, 0
	s_cmp_lt_i32 s5, 1
	s_mov_b32 s23, 0
                                        ; implicit-def: $vgpr18_vgpr19
                                        ; implicit-def: $vgpr20_vgpr21
	s_cbranch_scc0 .LBB43_22
; %bb.16:                               ;   in Loop: Header=BB43_11 Depth=1
	s_and_b32 vcc_lo, exec_lo, s29
	s_mov_b32 s28, 4
	s_cbranch_vccnz .LBB43_29
.LBB43_17:                              ;   in Loop: Header=BB43_11 Depth=1
	v_mov_b64_e32 v[24:25], v[4:5]
	v_mov_b64_e32 v[22:23], v[2:3]
	s_and_b32 vcc_lo, exec_lo, s23
	s_cbranch_vccnz .LBB43_34
.LBB43_18:                              ;   in Loop: Header=BB43_11 Depth=1
	s_and_b32 vcc_lo, exec_lo, s0
	s_cbranch_vccnz .LBB43_41
.LBB43_19:                              ;   in Loop: Header=BB43_11 Depth=1
	s_mov_b32 s0, -1
	s_cmp_gt_i32 s28, 3
	s_mov_b32 s1, -1
	s_cbranch_scc0 .LBB43_44
.LBB43_20:                              ;   in Loop: Header=BB43_11 Depth=1
	s_and_not1_b32 vcc_lo, exec_lo, s1
	s_cbranch_vccz .LBB43_45
.LBB43_21:                              ;   in Loop: Header=BB43_11 Depth=1
	s_delay_alu instid0(VALU_DEP_1) | instskip(NEXT) | instid1(VALU_DEP_2)
	v_mov_b64_e32 v[4:5], v[24:25]
	v_mov_b64_e32 v[2:3], v[22:23]
	s_and_not1_b32 vcc_lo, exec_lo, s0
	s_cbranch_vccnz .LBB43_46
	s_branch .LBB43_52
.LBB43_22:                              ;   in Loop: Header=BB43_11 Depth=1
	s_cmp_eq_u32 s5, 1
	s_mov_b32 s23, -1
                                        ; implicit-def: $vgpr18_vgpr19
                                        ; implicit-def: $vgpr20_vgpr21
	s_cbranch_scc0 .LBB43_28
; %bb.23:                               ;   in Loop: Header=BB43_11 Depth=1
	v_mov_b64_e32 v[18:19], v[14:15]
	v_mov_b64_e32 v[20:21], v[16:17]
	s_cmp_ge_i32 s22, s16
	s_mov_b32 s23, 0
	s_cbranch_scc0 .LBB43_28
; %bb.24:                               ;   in Loop: Header=BB43_11 Depth=1
	s_and_b32 vcc_lo, exec_lo, s28
	s_mov_b32 s23, -1
                                        ; implicit-def: $vgpr18_vgpr19
                                        ; implicit-def: $vgpr20_vgpr21
	s_cbranch_vccz .LBB43_28
; %bb.25:                               ;   in Loop: Header=BB43_11 Depth=1
	v_mov_b64_e32 v[18:19], v[14:15]
	v_mov_b64_e32 v[20:21], v[16:17]
	s_and_not1_b32 vcc_lo, exec_lo, s25
	s_cbranch_vccnz .LBB43_27
; %bb.26:                               ;   in Loop: Header=BB43_11 Depth=1
	v_mul_f64_e32 v[18:19], v[6:7], v[6:7]
	s_delay_alu instid0(VALU_DEP_1) | instskip(NEXT) | instid1(VALU_DEP_1)
	v_fmac_f64_e32 v[18:19], v[8:9], v[8:9]
	v_div_scale_f64 v[20:21], null, v[18:19], v[18:19], 1.0
	v_div_scale_f64 v[28:29], vcc_lo, 1.0, v[18:19], 1.0
	s_delay_alu instid0(VALU_DEP_2) | instskip(SKIP_1) | instid1(TRANS32_DEP_1)
	v_rcp_f64_e32 v[22:23], v[20:21]
	v_nop
	v_fma_f64 v[24:25], -v[20:21], v[22:23], 1.0
	s_delay_alu instid0(VALU_DEP_1) | instskip(NEXT) | instid1(VALU_DEP_1)
	v_fmac_f64_e32 v[22:23], v[22:23], v[24:25]
	v_fma_f64 v[24:25], -v[20:21], v[22:23], 1.0
	s_delay_alu instid0(VALU_DEP_1) | instskip(NEXT) | instid1(VALU_DEP_1)
	v_fmac_f64_e32 v[22:23], v[22:23], v[24:25]
	v_mul_f64_e32 v[24:25], v[28:29], v[22:23]
	s_delay_alu instid0(VALU_DEP_1) | instskip(NEXT) | instid1(VALU_DEP_1)
	v_fma_f64 v[20:21], -v[20:21], v[24:25], v[28:29]
	v_div_fmas_f64 v[20:21], v[20:21], v[22:23], v[24:25]
	v_fma_f64 v[22:23], 0, v[6:7], v[8:9]
	v_fma_f64 v[24:25], v[8:9], 0, -v[6:7]
	s_delay_alu instid0(VALU_DEP_3) | instskip(NEXT) | instid1(VALU_DEP_1)
	v_div_fixup_f64 v[18:19], v[20:21], v[18:19], 1.0
	v_mul_f64_e32 v[20:21], v[22:23], v[18:19]
	s_delay_alu instid0(VALU_DEP_3)
	v_mul_f64_e32 v[18:19], v[24:25], v[18:19]
.LBB43_27:                              ;   in Loop: Header=BB43_11 Depth=1
	s_mov_b32 s23, 0
.LBB43_28:                              ;   in Loop: Header=BB43_11 Depth=1
	s_mov_b32 s28, 4
	s_branch .LBB43_17
.LBB43_29:                              ;   in Loop: Header=BB43_11 Depth=1
	s_cmp_eq_u32 s5, 0
	s_cbranch_scc1 .LBB43_31
; %bb.30:                               ;   in Loop: Header=BB43_11 Depth=1
	s_mov_b32 s23, -1
	s_branch .LBB43_33
.LBB43_31:                              ;   in Loop: Header=BB43_11 Depth=1
	s_cmp_le_i32 s22, s16
	s_mov_b32 s23, 0
	s_cbranch_scc0 .LBB43_33
; %bb.32:                               ;   in Loop: Header=BB43_11 Depth=1
	s_mov_b32 s0, -1
	s_mov_b32 s23, s1
.LBB43_33:                              ;   in Loop: Header=BB43_11 Depth=1
	v_mov_b64_e32 v[18:19], v[14:15]
	v_mov_b64_e32 v[20:21], v[16:17]
	s_mov_b32 s28, 2
	v_mov_b64_e32 v[24:25], v[4:5]
	v_mov_b64_e32 v[22:23], v[2:3]
	s_and_b32 vcc_lo, exec_lo, s23
	s_cbranch_vccz .LBB43_18
.LBB43_34:                              ;   in Loop: Header=BB43_11 Depth=1
	s_and_saveexec_b32 s23, s3
	s_cbranch_execz .LBB43_38
; %bb.35:                               ;   in Loop: Header=BB43_11 Depth=1
	s_add_co_i32 s0, s22, s7
	s_delay_alu instid0(SALU_CYCLE_1)
	v_mov_b32_e32 v18, s0
	global_load_b32 v18, v18, s[18:19] scale_offset scope:SCOPE_DEV
	s_wait_loadcnt 0x0
	v_cmp_ne_u32_e32 vcc_lo, 0, v18
	s_cbranch_vccnz .LBB43_38
; %bb.36:                               ;   in Loop: Header=BB43_11 Depth=1
	s_ashr_i32 s1, s0, 31
	s_delay_alu instid0(SALU_CYCLE_1) | instskip(NEXT) | instid1(SALU_CYCLE_1)
	s_lshl_b64 s[0:1], s[0:1], 2
	s_add_nc_u64 s[0:1], s[18:19], s[0:1]
.LBB43_37:                              ;   Parent Loop BB43_11 Depth=1
                                        ; =>  This Inner Loop Header: Depth=2
	global_load_b32 v18, v27, s[0:1] scope:SCOPE_DEV
	s_wait_loadcnt 0x0
	v_cmp_eq_u32_e32 vcc_lo, 0, v18
	s_cbranch_vccnz .LBB43_37
.LBB43_38:                              ;   in Loop: Header=BB43_11 Depth=1
	s_wait_xcnt 0x0
	s_or_b32 exec_lo, exec_lo, s23
	v_mov_b64_e32 v[24:25], 0
	v_mov_b64_e32 v[22:23], 0
	s_wait_storecnt 0x0
	s_barrier_signal -1
	s_barrier_wait -1
	global_inv scope:SCOPE_DEV
	s_and_saveexec_b32 s0, s2
	s_cbranch_execz .LBB43_40
; %bb.39:                               ;   in Loop: Header=BB43_11 Depth=1
	s_ashr_i32 s23, s22, 31
	s_delay_alu instid0(SALU_CYCLE_1) | instskip(NEXT) | instid1(SALU_CYCLE_1)
	s_mul_u64 s[22:23], s[10:11], s[22:23]
	v_lshl_add_u64 v[18:19], s[22:23], 4, v[12:13]
	global_load_b128 v[18:21], v[18:19], off
	s_wait_loadcnt 0x0
	v_fma_f64 v[22:23], -v[8:9], v[18:19], v[2:3]
	v_fma_f64 v[18:19], -v[6:7], v[18:19], v[4:5]
	s_delay_alu instid0(VALU_DEP_2) | instskip(NEXT) | instid1(VALU_DEP_2)
	v_fmac_f64_e32 v[22:23], v[6:7], v[20:21]
	v_fma_f64 v[24:25], -v[8:9], v[20:21], v[18:19]
.LBB43_40:                              ;   in Loop: Header=BB43_11 Depth=1
	s_or_b32 exec_lo, exec_lo, s0
	v_mov_b64_e32 v[18:19], v[14:15]
	v_mov_b64_e32 v[20:21], v[16:17]
	s_mov_b32 s28, 0
	s_branch .LBB43_19
.LBB43_41:                              ;   in Loop: Header=BB43_11 Depth=1
	s_and_not1_b32 vcc_lo, exec_lo, s25
	s_cbranch_vccnz .LBB43_43
; %bb.42:                               ;   in Loop: Header=BB43_11 Depth=1
	v_mul_f64_e32 v[14:15], v[6:7], v[6:7]
	s_delay_alu instid0(VALU_DEP_1) | instskip(NEXT) | instid1(VALU_DEP_1)
	v_fmac_f64_e32 v[14:15], v[8:9], v[8:9]
	v_div_scale_f64 v[16:17], null, v[14:15], v[14:15], 1.0
	v_div_scale_f64 v[22:23], vcc_lo, 1.0, v[14:15], 1.0
	s_delay_alu instid0(VALU_DEP_2) | instskip(SKIP_1) | instid1(TRANS32_DEP_1)
	v_rcp_f64_e32 v[18:19], v[16:17]
	v_nop
	v_fma_f64 v[20:21], -v[16:17], v[18:19], 1.0
	s_delay_alu instid0(VALU_DEP_1) | instskip(NEXT) | instid1(VALU_DEP_1)
	v_fmac_f64_e32 v[18:19], v[18:19], v[20:21]
	v_fma_f64 v[20:21], -v[16:17], v[18:19], 1.0
	s_delay_alu instid0(VALU_DEP_1) | instskip(NEXT) | instid1(VALU_DEP_1)
	v_fmac_f64_e32 v[18:19], v[18:19], v[20:21]
	v_mul_f64_e32 v[20:21], v[22:23], v[18:19]
	s_delay_alu instid0(VALU_DEP_1) | instskip(NEXT) | instid1(VALU_DEP_1)
	v_fma_f64 v[16:17], -v[16:17], v[20:21], v[22:23]
	v_div_fmas_f64 v[16:17], v[16:17], v[18:19], v[20:21]
	v_fma_f64 v[18:19], 0, v[6:7], v[8:9]
	v_fma_f64 v[6:7], v[8:9], 0, -v[6:7]
	s_delay_alu instid0(VALU_DEP_3) | instskip(NEXT) | instid1(VALU_DEP_1)
	v_div_fixup_f64 v[14:15], v[16:17], v[14:15], 1.0
	v_mul_f64_e32 v[16:17], v[18:19], v[14:15]
	s_delay_alu instid0(VALU_DEP_3)
	v_mul_f64_e32 v[14:15], v[6:7], v[14:15]
.LBB43_43:                              ;   in Loop: Header=BB43_11 Depth=1
	s_delay_alu instid0(VALU_DEP_2) | instskip(NEXT) | instid1(VALU_DEP_2)
	v_mov_b64_e32 v[20:21], v[16:17]
	v_mov_b64_e32 v[18:19], v[14:15]
	;; [unrolled: 1-line block ×4, first 2 shown]
	s_mov_b32 s28, 2
	s_mov_b32 s0, -1
	s_cmp_gt_i32 s28, 3
	s_mov_b32 s1, -1
	s_cbranch_scc1 .LBB43_20
.LBB43_44:                              ;   in Loop: Header=BB43_11 Depth=1
	s_cmp_eq_u32 s28, 0
	s_cselect_b32 s1, -1, 0
	s_delay_alu instid0(SALU_CYCLE_1)
	s_and_not1_b32 vcc_lo, exec_lo, s1
	s_cbranch_vccnz .LBB43_21
.LBB43_45:                              ;   in Loop: Header=BB43_11 Depth=1
	s_add_co_i32 s27, s27, 1
	s_delay_alu instid0(SALU_CYCLE_1) | instskip(SKIP_1) | instid1(VALU_DEP_1)
	s_cmp_ge_i32 s27, s24
	s_cselect_b32 s0, -1, 0
	v_mov_b64_e32 v[4:5], v[24:25]
	s_delay_alu instid0(VALU_DEP_2)
	v_mov_b64_e32 v[2:3], v[22:23]
	s_and_not1_b32 vcc_lo, exec_lo, s0
	s_cbranch_vccz .LBB43_52
.LBB43_46:                              ;   in Loop: Header=BB43_11 Depth=1
	s_delay_alu instid0(VALU_DEP_4) | instskip(NEXT) | instid1(VALU_DEP_4)
	v_mov_b64_e32 v[14:15], v[18:19]
	v_mov_b64_e32 v[16:17], v[20:21]
	s_sub_co_i32 s0, s27, s17
	s_delay_alu instid0(SALU_CYCLE_1) | instskip(NEXT) | instid1(SALU_CYCLE_1)
	s_and_b32 s1, s0, 0x3ff
	s_cmp_lg_u32 s1, 0
	s_cbranch_scc1 .LBB43_11
	s_branch .LBB43_8
.LBB43_47:
                                        ; implicit-def: $vgpr4_vgpr5
	s_load_b64 s[18:19], s[0:1], 0x48
.LBB43_48:
	v_mov_b64_e32 v[4:5], 0
	v_mov_b64_e32 v[2:3], 0
	s_and_saveexec_b32 s3, s2
	s_cbranch_execz .LBB43_50
; %bb.49:
	v_lshl_add_u64 v[2:3], v[10:11], 4, s[8:9]
	global_load_b128 v[14:17], v[2:3], off
	s_wait_loadcnt_dscnt 0x0
	v_mul_f64_e32 v[2:3], v[8:9], v[16:17]
	v_mul_f64_e64 v[4:5], v[6:7], -v[16:17]
	s_delay_alu instid0(VALU_DEP_2) | instskip(NEXT) | instid1(VALU_DEP_2)
	v_fmac_f64_e32 v[2:3], v[6:7], v[14:15]
	v_fmac_f64_e32 v[4:5], v[8:9], v[14:15]
.LBB43_50:
	s_or_b32 exec_lo, exec_lo, s3
	v_cmp_eq_u32_e64 s3, 0, v0
	s_wait_kmcnt 0x0
	s_cmp_ge_i32 s22, s23
	s_cbranch_scc0 .LBB43_7
.LBB43_51:
	v_mov_b64_e32 v[20:21], 1.0
	v_mov_b64_e32 v[18:19], 0
.LBB43_52:
	s_cmp_lg_u32 s6, 0
	s_cbranch_scc0 .LBB43_58
; %bb.53:
	s_and_saveexec_b32 s0, s2
	s_cbranch_execz .LBB43_55
.LBB43_54:
	s_wait_loadcnt_dscnt 0x0
	v_lshl_add_u64 v[6:7], v[10:11], 4, s[8:9]
	global_store_b128 v[6:7], v[2:5], off
.LBB43_55:
	s_wait_xcnt 0x0
	s_or_b32 exec_lo, exec_lo, s0
	global_wb scope:SCOPE_DEV
	s_wait_storecnt 0x0
	s_wait_loadcnt_dscnt 0x0
	global_inv scope:SCOPE_DEV
	s_wait_loadcnt 0x0
	s_barrier_signal -1
	s_barrier_wait -1
	s_mov_b32 s0, exec_lo
	v_cmpx_eq_u32_e32 0, v0
	s_cbranch_execz .LBB43_57
; %bb.56:
	s_add_co_i32 s0, s16, s7
	s_delay_alu instid0(SALU_CYCLE_1)
	v_dual_mov_b32 v0, 1 :: v_dual_mov_b32 v1, s0
	global_store_b32 v1, v0, s[18:19] scale_offset scope:SCOPE_DEV
.LBB43_57:
	s_endpgm
.LBB43_58:
	s_wait_loadcnt_dscnt 0x0
	s_delay_alu instid0(VALU_DEP_1) | instskip(SKIP_1) | instid1(VALU_DEP_2)
	v_mul_f64_e64 v[6:7], v[18:19], -v[4:5]
	v_mul_f64_e32 v[8:9], v[18:19], v[2:3]
	v_fmac_f64_e32 v[6:7], v[2:3], v[20:21]
	s_delay_alu instid0(VALU_DEP_2) | instskip(NEXT) | instid1(VALU_DEP_2)
	v_fmac_f64_e32 v[8:9], v[4:5], v[20:21]
	v_mov_b64_e32 v[2:3], v[6:7]
	s_delay_alu instid0(VALU_DEP_2)
	v_mov_b64_e32 v[4:5], v[8:9]
	s_and_saveexec_b32 s0, s2
	s_cbranch_execnz .LBB43_54
	s_branch .LBB43_55
	.section	.rodata,"a",@progbits
	.p2align	6, 0x0
	.amdhsa_kernel _ZN9rocsparseL5csrsmILj1024ELj64ELb0Eii21rocsparse_complex_numIdEEEv20rocsparse_operation_T3_S4_NS_24const_host_device_scalarIT4_EEPKT2_PKS4_PKS6_PS6_lPiSC_PS4_21rocsparse_index_base_20rocsparse_fill_mode_20rocsparse_diag_type_b
		.amdhsa_group_segment_fixed_size 20480
		.amdhsa_private_segment_fixed_size 16
		.amdhsa_kernarg_size 112
		.amdhsa_user_sgpr_count 2
		.amdhsa_user_sgpr_dispatch_ptr 0
		.amdhsa_user_sgpr_queue_ptr 0
		.amdhsa_user_sgpr_kernarg_segment_ptr 1
		.amdhsa_user_sgpr_dispatch_id 0
		.amdhsa_user_sgpr_kernarg_preload_length 0
		.amdhsa_user_sgpr_kernarg_preload_offset 0
		.amdhsa_user_sgpr_private_segment_size 0
		.amdhsa_wavefront_size32 1
		.amdhsa_uses_dynamic_stack 0
		.amdhsa_enable_private_segment 1
		.amdhsa_system_sgpr_workgroup_id_x 1
		.amdhsa_system_sgpr_workgroup_id_y 0
		.amdhsa_system_sgpr_workgroup_id_z 0
		.amdhsa_system_sgpr_workgroup_info 0
		.amdhsa_system_vgpr_workitem_id 0
		.amdhsa_next_free_vgpr 30
		.amdhsa_next_free_sgpr 30
		.amdhsa_named_barrier_count 0
		.amdhsa_reserve_vcc 1
		.amdhsa_float_round_mode_32 0
		.amdhsa_float_round_mode_16_64 0
		.amdhsa_float_denorm_mode_32 3
		.amdhsa_float_denorm_mode_16_64 3
		.amdhsa_fp16_overflow 0
		.amdhsa_memory_ordered 1
		.amdhsa_forward_progress 1
		.amdhsa_inst_pref_size 17
		.amdhsa_round_robin_scheduling 0
		.amdhsa_exception_fp_ieee_invalid_op 0
		.amdhsa_exception_fp_denorm_src 0
		.amdhsa_exception_fp_ieee_div_zero 0
		.amdhsa_exception_fp_ieee_overflow 0
		.amdhsa_exception_fp_ieee_underflow 0
		.amdhsa_exception_fp_ieee_inexact 0
		.amdhsa_exception_int_div_zero 0
	.end_amdhsa_kernel
	.section	.text._ZN9rocsparseL5csrsmILj1024ELj64ELb0Eii21rocsparse_complex_numIdEEEv20rocsparse_operation_T3_S4_NS_24const_host_device_scalarIT4_EEPKT2_PKS4_PKS6_PS6_lPiSC_PS4_21rocsparse_index_base_20rocsparse_fill_mode_20rocsparse_diag_type_b,"axG",@progbits,_ZN9rocsparseL5csrsmILj1024ELj64ELb0Eii21rocsparse_complex_numIdEEEv20rocsparse_operation_T3_S4_NS_24const_host_device_scalarIT4_EEPKT2_PKS4_PKS6_PS6_lPiSC_PS4_21rocsparse_index_base_20rocsparse_fill_mode_20rocsparse_diag_type_b,comdat
.Lfunc_end43:
	.size	_ZN9rocsparseL5csrsmILj1024ELj64ELb0Eii21rocsparse_complex_numIdEEEv20rocsparse_operation_T3_S4_NS_24const_host_device_scalarIT4_EEPKT2_PKS4_PKS6_PS6_lPiSC_PS4_21rocsparse_index_base_20rocsparse_fill_mode_20rocsparse_diag_type_b, .Lfunc_end43-_ZN9rocsparseL5csrsmILj1024ELj64ELb0Eii21rocsparse_complex_numIdEEEv20rocsparse_operation_T3_S4_NS_24const_host_device_scalarIT4_EEPKT2_PKS4_PKS6_PS6_lPiSC_PS4_21rocsparse_index_base_20rocsparse_fill_mode_20rocsparse_diag_type_b
                                        ; -- End function
	.set _ZN9rocsparseL5csrsmILj1024ELj64ELb0Eii21rocsparse_complex_numIdEEEv20rocsparse_operation_T3_S4_NS_24const_host_device_scalarIT4_EEPKT2_PKS4_PKS6_PS6_lPiSC_PS4_21rocsparse_index_base_20rocsparse_fill_mode_20rocsparse_diag_type_b.num_vgpr, 30
	.set _ZN9rocsparseL5csrsmILj1024ELj64ELb0Eii21rocsparse_complex_numIdEEEv20rocsparse_operation_T3_S4_NS_24const_host_device_scalarIT4_EEPKT2_PKS4_PKS6_PS6_lPiSC_PS4_21rocsparse_index_base_20rocsparse_fill_mode_20rocsparse_diag_type_b.num_agpr, 0
	.set _ZN9rocsparseL5csrsmILj1024ELj64ELb0Eii21rocsparse_complex_numIdEEEv20rocsparse_operation_T3_S4_NS_24const_host_device_scalarIT4_EEPKT2_PKS4_PKS6_PS6_lPiSC_PS4_21rocsparse_index_base_20rocsparse_fill_mode_20rocsparse_diag_type_b.numbered_sgpr, 30
	.set _ZN9rocsparseL5csrsmILj1024ELj64ELb0Eii21rocsparse_complex_numIdEEEv20rocsparse_operation_T3_S4_NS_24const_host_device_scalarIT4_EEPKT2_PKS4_PKS6_PS6_lPiSC_PS4_21rocsparse_index_base_20rocsparse_fill_mode_20rocsparse_diag_type_b.num_named_barrier, 0
	.set _ZN9rocsparseL5csrsmILj1024ELj64ELb0Eii21rocsparse_complex_numIdEEEv20rocsparse_operation_T3_S4_NS_24const_host_device_scalarIT4_EEPKT2_PKS4_PKS6_PS6_lPiSC_PS4_21rocsparse_index_base_20rocsparse_fill_mode_20rocsparse_diag_type_b.private_seg_size, 16
	.set _ZN9rocsparseL5csrsmILj1024ELj64ELb0Eii21rocsparse_complex_numIdEEEv20rocsparse_operation_T3_S4_NS_24const_host_device_scalarIT4_EEPKT2_PKS4_PKS6_PS6_lPiSC_PS4_21rocsparse_index_base_20rocsparse_fill_mode_20rocsparse_diag_type_b.uses_vcc, 1
	.set _ZN9rocsparseL5csrsmILj1024ELj64ELb0Eii21rocsparse_complex_numIdEEEv20rocsparse_operation_T3_S4_NS_24const_host_device_scalarIT4_EEPKT2_PKS4_PKS6_PS6_lPiSC_PS4_21rocsparse_index_base_20rocsparse_fill_mode_20rocsparse_diag_type_b.uses_flat_scratch, 0
	.set _ZN9rocsparseL5csrsmILj1024ELj64ELb0Eii21rocsparse_complex_numIdEEEv20rocsparse_operation_T3_S4_NS_24const_host_device_scalarIT4_EEPKT2_PKS4_PKS6_PS6_lPiSC_PS4_21rocsparse_index_base_20rocsparse_fill_mode_20rocsparse_diag_type_b.has_dyn_sized_stack, 0
	.set _ZN9rocsparseL5csrsmILj1024ELj64ELb0Eii21rocsparse_complex_numIdEEEv20rocsparse_operation_T3_S4_NS_24const_host_device_scalarIT4_EEPKT2_PKS4_PKS6_PS6_lPiSC_PS4_21rocsparse_index_base_20rocsparse_fill_mode_20rocsparse_diag_type_b.has_recursion, 0
	.set _ZN9rocsparseL5csrsmILj1024ELj64ELb0Eii21rocsparse_complex_numIdEEEv20rocsparse_operation_T3_S4_NS_24const_host_device_scalarIT4_EEPKT2_PKS4_PKS6_PS6_lPiSC_PS4_21rocsparse_index_base_20rocsparse_fill_mode_20rocsparse_diag_type_b.has_indirect_call, 0
	.section	.AMDGPU.csdata,"",@progbits
; Kernel info:
; codeLenInByte = 2136
; TotalNumSgprs: 32
; NumVgprs: 30
; ScratchSize: 16
; MemoryBound: 0
; FloatMode: 240
; IeeeMode: 1
; LDSByteSize: 20480 bytes/workgroup (compile time only)
; SGPRBlocks: 0
; VGPRBlocks: 1
; NumSGPRsForWavesPerEU: 32
; NumVGPRsForWavesPerEU: 30
; NamedBarCnt: 0
; Occupancy: 16
; WaveLimiterHint : 1
; COMPUTE_PGM_RSRC2:SCRATCH_EN: 1
; COMPUTE_PGM_RSRC2:USER_SGPR: 2
; COMPUTE_PGM_RSRC2:TRAP_HANDLER: 0
; COMPUTE_PGM_RSRC2:TGID_X_EN: 1
; COMPUTE_PGM_RSRC2:TGID_Y_EN: 0
; COMPUTE_PGM_RSRC2:TGID_Z_EN: 0
; COMPUTE_PGM_RSRC2:TIDIG_COMP_CNT: 0
	.section	.text._ZN9rocsparseL5csrsmILj64ELj64ELb1ElifEEv20rocsparse_operation_T3_S2_NS_24const_host_device_scalarIT4_EEPKT2_PKS2_PKS4_PS4_lPiSA_PS2_21rocsparse_index_base_20rocsparse_fill_mode_20rocsparse_diag_type_b,"axG",@progbits,_ZN9rocsparseL5csrsmILj64ELj64ELb1ElifEEv20rocsparse_operation_T3_S2_NS_24const_host_device_scalarIT4_EEPKT2_PKS2_PKS4_PS4_lPiSA_PS2_21rocsparse_index_base_20rocsparse_fill_mode_20rocsparse_diag_type_b,comdat
	.globl	_ZN9rocsparseL5csrsmILj64ELj64ELb1ElifEEv20rocsparse_operation_T3_S2_NS_24const_host_device_scalarIT4_EEPKT2_PKS2_PKS4_PS4_lPiSA_PS2_21rocsparse_index_base_20rocsparse_fill_mode_20rocsparse_diag_type_b ; -- Begin function _ZN9rocsparseL5csrsmILj64ELj64ELb1ElifEEv20rocsparse_operation_T3_S2_NS_24const_host_device_scalarIT4_EEPKT2_PKS2_PKS4_PS4_lPiSA_PS2_21rocsparse_index_base_20rocsparse_fill_mode_20rocsparse_diag_type_b
	.p2align	8
	.type	_ZN9rocsparseL5csrsmILj64ELj64ELb1ElifEEv20rocsparse_operation_T3_S2_NS_24const_host_device_scalarIT4_EEPKT2_PKS2_PKS4_PS4_lPiSA_PS2_21rocsparse_index_base_20rocsparse_fill_mode_20rocsparse_diag_type_b,@function
_ZN9rocsparseL5csrsmILj64ELj64ELb1ElifEEv20rocsparse_operation_T3_S2_NS_24const_host_device_scalarIT4_EEPKT2_PKS2_PKS4_PS4_lPiSA_PS2_21rocsparse_index_base_20rocsparse_fill_mode_20rocsparse_diag_type_b: ; @_ZN9rocsparseL5csrsmILj64ELj64ELb1ElifEEv20rocsparse_operation_T3_S2_NS_24const_host_device_scalarIT4_EEPKT2_PKS2_PKS4_PS4_lPiSA_PS2_21rocsparse_index_base_20rocsparse_fill_mode_20rocsparse_diag_type_b
; %bb.0:
	s_clause 0x2
	s_load_b128 s[4:7], s[0:1], 0x58
	s_load_b128 s[12:15], s[0:1], 0x10
	s_load_b64 s[2:3], s[0:1], 0x48
	s_wait_kmcnt 0x0
	s_bitcmp1_b32 s7, 0
	s_cselect_b32 s7, -1, 0
	s_delay_alu instid0(SALU_CYCLE_1)
	s_and_b32 vcc_lo, exec_lo, s7
	s_cbranch_vccnz .LBB44_2
; %bb.1:
	s_load_b32 s12, s[12:13], 0x0
.LBB44_2:
	s_nop 0
	s_load_b64 s[22:23], s[0:1], 0x4
	s_bfe_u32 s9, ttmp6, 0x4000c
	s_and_b32 s8, ttmp6, 15
	s_add_co_i32 s9, s9, 1
	s_getreg_b32 s11, hwreg(HW_REG_IB_STS2, 6, 4)
	s_mul_i32 s9, ttmp9, s9
	v_mov_b32_e32 v10, 0
	s_add_co_i32 s8, s8, s9
	s_wait_kmcnt 0x0
	s_cvt_f32_u32 s7, s22
	s_sub_co_i32 s10, 0, s22
	s_delay_alu instid0(SALU_CYCLE_2) | instskip(SKIP_1) | instid1(TRANS32_DEP_1)
	v_rcp_iflag_f32_e32 v1, s7
	v_nop
	v_readfirstlane_b32 s7, v1
	s_mul_f32 s7, s7, 0x4f7ffffe
	s_delay_alu instid0(SALU_CYCLE_3) | instskip(NEXT) | instid1(SALU_CYCLE_3)
	s_cvt_u32_f32 s7, s7
	s_mul_i32 s10, s10, s7
	s_delay_alu instid0(SALU_CYCLE_1) | instskip(NEXT) | instid1(SALU_CYCLE_1)
	s_mul_hi_u32 s10, s7, s10
	s_add_co_i32 s7, s7, s10
	s_cmp_eq_u32 s11, 0
	s_cselect_b32 s8, ttmp9, s8
	s_delay_alu instid0(SALU_CYCLE_1) | instskip(NEXT) | instid1(SALU_CYCLE_1)
	s_mul_hi_u32 s7, s8, s7
	s_mul_i32 s9, s7, s22
	s_add_co_i32 s10, s7, 1
	s_sub_co_i32 s9, s8, s9
	s_delay_alu instid0(SALU_CYCLE_1)
	s_sub_co_i32 s11, s9, s22
	s_cmp_ge_u32 s9, s22
	s_cselect_b32 s7, s10, s7
	s_cselect_b32 s9, s11, s9
	s_add_co_i32 s10, s7, 1
	s_cmp_ge_u32 s9, s22
	s_cselect_b32 s13, s10, s7
	s_delay_alu instid0(SALU_CYCLE_1) | instskip(SKIP_2) | instid1(SALU_CYCLE_1)
	s_mul_i32 s7, s13, s22
	v_lshl_or_b32 v2, s13, 6, v0
	s_sub_co_i32 s8, s8, s7
	s_ashr_i32 s9, s8, 31
	s_delay_alu instid0(VALU_DEP_1) | instskip(SKIP_1) | instid1(SALU_CYCLE_1)
	v_ashrrev_i32_e32 v3, 31, v2
	s_lshl_b64 s[8:9], s[8:9], 2
	s_add_nc_u64 s[2:3], s[2:3], s[8:9]
	s_load_b128 s[8:11], s[0:1], 0x30
	s_load_b32 s20, s[2:3], 0x0
	s_wait_kmcnt 0x0
	s_ashr_i32 s21, s20, 31
	s_delay_alu instid0(SALU_CYCLE_1) | instskip(NEXT) | instid1(SALU_CYCLE_1)
	s_lshl_b64 s[2:3], s[20:21], 3
	s_add_nc_u64 s[2:3], s[14:15], s[2:3]
	s_load_b64 s[14:15], s[0:1], 0x40
	s_load_b128 s[16:19], s[2:3], 0x0
	s_wait_xcnt 0x0
	v_cmp_gt_i32_e64 s2, s23, v2
	s_mul_u64 s[22:23], s[10:11], s[20:21]
	s_and_saveexec_b32 s3, s2
	s_cbranch_execz .LBB44_4
; %bb.3:
	v_add_nc_u64_e32 v[4:5], s[22:23], v[2:3]
	s_delay_alu instid0(VALU_DEP_1)
	v_lshl_add_u64 v[4:5], v[4:5], 2, s[8:9]
	global_load_b32 v1, v[4:5], off
	s_wait_loadcnt 0x0
	v_mul_f32_e32 v10, s12, v1
.LBB44_4:
	s_or_b32 exec_lo, exec_lo, s3
	s_wait_kmcnt 0x0
	v_cmp_ge_i64_e64 s3, s[16:17], s[18:19]
	v_lshl_add_u64 v[2:3], v[2:3], 2, s[8:9]
	v_mov_b32_e32 v13, 1.0
	s_and_b32 vcc_lo, exec_lo, s3
	v_cmp_eq_u32_e64 s3, 0, v0
	s_cbranch_vccnz .LBB44_43
; %bb.5:
	s_clause 0x1
	s_load_b128 s[24:27], s[0:1], 0x20
	s_load_b64 s[8:9], s[0:1], 0x50
	v_dual_mov_b32 v1, 0 :: v_dual_lshlrev_b32 v4, 2, v0
	s_cmp_lg_u32 s6, 0
	s_mov_b32 s31, 0
	s_mov_b32 s30, s4
	s_delay_alu instid0(VALU_DEP_1)
	v_mov_b32_e32 v5, v1
	s_wait_xcnt 0x0
	v_cmp_ne_u32_e64 s0, 0, v0
	s_cselect_b32 s21, -1, 0
	v_or_b32_e32 v11, 0x100, v4
	s_add_co_i32 s28, s20, s4
	s_sub_nc_u64 s[12:13], s[16:17], s[30:31]
	s_cmp_eq_u32 s6, 0
	s_sub_nc_u64 s[16:17], s[18:19], s[30:31]
	s_cselect_b32 s1, -1, 0
	s_mov_b64 s[18:19], s[12:13]
	s_wait_kmcnt 0x0
	v_add_nc_u64_e32 v[6:7], s[24:25], v[4:5]
	v_add_nc_u64_e32 v[8:9], s[26:27], v[4:5]
	v_mov_b32_e32 v5, 1.0
	s_sub_co_i32 s13, s18, s12
	s_delay_alu instid0(SALU_CYCLE_1) | instskip(NEXT) | instid1(SALU_CYCLE_1)
	s_and_b32 s13, s13, 63
	s_cmp_lg_u32 s13, 0
	s_cbranch_scc1 .LBB44_9
.LBB44_6:
	s_sub_nc_u64 s[24:25], s[16:17], s[18:19]
	v_dual_mov_b32 v12, -1.0 :: v_dual_mov_b32 v13, -1
	v_cmp_gt_i64_e32 vcc_lo, s[24:25], v[0:1]
	s_and_saveexec_b32 s24, vcc_lo
	s_cbranch_execz .LBB44_8
; %bb.7:
	s_lshl_b64 s[26:27], s[18:19], 2
	s_delay_alu instid0(SALU_CYCLE_1)
	v_add_nc_u64_e32 v[14:15], s[26:27], v[6:7]
	v_add_nc_u64_e32 v[16:17], s[26:27], v[8:9]
	global_load_b32 v13, v[14:15], off
	global_load_b32 v12, v[16:17], off
	s_wait_loadcnt 0x1
	v_subrev_nc_u32_e32 v13, s4, v13
.LBB44_8:
	s_wait_xcnt 0x0
	s_or_b32 exec_lo, exec_lo, s24
	ds_store_b32 v4, v13
	s_wait_loadcnt 0x0
	ds_store_b32 v11, v12
.LBB44_9:                               ; =>This Loop Header: Depth=1
                                        ;     Child Loop BB44_41 Depth 2
                                        ;       Child Loop BB44_42 Depth 3
	s_lshl_b32 s13, s13, 2
	s_wait_dscnt 0x0
	v_mov_b32_e32 v12, s13
	s_barrier_signal -1
	s_barrier_wait -1
	ds_load_2addr_stride64_b32 v[12:13], v12 offset1:1
	s_wait_dscnt 0x0
	v_readfirstlane_b32 s24, v12
	v_cmp_neq_f32_e32 vcc_lo, 0, v13
	s_cmp_lg_u32 s24, s20
	s_cselect_b32 s13, -1, 0
	s_delay_alu instid0(SALU_CYCLE_1) | instskip(NEXT) | instid1(SALU_CYCLE_1)
	s_or_b32 s13, s21, s13
	s_or_b32 vcc_lo, vcc_lo, s13
	v_cndmask_b32_e32 v12, 1.0, v13, vcc_lo
	s_nor_b32 s25, s0, vcc_lo
	s_delay_alu instid0(SALU_CYCLE_1)
	s_and_saveexec_b32 s13, s25
	s_cbranch_execz .LBB44_13
; %bb.10:                               ;   in Loop: Header=BB44_9 Depth=1
	v_mbcnt_lo_u32_b32 v12, exec_lo, 0
	s_mov_b32 s25, exec_lo
	s_delay_alu instid0(VALU_DEP_1)
	v_cmpx_eq_u32_e32 0, v12
	s_cbranch_execz .LBB44_12
; %bb.11:                               ;   in Loop: Header=BB44_9 Depth=1
	v_mov_b32_e32 v12, s28
	global_atomic_min_i32 v1, v12, s[8:9] scope:SCOPE_DEV
.LBB44_12:                              ;   in Loop: Header=BB44_9 Depth=1
	s_wait_xcnt 0x0
	s_or_b32 exec_lo, exec_lo, s25
	v_mov_b32_e32 v12, 1.0
.LBB44_13:                              ;   in Loop: Header=BB44_9 Depth=1
	s_or_b32 exec_lo, exec_lo, s13
	s_mov_b32 s26, -1
	s_mov_b32 s13, 0
	s_cmp_lt_i32 s5, 1
	s_mov_b32 s25, 0
                                        ; implicit-def: $vgpr13
	s_cbranch_scc0 .LBB44_20
; %bb.14:                               ;   in Loop: Header=BB44_9 Depth=1
	s_and_b32 vcc_lo, exec_lo, s26
	s_mov_b32 s26, 4
	s_cbranch_vccnz .LBB44_25
.LBB44_15:                              ;   in Loop: Header=BB44_9 Depth=1
	v_mov_b32_e32 v14, v10
	s_and_b32 vcc_lo, exec_lo, s25
	s_cbranch_vccnz .LBB44_30
.LBB44_16:                              ;   in Loop: Header=BB44_9 Depth=1
	s_and_b32 vcc_lo, exec_lo, s13
	s_cbranch_vccnz .LBB44_35
.LBB44_17:                              ;   in Loop: Header=BB44_9 Depth=1
	s_mov_b32 s13, -1
	s_cmp_gt_i32 s26, 3
	s_mov_b32 s24, -1
	s_cbranch_scc0 .LBB44_36
.LBB44_18:                              ;   in Loop: Header=BB44_9 Depth=1
	s_and_not1_b32 vcc_lo, exec_lo, s24
	s_cbranch_vccz .LBB44_37
.LBB44_19:                              ;   in Loop: Header=BB44_9 Depth=1
	s_and_not1_b32 vcc_lo, exec_lo, s13
	s_cbranch_vccnz .LBB44_38
	s_branch .LBB44_44
.LBB44_20:                              ;   in Loop: Header=BB44_9 Depth=1
	s_cmp_eq_u32 s5, 1
	s_mov_b32 s25, -1
                                        ; implicit-def: $vgpr13
	s_cbranch_scc0 .LBB44_24
; %bb.21:                               ;   in Loop: Header=BB44_9 Depth=1
	v_mov_b32_e32 v13, v5
	s_cmp_ge_i32 s24, s20
	s_mov_b32 s25, 0
	s_cbranch_scc0 .LBB44_24
; %bb.22:                               ;   in Loop: Header=BB44_9 Depth=1
	s_cmp_eq_u32 s24, s20
	s_mov_b32 s25, -1
                                        ; implicit-def: $vgpr13
	s_cbranch_scc0 .LBB44_24
; %bb.23:                               ;   in Loop: Header=BB44_9 Depth=1
	v_div_scale_f32 v13, null, v12, v12, 1.0
	s_mov_b32 s25, 0
	v_rcp_f32_e32 v14, v13
	v_nop
	s_delay_alu instid0(TRANS32_DEP_1) | instskip(NEXT) | instid1(VALU_DEP_1)
	v_fma_f32 v15, -v13, v14, 1.0
	v_fmac_f32_e32 v14, v15, v14
	v_div_scale_f32 v15, vcc_lo, 1.0, v12, 1.0
	s_delay_alu instid0(VALU_DEP_1) | instskip(NEXT) | instid1(VALU_DEP_1)
	v_mul_f32_e32 v16, v15, v14
	v_fma_f32 v17, -v13, v16, v15
	s_delay_alu instid0(VALU_DEP_1) | instskip(NEXT) | instid1(VALU_DEP_1)
	v_fmac_f32_e32 v16, v17, v14
	v_fma_f32 v13, -v13, v16, v15
	s_delay_alu instid0(VALU_DEP_1) | instskip(NEXT) | instid1(VALU_DEP_1)
	v_div_fmas_f32 v13, v13, v14, v16
	v_div_fixup_f32 v13, v13, v12, 1.0
	s_delay_alu instid0(VALU_DEP_1)
	v_cndmask_b32_e64 v13, v5, v13, s1
.LBB44_24:                              ;   in Loop: Header=BB44_9 Depth=1
	s_mov_b32 s26, 4
	s_branch .LBB44_15
.LBB44_25:                              ;   in Loop: Header=BB44_9 Depth=1
	s_cmp_eq_u32 s5, 0
	s_cbranch_scc1 .LBB44_27
; %bb.26:                               ;   in Loop: Header=BB44_9 Depth=1
	s_mov_b32 s25, -1
	s_branch .LBB44_29
.LBB44_27:                              ;   in Loop: Header=BB44_9 Depth=1
	s_cmp_le_i32 s24, s20
	s_mov_b32 s25, 0
	s_cbranch_scc0 .LBB44_29
; %bb.28:                               ;   in Loop: Header=BB44_9 Depth=1
	s_cmp_lg_u32 s24, s20
	s_mov_b32 s13, -1
	s_cselect_b32 s25, -1, 0
.LBB44_29:                              ;   in Loop: Header=BB44_9 Depth=1
	v_mov_b32_e32 v13, v5
	s_mov_b32 s26, 2
	v_mov_b32_e32 v14, v10
	s_and_b32 vcc_lo, exec_lo, s25
	s_cbranch_vccz .LBB44_16
.LBB44_30:                              ;   in Loop: Header=BB44_9 Depth=1
	s_and_saveexec_b32 s13, s3
	s_cbranch_execz .LBB44_32
; %bb.31:                               ;   in Loop: Header=BB44_9 Depth=1
	s_add_co_i32 s26, s24, s7
	s_delay_alu instid0(SALU_CYCLE_1)
	v_mov_b32_e32 v13, s26
	global_load_b32 v13, v13, s[14:15] scale_offset scope:SCOPE_DEV
	s_wait_loadcnt 0x0
	v_cmp_ne_u32_e32 vcc_lo, 0, v13
	s_cbranch_vccz .LBB44_39
.LBB44_32:                              ;   in Loop: Header=BB44_9 Depth=1
	s_wait_xcnt 0x0
	s_or_b32 exec_lo, exec_lo, s13
	v_mov_b32_e32 v14, 0
	s_wait_storecnt 0x0
	s_barrier_signal -1
	s_barrier_wait -1
	global_inv scope:SCOPE_DEV
	s_and_saveexec_b32 s13, s2
	s_cbranch_execz .LBB44_34
; %bb.33:                               ;   in Loop: Header=BB44_9 Depth=1
	s_ashr_i32 s25, s24, 31
	s_delay_alu instid0(SALU_CYCLE_1) | instskip(NEXT) | instid1(SALU_CYCLE_1)
	s_mul_u64 s[24:25], s[10:11], s[24:25]
	v_lshl_add_u64 v[14:15], s[24:25], 2, v[2:3]
	global_load_b32 v13, v[14:15], off
	s_wait_loadcnt 0x0
	v_fma_f32 v14, -v12, v13, v10
.LBB44_34:                              ;   in Loop: Header=BB44_9 Depth=1
	s_or_b32 exec_lo, exec_lo, s13
	v_mov_b32_e32 v13, v5
	s_mov_b32 s26, 0
	s_branch .LBB44_17
.LBB44_35:                              ;   in Loop: Header=BB44_9 Depth=1
	v_div_scale_f32 v13, null, v12, v12, 1.0
	v_div_scale_f32 v16, vcc_lo, 1.0, v12, 1.0
	s_mov_b32 s26, 2
	v_rcp_f32_e32 v14, v13
	v_nop
	s_delay_alu instid0(TRANS32_DEP_1) | instskip(NEXT) | instid1(VALU_DEP_1)
	v_fma_f32 v15, -v13, v14, 1.0
	v_fmac_f32_e32 v14, v15, v14
	s_delay_alu instid0(VALU_DEP_1) | instskip(NEXT) | instid1(VALU_DEP_1)
	v_mul_f32_e32 v15, v16, v14
	v_fma_f32 v17, -v13, v15, v16
	s_delay_alu instid0(VALU_DEP_1) | instskip(NEXT) | instid1(VALU_DEP_1)
	v_fmac_f32_e32 v15, v17, v14
	v_fma_f32 v13, -v13, v15, v16
	s_delay_alu instid0(VALU_DEP_1) | instskip(SKIP_1) | instid1(VALU_DEP_2)
	v_div_fmas_f32 v13, v13, v14, v15
	v_mov_b32_e32 v14, v10
	v_div_fixup_f32 v12, v13, v12, 1.0
	s_delay_alu instid0(VALU_DEP_1)
	v_cndmask_b32_e64 v13, v5, v12, s1
	s_mov_b32 s13, -1
	s_cmp_gt_i32 s26, 3
	s_mov_b32 s24, -1
	s_cbranch_scc1 .LBB44_18
.LBB44_36:                              ;   in Loop: Header=BB44_9 Depth=1
	s_cmp_eq_u32 s26, 0
	s_cselect_b32 s24, -1, 0
	s_delay_alu instid0(SALU_CYCLE_1)
	s_and_not1_b32 vcc_lo, exec_lo, s24
	s_cbranch_vccnz .LBB44_19
.LBB44_37:                              ;   in Loop: Header=BB44_9 Depth=1
	s_add_nc_u64 s[18:19], s[18:19], 1
	s_delay_alu instid0(SALU_CYCLE_1)
	v_cmp_ge_i64_e64 s13, s[18:19], s[16:17]
	s_and_not1_b32 vcc_lo, exec_lo, s13
	s_cbranch_vccz .LBB44_44
.LBB44_38:                              ;   in Loop: Header=BB44_9 Depth=1
	v_dual_mov_b32 v10, v14 :: v_dual_mov_b32 v5, v13
	s_sub_co_i32 s13, s18, s12
	s_delay_alu instid0(SALU_CYCLE_1) | instskip(NEXT) | instid1(SALU_CYCLE_1)
	s_and_b32 s13, s13, 63
	s_cmp_lg_u32 s13, 0
	s_cbranch_scc1 .LBB44_9
	s_branch .LBB44_6
.LBB44_39:                              ;   in Loop: Header=BB44_9 Depth=1
	s_ashr_i32 s27, s26, 31
	s_mov_b32 s25, 0
	s_lshl_b64 s[26:27], s[26:27], 2
	s_delay_alu instid0(SALU_CYCLE_1)
	s_add_nc_u64 s[26:27], s[14:15], s[26:27]
	s_branch .LBB44_41
.LBB44_40:                              ;   in Loop: Header=BB44_41 Depth=2
	global_load_b32 v13, v1, s[26:27] scope:SCOPE_DEV
	s_cmp_lt_u32 s25, 0xf43
	s_cselect_b32 s29, -1, 0
	s_delay_alu instid0(SALU_CYCLE_1)
	s_cmp_lg_u32 s29, 0
	s_add_co_ci_u32 s25, s25, 0
	s_wait_loadcnt 0x0
	v_cmp_ne_u32_e32 vcc_lo, 0, v13
	s_cbranch_vccnz .LBB44_32
.LBB44_41:                              ;   Parent Loop BB44_9 Depth=1
                                        ; =>  This Loop Header: Depth=2
                                        ;       Child Loop BB44_42 Depth 3
	s_cmp_eq_u32 s25, 0
	s_mov_b32 s29, s25
	s_cbranch_scc1 .LBB44_40
.LBB44_42:                              ;   Parent Loop BB44_9 Depth=1
                                        ;     Parent Loop BB44_41 Depth=2
                                        ; =>    This Inner Loop Header: Depth=3
	s_add_co_i32 s29, s29, -1
	s_sleep 1
	s_cmp_eq_u32 s29, 0
	s_cbranch_scc0 .LBB44_42
	s_branch .LBB44_40
.LBB44_43:
	v_mov_b32_e32 v14, v10
.LBB44_44:
	s_and_saveexec_b32 s0, s2
	s_cbranch_execz .LBB44_46
; %bb.45:
	s_delay_alu instid0(VALU_DEP_1) | instskip(SKIP_3) | instid1(VALU_DEP_2)
	v_mul_f32_e32 v1, v13, v14
	s_cmp_eq_u32 s6, 0
	v_lshl_add_u64 v[2:3], s[22:23], 2, v[2:3]
	s_cselect_b32 vcc_lo, -1, 0
	v_cndmask_b32_e32 v1, v14, v1, vcc_lo
	global_store_b32 v[2:3], v1, off
.LBB44_46:
	s_wait_xcnt 0x0
	s_or_b32 exec_lo, exec_lo, s0
	global_wb scope:SCOPE_DEV
	s_wait_loadcnt 0x0
	s_wait_storecnt 0x0
	global_inv scope:SCOPE_DEV
	s_wait_loadcnt 0x0
	s_barrier_signal -1
	s_barrier_wait -1
	s_mov_b32 s0, exec_lo
	v_cmpx_eq_u32_e32 0, v0
	s_cbranch_execz .LBB44_48
; %bb.47:
	s_add_co_i32 s0, s20, s7
	s_delay_alu instid0(SALU_CYCLE_1)
	v_dual_mov_b32 v0, 1 :: v_dual_mov_b32 v1, s0
	global_store_b32 v1, v0, s[14:15] scale_offset scope:SCOPE_DEV
.LBB44_48:
	s_endpgm
	.section	.rodata,"a",@progbits
	.p2align	6, 0x0
	.amdhsa_kernel _ZN9rocsparseL5csrsmILj64ELj64ELb1ElifEEv20rocsparse_operation_T3_S2_NS_24const_host_device_scalarIT4_EEPKT2_PKS2_PKS4_PS4_lPiSA_PS2_21rocsparse_index_base_20rocsparse_fill_mode_20rocsparse_diag_type_b
		.amdhsa_group_segment_fixed_size 512
		.amdhsa_private_segment_fixed_size 0
		.amdhsa_kernarg_size 104
		.amdhsa_user_sgpr_count 2
		.amdhsa_user_sgpr_dispatch_ptr 0
		.amdhsa_user_sgpr_queue_ptr 0
		.amdhsa_user_sgpr_kernarg_segment_ptr 1
		.amdhsa_user_sgpr_dispatch_id 0
		.amdhsa_user_sgpr_kernarg_preload_length 0
		.amdhsa_user_sgpr_kernarg_preload_offset 0
		.amdhsa_user_sgpr_private_segment_size 0
		.amdhsa_wavefront_size32 1
		.amdhsa_uses_dynamic_stack 0
		.amdhsa_enable_private_segment 0
		.amdhsa_system_sgpr_workgroup_id_x 1
		.amdhsa_system_sgpr_workgroup_id_y 0
		.amdhsa_system_sgpr_workgroup_id_z 0
		.amdhsa_system_sgpr_workgroup_info 0
		.amdhsa_system_vgpr_workitem_id 0
		.amdhsa_next_free_vgpr 18
		.amdhsa_next_free_sgpr 32
		.amdhsa_named_barrier_count 0
		.amdhsa_reserve_vcc 1
		.amdhsa_float_round_mode_32 0
		.amdhsa_float_round_mode_16_64 0
		.amdhsa_float_denorm_mode_32 3
		.amdhsa_float_denorm_mode_16_64 3
		.amdhsa_fp16_overflow 0
		.amdhsa_memory_ordered 1
		.amdhsa_forward_progress 1
		.amdhsa_inst_pref_size 14
		.amdhsa_round_robin_scheduling 0
		.amdhsa_exception_fp_ieee_invalid_op 0
		.amdhsa_exception_fp_denorm_src 0
		.amdhsa_exception_fp_ieee_div_zero 0
		.amdhsa_exception_fp_ieee_overflow 0
		.amdhsa_exception_fp_ieee_underflow 0
		.amdhsa_exception_fp_ieee_inexact 0
		.amdhsa_exception_int_div_zero 0
	.end_amdhsa_kernel
	.section	.text._ZN9rocsparseL5csrsmILj64ELj64ELb1ElifEEv20rocsparse_operation_T3_S2_NS_24const_host_device_scalarIT4_EEPKT2_PKS2_PKS4_PS4_lPiSA_PS2_21rocsparse_index_base_20rocsparse_fill_mode_20rocsparse_diag_type_b,"axG",@progbits,_ZN9rocsparseL5csrsmILj64ELj64ELb1ElifEEv20rocsparse_operation_T3_S2_NS_24const_host_device_scalarIT4_EEPKT2_PKS2_PKS4_PS4_lPiSA_PS2_21rocsparse_index_base_20rocsparse_fill_mode_20rocsparse_diag_type_b,comdat
.Lfunc_end44:
	.size	_ZN9rocsparseL5csrsmILj64ELj64ELb1ElifEEv20rocsparse_operation_T3_S2_NS_24const_host_device_scalarIT4_EEPKT2_PKS2_PKS4_PS4_lPiSA_PS2_21rocsparse_index_base_20rocsparse_fill_mode_20rocsparse_diag_type_b, .Lfunc_end44-_ZN9rocsparseL5csrsmILj64ELj64ELb1ElifEEv20rocsparse_operation_T3_S2_NS_24const_host_device_scalarIT4_EEPKT2_PKS2_PKS4_PS4_lPiSA_PS2_21rocsparse_index_base_20rocsparse_fill_mode_20rocsparse_diag_type_b
                                        ; -- End function
	.set _ZN9rocsparseL5csrsmILj64ELj64ELb1ElifEEv20rocsparse_operation_T3_S2_NS_24const_host_device_scalarIT4_EEPKT2_PKS2_PKS4_PS4_lPiSA_PS2_21rocsparse_index_base_20rocsparse_fill_mode_20rocsparse_diag_type_b.num_vgpr, 18
	.set _ZN9rocsparseL5csrsmILj64ELj64ELb1ElifEEv20rocsparse_operation_T3_S2_NS_24const_host_device_scalarIT4_EEPKT2_PKS2_PKS4_PS4_lPiSA_PS2_21rocsparse_index_base_20rocsparse_fill_mode_20rocsparse_diag_type_b.num_agpr, 0
	.set _ZN9rocsparseL5csrsmILj64ELj64ELb1ElifEEv20rocsparse_operation_T3_S2_NS_24const_host_device_scalarIT4_EEPKT2_PKS2_PKS4_PS4_lPiSA_PS2_21rocsparse_index_base_20rocsparse_fill_mode_20rocsparse_diag_type_b.numbered_sgpr, 32
	.set _ZN9rocsparseL5csrsmILj64ELj64ELb1ElifEEv20rocsparse_operation_T3_S2_NS_24const_host_device_scalarIT4_EEPKT2_PKS2_PKS4_PS4_lPiSA_PS2_21rocsparse_index_base_20rocsparse_fill_mode_20rocsparse_diag_type_b.num_named_barrier, 0
	.set _ZN9rocsparseL5csrsmILj64ELj64ELb1ElifEEv20rocsparse_operation_T3_S2_NS_24const_host_device_scalarIT4_EEPKT2_PKS2_PKS4_PS4_lPiSA_PS2_21rocsparse_index_base_20rocsparse_fill_mode_20rocsparse_diag_type_b.private_seg_size, 0
	.set _ZN9rocsparseL5csrsmILj64ELj64ELb1ElifEEv20rocsparse_operation_T3_S2_NS_24const_host_device_scalarIT4_EEPKT2_PKS2_PKS4_PS4_lPiSA_PS2_21rocsparse_index_base_20rocsparse_fill_mode_20rocsparse_diag_type_b.uses_vcc, 1
	.set _ZN9rocsparseL5csrsmILj64ELj64ELb1ElifEEv20rocsparse_operation_T3_S2_NS_24const_host_device_scalarIT4_EEPKT2_PKS2_PKS4_PS4_lPiSA_PS2_21rocsparse_index_base_20rocsparse_fill_mode_20rocsparse_diag_type_b.uses_flat_scratch, 0
	.set _ZN9rocsparseL5csrsmILj64ELj64ELb1ElifEEv20rocsparse_operation_T3_S2_NS_24const_host_device_scalarIT4_EEPKT2_PKS2_PKS4_PS4_lPiSA_PS2_21rocsparse_index_base_20rocsparse_fill_mode_20rocsparse_diag_type_b.has_dyn_sized_stack, 0
	.set _ZN9rocsparseL5csrsmILj64ELj64ELb1ElifEEv20rocsparse_operation_T3_S2_NS_24const_host_device_scalarIT4_EEPKT2_PKS2_PKS4_PS4_lPiSA_PS2_21rocsparse_index_base_20rocsparse_fill_mode_20rocsparse_diag_type_b.has_recursion, 0
	.set _ZN9rocsparseL5csrsmILj64ELj64ELb1ElifEEv20rocsparse_operation_T3_S2_NS_24const_host_device_scalarIT4_EEPKT2_PKS2_PKS4_PS4_lPiSA_PS2_21rocsparse_index_base_20rocsparse_fill_mode_20rocsparse_diag_type_b.has_indirect_call, 0
	.section	.AMDGPU.csdata,"",@progbits
; Kernel info:
; codeLenInByte = 1696
; TotalNumSgprs: 34
; NumVgprs: 18
; ScratchSize: 0
; MemoryBound: 0
; FloatMode: 240
; IeeeMode: 1
; LDSByteSize: 512 bytes/workgroup (compile time only)
; SGPRBlocks: 0
; VGPRBlocks: 1
; NumSGPRsForWavesPerEU: 34
; NumVGPRsForWavesPerEU: 18
; NamedBarCnt: 0
; Occupancy: 16
; WaveLimiterHint : 1
; COMPUTE_PGM_RSRC2:SCRATCH_EN: 0
; COMPUTE_PGM_RSRC2:USER_SGPR: 2
; COMPUTE_PGM_RSRC2:TRAP_HANDLER: 0
; COMPUTE_PGM_RSRC2:TGID_X_EN: 1
; COMPUTE_PGM_RSRC2:TGID_Y_EN: 0
; COMPUTE_PGM_RSRC2:TGID_Z_EN: 0
; COMPUTE_PGM_RSRC2:TIDIG_COMP_CNT: 0
	.section	.text._ZN9rocsparseL5csrsmILj64ELj64ELb0ElifEEv20rocsparse_operation_T3_S2_NS_24const_host_device_scalarIT4_EEPKT2_PKS2_PKS4_PS4_lPiSA_PS2_21rocsparse_index_base_20rocsparse_fill_mode_20rocsparse_diag_type_b,"axG",@progbits,_ZN9rocsparseL5csrsmILj64ELj64ELb0ElifEEv20rocsparse_operation_T3_S2_NS_24const_host_device_scalarIT4_EEPKT2_PKS2_PKS4_PS4_lPiSA_PS2_21rocsparse_index_base_20rocsparse_fill_mode_20rocsparse_diag_type_b,comdat
	.globl	_ZN9rocsparseL5csrsmILj64ELj64ELb0ElifEEv20rocsparse_operation_T3_S2_NS_24const_host_device_scalarIT4_EEPKT2_PKS2_PKS4_PS4_lPiSA_PS2_21rocsparse_index_base_20rocsparse_fill_mode_20rocsparse_diag_type_b ; -- Begin function _ZN9rocsparseL5csrsmILj64ELj64ELb0ElifEEv20rocsparse_operation_T3_S2_NS_24const_host_device_scalarIT4_EEPKT2_PKS2_PKS4_PS4_lPiSA_PS2_21rocsparse_index_base_20rocsparse_fill_mode_20rocsparse_diag_type_b
	.p2align	8
	.type	_ZN9rocsparseL5csrsmILj64ELj64ELb0ElifEEv20rocsparse_operation_T3_S2_NS_24const_host_device_scalarIT4_EEPKT2_PKS2_PKS4_PS4_lPiSA_PS2_21rocsparse_index_base_20rocsparse_fill_mode_20rocsparse_diag_type_b,@function
_ZN9rocsparseL5csrsmILj64ELj64ELb0ElifEEv20rocsparse_operation_T3_S2_NS_24const_host_device_scalarIT4_EEPKT2_PKS2_PKS4_PS4_lPiSA_PS2_21rocsparse_index_base_20rocsparse_fill_mode_20rocsparse_diag_type_b: ; @_ZN9rocsparseL5csrsmILj64ELj64ELb0ElifEEv20rocsparse_operation_T3_S2_NS_24const_host_device_scalarIT4_EEPKT2_PKS2_PKS4_PS4_lPiSA_PS2_21rocsparse_index_base_20rocsparse_fill_mode_20rocsparse_diag_type_b
; %bb.0:
	s_clause 0x2
	s_load_b128 s[4:7], s[0:1], 0x58
	s_load_b128 s[12:15], s[0:1], 0x10
	s_load_b64 s[2:3], s[0:1], 0x48
	s_wait_kmcnt 0x0
	s_bitcmp1_b32 s7, 0
	s_cselect_b32 s7, -1, 0
	s_delay_alu instid0(SALU_CYCLE_1)
	s_and_b32 vcc_lo, exec_lo, s7
	s_cbranch_vccnz .LBB45_2
; %bb.1:
	s_load_b32 s12, s[12:13], 0x0
.LBB45_2:
	s_nop 0
	s_load_b64 s[22:23], s[0:1], 0x4
	s_bfe_u32 s9, ttmp6, 0x4000c
	s_and_b32 s8, ttmp6, 15
	s_add_co_i32 s9, s9, 1
	s_getreg_b32 s11, hwreg(HW_REG_IB_STS2, 6, 4)
	s_mul_i32 s9, ttmp9, s9
	v_mov_b32_e32 v10, 0
	s_add_co_i32 s8, s8, s9
	s_wait_kmcnt 0x0
	s_cvt_f32_u32 s7, s22
	s_sub_co_i32 s10, 0, s22
	s_delay_alu instid0(SALU_CYCLE_2) | instskip(SKIP_1) | instid1(TRANS32_DEP_1)
	v_rcp_iflag_f32_e32 v1, s7
	v_nop
	v_readfirstlane_b32 s7, v1
	s_mul_f32 s7, s7, 0x4f7ffffe
	s_delay_alu instid0(SALU_CYCLE_3) | instskip(NEXT) | instid1(SALU_CYCLE_3)
	s_cvt_u32_f32 s7, s7
	s_mul_i32 s10, s10, s7
	s_delay_alu instid0(SALU_CYCLE_1) | instskip(NEXT) | instid1(SALU_CYCLE_1)
	s_mul_hi_u32 s10, s7, s10
	s_add_co_i32 s7, s7, s10
	s_cmp_eq_u32 s11, 0
	s_cselect_b32 s8, ttmp9, s8
	s_delay_alu instid0(SALU_CYCLE_1) | instskip(NEXT) | instid1(SALU_CYCLE_1)
	s_mul_hi_u32 s7, s8, s7
	s_mul_i32 s9, s7, s22
	s_add_co_i32 s10, s7, 1
	s_sub_co_i32 s9, s8, s9
	s_delay_alu instid0(SALU_CYCLE_1)
	s_sub_co_i32 s11, s9, s22
	s_cmp_ge_u32 s9, s22
	s_cselect_b32 s7, s10, s7
	s_cselect_b32 s9, s11, s9
	s_add_co_i32 s10, s7, 1
	s_cmp_ge_u32 s9, s22
	s_cselect_b32 s13, s10, s7
	s_delay_alu instid0(SALU_CYCLE_1) | instskip(SKIP_2) | instid1(SALU_CYCLE_1)
	s_mul_i32 s7, s13, s22
	v_lshl_or_b32 v2, s13, 6, v0
	s_sub_co_i32 s8, s8, s7
	s_ashr_i32 s9, s8, 31
	s_delay_alu instid0(VALU_DEP_1) | instskip(SKIP_1) | instid1(SALU_CYCLE_1)
	v_ashrrev_i32_e32 v3, 31, v2
	s_lshl_b64 s[8:9], s[8:9], 2
	s_add_nc_u64 s[2:3], s[2:3], s[8:9]
	s_load_b128 s[8:11], s[0:1], 0x30
	s_load_b32 s20, s[2:3], 0x0
	s_wait_kmcnt 0x0
	s_ashr_i32 s21, s20, 31
	s_delay_alu instid0(SALU_CYCLE_1) | instskip(NEXT) | instid1(SALU_CYCLE_1)
	s_lshl_b64 s[2:3], s[20:21], 3
	s_add_nc_u64 s[2:3], s[14:15], s[2:3]
	s_load_b64 s[14:15], s[0:1], 0x40
	s_load_b128 s[16:19], s[2:3], 0x0
	s_wait_xcnt 0x0
	v_cmp_gt_i32_e64 s2, s23, v2
	s_mul_u64 s[22:23], s[10:11], s[20:21]
	s_and_saveexec_b32 s3, s2
	s_cbranch_execz .LBB45_4
; %bb.3:
	v_add_nc_u64_e32 v[4:5], s[22:23], v[2:3]
	s_delay_alu instid0(VALU_DEP_1)
	v_lshl_add_u64 v[4:5], v[4:5], 2, s[8:9]
	global_load_b32 v1, v[4:5], off
	s_wait_loadcnt 0x0
	v_mul_f32_e32 v10, s12, v1
.LBB45_4:
	s_or_b32 exec_lo, exec_lo, s3
	s_wait_kmcnt 0x0
	v_cmp_ge_i64_e64 s3, s[16:17], s[18:19]
	v_lshl_add_u64 v[2:3], v[2:3], 2, s[8:9]
	v_mov_b32_e32 v13, 1.0
	s_and_b32 vcc_lo, exec_lo, s3
	v_cmp_eq_u32_e64 s3, 0, v0
	s_cbranch_vccnz .LBB45_41
; %bb.5:
	s_clause 0x1
	s_load_b128 s[24:27], s[0:1], 0x20
	s_load_b64 s[8:9], s[0:1], 0x50
	v_dual_mov_b32 v1, 0 :: v_dual_lshlrev_b32 v4, 2, v0
	s_cmp_lg_u32 s6, 0
	s_mov_b32 s31, 0
	s_mov_b32 s30, s4
	s_delay_alu instid0(VALU_DEP_1)
	v_mov_b32_e32 v5, v1
	s_wait_xcnt 0x0
	v_cmp_ne_u32_e64 s0, 0, v0
	s_cselect_b32 s21, -1, 0
	v_or_b32_e32 v11, 0x100, v4
	s_add_co_i32 s28, s20, s4
	s_sub_nc_u64 s[12:13], s[16:17], s[30:31]
	s_cmp_eq_u32 s6, 0
	s_sub_nc_u64 s[16:17], s[18:19], s[30:31]
	s_cselect_b32 s1, -1, 0
	s_mov_b64 s[18:19], s[12:13]
	s_wait_kmcnt 0x0
	v_add_nc_u64_e32 v[6:7], s[24:25], v[4:5]
	v_add_nc_u64_e32 v[8:9], s[26:27], v[4:5]
	v_mov_b32_e32 v5, 1.0
	s_sub_co_i32 s13, s18, s12
	s_delay_alu instid0(SALU_CYCLE_1) | instskip(NEXT) | instid1(SALU_CYCLE_1)
	s_and_b32 s13, s13, 63
	s_cmp_lg_u32 s13, 0
	s_cbranch_scc1 .LBB45_9
.LBB45_6:
	s_sub_nc_u64 s[24:25], s[16:17], s[18:19]
	v_dual_mov_b32 v12, -1.0 :: v_dual_mov_b32 v13, -1
	v_cmp_gt_i64_e32 vcc_lo, s[24:25], v[0:1]
	s_and_saveexec_b32 s24, vcc_lo
	s_cbranch_execz .LBB45_8
; %bb.7:
	s_lshl_b64 s[26:27], s[18:19], 2
	s_delay_alu instid0(SALU_CYCLE_1)
	v_add_nc_u64_e32 v[14:15], s[26:27], v[6:7]
	v_add_nc_u64_e32 v[16:17], s[26:27], v[8:9]
	global_load_b32 v13, v[14:15], off
	global_load_b32 v12, v[16:17], off
	s_wait_loadcnt 0x1
	v_subrev_nc_u32_e32 v13, s4, v13
.LBB45_8:
	s_wait_xcnt 0x0
	s_or_b32 exec_lo, exec_lo, s24
	ds_store_b32 v4, v13
	s_wait_loadcnt 0x0
	ds_store_b32 v11, v12
.LBB45_9:                               ; =>This Loop Header: Depth=1
                                        ;     Child Loop BB45_33 Depth 2
	s_lshl_b32 s13, s13, 2
	s_wait_dscnt 0x0
	v_mov_b32_e32 v12, s13
	s_barrier_signal -1
	s_barrier_wait -1
	ds_load_2addr_stride64_b32 v[12:13], v12 offset1:1
	s_wait_dscnt 0x0
	v_readfirstlane_b32 s24, v12
	v_cmp_neq_f32_e32 vcc_lo, 0, v13
	s_cmp_lg_u32 s24, s20
	s_cselect_b32 s13, -1, 0
	s_delay_alu instid0(SALU_CYCLE_1) | instskip(NEXT) | instid1(SALU_CYCLE_1)
	s_or_b32 s13, s21, s13
	s_or_b32 vcc_lo, vcc_lo, s13
	v_cndmask_b32_e32 v12, 1.0, v13, vcc_lo
	s_nor_b32 s25, s0, vcc_lo
	s_delay_alu instid0(SALU_CYCLE_1)
	s_and_saveexec_b32 s13, s25
	s_cbranch_execz .LBB45_13
; %bb.10:                               ;   in Loop: Header=BB45_9 Depth=1
	v_mbcnt_lo_u32_b32 v12, exec_lo, 0
	s_mov_b32 s25, exec_lo
	s_delay_alu instid0(VALU_DEP_1)
	v_cmpx_eq_u32_e32 0, v12
	s_cbranch_execz .LBB45_12
; %bb.11:                               ;   in Loop: Header=BB45_9 Depth=1
	v_mov_b32_e32 v12, s28
	global_atomic_min_i32 v1, v12, s[8:9] scope:SCOPE_DEV
.LBB45_12:                              ;   in Loop: Header=BB45_9 Depth=1
	s_wait_xcnt 0x0
	s_or_b32 exec_lo, exec_lo, s25
	v_mov_b32_e32 v12, 1.0
.LBB45_13:                              ;   in Loop: Header=BB45_9 Depth=1
	s_or_b32 exec_lo, exec_lo, s13
	s_mov_b32 s26, -1
	s_mov_b32 s13, 0
	s_cmp_lt_i32 s5, 1
	s_mov_b32 s25, 0
                                        ; implicit-def: $vgpr13
	s_cbranch_scc0 .LBB45_20
; %bb.14:                               ;   in Loop: Header=BB45_9 Depth=1
	s_and_b32 vcc_lo, exec_lo, s26
	s_mov_b32 s26, 4
	s_cbranch_vccnz .LBB45_25
.LBB45_15:                              ;   in Loop: Header=BB45_9 Depth=1
	v_mov_b32_e32 v14, v10
	s_and_b32 vcc_lo, exec_lo, s25
	s_cbranch_vccnz .LBB45_30
.LBB45_16:                              ;   in Loop: Header=BB45_9 Depth=1
	s_and_b32 vcc_lo, exec_lo, s13
	s_cbranch_vccnz .LBB45_37
.LBB45_17:                              ;   in Loop: Header=BB45_9 Depth=1
	s_mov_b32 s13, -1
	s_cmp_gt_i32 s26, 3
	s_mov_b32 s24, -1
	s_cbranch_scc0 .LBB45_38
.LBB45_18:                              ;   in Loop: Header=BB45_9 Depth=1
	s_and_not1_b32 vcc_lo, exec_lo, s24
	s_cbranch_vccz .LBB45_39
.LBB45_19:                              ;   in Loop: Header=BB45_9 Depth=1
	s_and_not1_b32 vcc_lo, exec_lo, s13
	s_cbranch_vccnz .LBB45_40
	s_branch .LBB45_42
.LBB45_20:                              ;   in Loop: Header=BB45_9 Depth=1
	s_cmp_eq_u32 s5, 1
	s_mov_b32 s25, -1
                                        ; implicit-def: $vgpr13
	s_cbranch_scc0 .LBB45_24
; %bb.21:                               ;   in Loop: Header=BB45_9 Depth=1
	v_mov_b32_e32 v13, v5
	s_cmp_ge_i32 s24, s20
	s_mov_b32 s25, 0
	s_cbranch_scc0 .LBB45_24
; %bb.22:                               ;   in Loop: Header=BB45_9 Depth=1
	s_cmp_eq_u32 s24, s20
	s_mov_b32 s25, -1
                                        ; implicit-def: $vgpr13
	s_cbranch_scc0 .LBB45_24
; %bb.23:                               ;   in Loop: Header=BB45_9 Depth=1
	v_div_scale_f32 v13, null, v12, v12, 1.0
	s_mov_b32 s25, 0
	v_rcp_f32_e32 v14, v13
	v_nop
	s_delay_alu instid0(TRANS32_DEP_1) | instskip(NEXT) | instid1(VALU_DEP_1)
	v_fma_f32 v15, -v13, v14, 1.0
	v_fmac_f32_e32 v14, v15, v14
	v_div_scale_f32 v15, vcc_lo, 1.0, v12, 1.0
	s_delay_alu instid0(VALU_DEP_1) | instskip(NEXT) | instid1(VALU_DEP_1)
	v_mul_f32_e32 v16, v15, v14
	v_fma_f32 v17, -v13, v16, v15
	s_delay_alu instid0(VALU_DEP_1) | instskip(NEXT) | instid1(VALU_DEP_1)
	v_fmac_f32_e32 v16, v17, v14
	v_fma_f32 v13, -v13, v16, v15
	s_delay_alu instid0(VALU_DEP_1) | instskip(NEXT) | instid1(VALU_DEP_1)
	v_div_fmas_f32 v13, v13, v14, v16
	v_div_fixup_f32 v13, v13, v12, 1.0
	s_delay_alu instid0(VALU_DEP_1)
	v_cndmask_b32_e64 v13, v5, v13, s1
.LBB45_24:                              ;   in Loop: Header=BB45_9 Depth=1
	s_mov_b32 s26, 4
	s_branch .LBB45_15
.LBB45_25:                              ;   in Loop: Header=BB45_9 Depth=1
	s_cmp_eq_u32 s5, 0
	s_cbranch_scc1 .LBB45_27
; %bb.26:                               ;   in Loop: Header=BB45_9 Depth=1
	s_mov_b32 s25, -1
	s_branch .LBB45_29
.LBB45_27:                              ;   in Loop: Header=BB45_9 Depth=1
	s_cmp_le_i32 s24, s20
	s_mov_b32 s25, 0
	s_cbranch_scc0 .LBB45_29
; %bb.28:                               ;   in Loop: Header=BB45_9 Depth=1
	s_cmp_lg_u32 s24, s20
	s_mov_b32 s13, -1
	s_cselect_b32 s25, -1, 0
.LBB45_29:                              ;   in Loop: Header=BB45_9 Depth=1
	v_mov_b32_e32 v13, v5
	s_mov_b32 s26, 2
	v_mov_b32_e32 v14, v10
	s_and_b32 vcc_lo, exec_lo, s25
	s_cbranch_vccz .LBB45_16
.LBB45_30:                              ;   in Loop: Header=BB45_9 Depth=1
	s_and_saveexec_b32 s13, s3
	s_cbranch_execz .LBB45_34
; %bb.31:                               ;   in Loop: Header=BB45_9 Depth=1
	s_add_co_i32 s26, s24, s7
	s_delay_alu instid0(SALU_CYCLE_1)
	v_mov_b32_e32 v13, s26
	global_load_b32 v13, v13, s[14:15] scale_offset scope:SCOPE_DEV
	s_wait_loadcnt 0x0
	v_cmp_ne_u32_e32 vcc_lo, 0, v13
	s_cbranch_vccnz .LBB45_34
; %bb.32:                               ;   in Loop: Header=BB45_9 Depth=1
	s_ashr_i32 s27, s26, 31
	s_delay_alu instid0(SALU_CYCLE_1) | instskip(NEXT) | instid1(SALU_CYCLE_1)
	s_lshl_b64 s[26:27], s[26:27], 2
	s_add_nc_u64 s[26:27], s[14:15], s[26:27]
.LBB45_33:                              ;   Parent Loop BB45_9 Depth=1
                                        ; =>  This Inner Loop Header: Depth=2
	global_load_b32 v13, v1, s[26:27] scope:SCOPE_DEV
	s_wait_loadcnt 0x0
	v_cmp_eq_u32_e32 vcc_lo, 0, v13
	s_cbranch_vccnz .LBB45_33
.LBB45_34:                              ;   in Loop: Header=BB45_9 Depth=1
	s_wait_xcnt 0x0
	s_or_b32 exec_lo, exec_lo, s13
	v_mov_b32_e32 v14, 0
	s_wait_storecnt 0x0
	s_barrier_signal -1
	s_barrier_wait -1
	global_inv scope:SCOPE_DEV
	s_and_saveexec_b32 s13, s2
	s_cbranch_execz .LBB45_36
; %bb.35:                               ;   in Loop: Header=BB45_9 Depth=1
	s_ashr_i32 s25, s24, 31
	s_delay_alu instid0(SALU_CYCLE_1) | instskip(NEXT) | instid1(SALU_CYCLE_1)
	s_mul_u64 s[24:25], s[10:11], s[24:25]
	v_lshl_add_u64 v[14:15], s[24:25], 2, v[2:3]
	global_load_b32 v13, v[14:15], off
	s_wait_loadcnt 0x0
	v_fma_f32 v14, -v12, v13, v10
.LBB45_36:                              ;   in Loop: Header=BB45_9 Depth=1
	s_or_b32 exec_lo, exec_lo, s13
	v_mov_b32_e32 v13, v5
	s_mov_b32 s26, 0
	s_branch .LBB45_17
.LBB45_37:                              ;   in Loop: Header=BB45_9 Depth=1
	v_div_scale_f32 v13, null, v12, v12, 1.0
	v_div_scale_f32 v16, vcc_lo, 1.0, v12, 1.0
	s_mov_b32 s26, 2
	v_rcp_f32_e32 v14, v13
	v_nop
	s_delay_alu instid0(TRANS32_DEP_1) | instskip(NEXT) | instid1(VALU_DEP_1)
	v_fma_f32 v15, -v13, v14, 1.0
	v_fmac_f32_e32 v14, v15, v14
	s_delay_alu instid0(VALU_DEP_1) | instskip(NEXT) | instid1(VALU_DEP_1)
	v_mul_f32_e32 v15, v16, v14
	v_fma_f32 v17, -v13, v15, v16
	s_delay_alu instid0(VALU_DEP_1) | instskip(NEXT) | instid1(VALU_DEP_1)
	v_fmac_f32_e32 v15, v17, v14
	v_fma_f32 v13, -v13, v15, v16
	s_delay_alu instid0(VALU_DEP_1) | instskip(SKIP_1) | instid1(VALU_DEP_2)
	v_div_fmas_f32 v13, v13, v14, v15
	v_mov_b32_e32 v14, v10
	v_div_fixup_f32 v12, v13, v12, 1.0
	s_delay_alu instid0(VALU_DEP_1)
	v_cndmask_b32_e64 v13, v5, v12, s1
	s_mov_b32 s13, -1
	s_cmp_gt_i32 s26, 3
	s_mov_b32 s24, -1
	s_cbranch_scc1 .LBB45_18
.LBB45_38:                              ;   in Loop: Header=BB45_9 Depth=1
	s_cmp_eq_u32 s26, 0
	s_cselect_b32 s24, -1, 0
	s_delay_alu instid0(SALU_CYCLE_1)
	s_and_not1_b32 vcc_lo, exec_lo, s24
	s_cbranch_vccnz .LBB45_19
.LBB45_39:                              ;   in Loop: Header=BB45_9 Depth=1
	s_add_nc_u64 s[18:19], s[18:19], 1
	s_delay_alu instid0(SALU_CYCLE_1)
	v_cmp_ge_i64_e64 s13, s[18:19], s[16:17]
	s_and_not1_b32 vcc_lo, exec_lo, s13
	s_cbranch_vccz .LBB45_42
.LBB45_40:                              ;   in Loop: Header=BB45_9 Depth=1
	v_dual_mov_b32 v10, v14 :: v_dual_mov_b32 v5, v13
	s_sub_co_i32 s13, s18, s12
	s_delay_alu instid0(SALU_CYCLE_1) | instskip(NEXT) | instid1(SALU_CYCLE_1)
	s_and_b32 s13, s13, 63
	s_cmp_lg_u32 s13, 0
	s_cbranch_scc1 .LBB45_9
	s_branch .LBB45_6
.LBB45_41:
	v_mov_b32_e32 v14, v10
.LBB45_42:
	s_and_saveexec_b32 s0, s2
	s_cbranch_execz .LBB45_44
; %bb.43:
	s_delay_alu instid0(VALU_DEP_1) | instskip(SKIP_3) | instid1(VALU_DEP_2)
	v_mul_f32_e32 v1, v13, v14
	s_cmp_eq_u32 s6, 0
	v_lshl_add_u64 v[2:3], s[22:23], 2, v[2:3]
	s_cselect_b32 vcc_lo, -1, 0
	v_cndmask_b32_e32 v1, v14, v1, vcc_lo
	global_store_b32 v[2:3], v1, off
.LBB45_44:
	s_wait_xcnt 0x0
	s_or_b32 exec_lo, exec_lo, s0
	global_wb scope:SCOPE_DEV
	s_wait_loadcnt 0x0
	s_wait_storecnt 0x0
	global_inv scope:SCOPE_DEV
	s_wait_loadcnt 0x0
	s_barrier_signal -1
	s_barrier_wait -1
	s_mov_b32 s0, exec_lo
	v_cmpx_eq_u32_e32 0, v0
	s_cbranch_execz .LBB45_46
; %bb.45:
	s_add_co_i32 s0, s20, s7
	s_delay_alu instid0(SALU_CYCLE_1)
	v_dual_mov_b32 v0, 1 :: v_dual_mov_b32 v1, s0
	global_store_b32 v1, v0, s[14:15] scale_offset scope:SCOPE_DEV
.LBB45_46:
	s_endpgm
	.section	.rodata,"a",@progbits
	.p2align	6, 0x0
	.amdhsa_kernel _ZN9rocsparseL5csrsmILj64ELj64ELb0ElifEEv20rocsparse_operation_T3_S2_NS_24const_host_device_scalarIT4_EEPKT2_PKS2_PKS4_PS4_lPiSA_PS2_21rocsparse_index_base_20rocsparse_fill_mode_20rocsparse_diag_type_b
		.amdhsa_group_segment_fixed_size 512
		.amdhsa_private_segment_fixed_size 0
		.amdhsa_kernarg_size 104
		.amdhsa_user_sgpr_count 2
		.amdhsa_user_sgpr_dispatch_ptr 0
		.amdhsa_user_sgpr_queue_ptr 0
		.amdhsa_user_sgpr_kernarg_segment_ptr 1
		.amdhsa_user_sgpr_dispatch_id 0
		.amdhsa_user_sgpr_kernarg_preload_length 0
		.amdhsa_user_sgpr_kernarg_preload_offset 0
		.amdhsa_user_sgpr_private_segment_size 0
		.amdhsa_wavefront_size32 1
		.amdhsa_uses_dynamic_stack 0
		.amdhsa_enable_private_segment 0
		.amdhsa_system_sgpr_workgroup_id_x 1
		.amdhsa_system_sgpr_workgroup_id_y 0
		.amdhsa_system_sgpr_workgroup_id_z 0
		.amdhsa_system_sgpr_workgroup_info 0
		.amdhsa_system_vgpr_workitem_id 0
		.amdhsa_next_free_vgpr 18
		.amdhsa_next_free_sgpr 32
		.amdhsa_named_barrier_count 0
		.amdhsa_reserve_vcc 1
		.amdhsa_float_round_mode_32 0
		.amdhsa_float_round_mode_16_64 0
		.amdhsa_float_denorm_mode_32 3
		.amdhsa_float_denorm_mode_16_64 3
		.amdhsa_fp16_overflow 0
		.amdhsa_memory_ordered 1
		.amdhsa_forward_progress 1
		.amdhsa_inst_pref_size 13
		.amdhsa_round_robin_scheduling 0
		.amdhsa_exception_fp_ieee_invalid_op 0
		.amdhsa_exception_fp_denorm_src 0
		.amdhsa_exception_fp_ieee_div_zero 0
		.amdhsa_exception_fp_ieee_overflow 0
		.amdhsa_exception_fp_ieee_underflow 0
		.amdhsa_exception_fp_ieee_inexact 0
		.amdhsa_exception_int_div_zero 0
	.end_amdhsa_kernel
	.section	.text._ZN9rocsparseL5csrsmILj64ELj64ELb0ElifEEv20rocsparse_operation_T3_S2_NS_24const_host_device_scalarIT4_EEPKT2_PKS2_PKS4_PS4_lPiSA_PS2_21rocsparse_index_base_20rocsparse_fill_mode_20rocsparse_diag_type_b,"axG",@progbits,_ZN9rocsparseL5csrsmILj64ELj64ELb0ElifEEv20rocsparse_operation_T3_S2_NS_24const_host_device_scalarIT4_EEPKT2_PKS2_PKS4_PS4_lPiSA_PS2_21rocsparse_index_base_20rocsparse_fill_mode_20rocsparse_diag_type_b,comdat
.Lfunc_end45:
	.size	_ZN9rocsparseL5csrsmILj64ELj64ELb0ElifEEv20rocsparse_operation_T3_S2_NS_24const_host_device_scalarIT4_EEPKT2_PKS2_PKS4_PS4_lPiSA_PS2_21rocsparse_index_base_20rocsparse_fill_mode_20rocsparse_diag_type_b, .Lfunc_end45-_ZN9rocsparseL5csrsmILj64ELj64ELb0ElifEEv20rocsparse_operation_T3_S2_NS_24const_host_device_scalarIT4_EEPKT2_PKS2_PKS4_PS4_lPiSA_PS2_21rocsparse_index_base_20rocsparse_fill_mode_20rocsparse_diag_type_b
                                        ; -- End function
	.set _ZN9rocsparseL5csrsmILj64ELj64ELb0ElifEEv20rocsparse_operation_T3_S2_NS_24const_host_device_scalarIT4_EEPKT2_PKS2_PKS4_PS4_lPiSA_PS2_21rocsparse_index_base_20rocsparse_fill_mode_20rocsparse_diag_type_b.num_vgpr, 18
	.set _ZN9rocsparseL5csrsmILj64ELj64ELb0ElifEEv20rocsparse_operation_T3_S2_NS_24const_host_device_scalarIT4_EEPKT2_PKS2_PKS4_PS4_lPiSA_PS2_21rocsparse_index_base_20rocsparse_fill_mode_20rocsparse_diag_type_b.num_agpr, 0
	.set _ZN9rocsparseL5csrsmILj64ELj64ELb0ElifEEv20rocsparse_operation_T3_S2_NS_24const_host_device_scalarIT4_EEPKT2_PKS2_PKS4_PS4_lPiSA_PS2_21rocsparse_index_base_20rocsparse_fill_mode_20rocsparse_diag_type_b.numbered_sgpr, 32
	.set _ZN9rocsparseL5csrsmILj64ELj64ELb0ElifEEv20rocsparse_operation_T3_S2_NS_24const_host_device_scalarIT4_EEPKT2_PKS2_PKS4_PS4_lPiSA_PS2_21rocsparse_index_base_20rocsparse_fill_mode_20rocsparse_diag_type_b.num_named_barrier, 0
	.set _ZN9rocsparseL5csrsmILj64ELj64ELb0ElifEEv20rocsparse_operation_T3_S2_NS_24const_host_device_scalarIT4_EEPKT2_PKS2_PKS4_PS4_lPiSA_PS2_21rocsparse_index_base_20rocsparse_fill_mode_20rocsparse_diag_type_b.private_seg_size, 0
	.set _ZN9rocsparseL5csrsmILj64ELj64ELb0ElifEEv20rocsparse_operation_T3_S2_NS_24const_host_device_scalarIT4_EEPKT2_PKS2_PKS4_PS4_lPiSA_PS2_21rocsparse_index_base_20rocsparse_fill_mode_20rocsparse_diag_type_b.uses_vcc, 1
	.set _ZN9rocsparseL5csrsmILj64ELj64ELb0ElifEEv20rocsparse_operation_T3_S2_NS_24const_host_device_scalarIT4_EEPKT2_PKS2_PKS4_PS4_lPiSA_PS2_21rocsparse_index_base_20rocsparse_fill_mode_20rocsparse_diag_type_b.uses_flat_scratch, 0
	.set _ZN9rocsparseL5csrsmILj64ELj64ELb0ElifEEv20rocsparse_operation_T3_S2_NS_24const_host_device_scalarIT4_EEPKT2_PKS2_PKS4_PS4_lPiSA_PS2_21rocsparse_index_base_20rocsparse_fill_mode_20rocsparse_diag_type_b.has_dyn_sized_stack, 0
	.set _ZN9rocsparseL5csrsmILj64ELj64ELb0ElifEEv20rocsparse_operation_T3_S2_NS_24const_host_device_scalarIT4_EEPKT2_PKS2_PKS4_PS4_lPiSA_PS2_21rocsparse_index_base_20rocsparse_fill_mode_20rocsparse_diag_type_b.has_recursion, 0
	.set _ZN9rocsparseL5csrsmILj64ELj64ELb0ElifEEv20rocsparse_operation_T3_S2_NS_24const_host_device_scalarIT4_EEPKT2_PKS2_PKS4_PS4_lPiSA_PS2_21rocsparse_index_base_20rocsparse_fill_mode_20rocsparse_diag_type_b.has_indirect_call, 0
	.section	.AMDGPU.csdata,"",@progbits
; Kernel info:
; codeLenInByte = 1632
; TotalNumSgprs: 34
; NumVgprs: 18
; ScratchSize: 0
; MemoryBound: 0
; FloatMode: 240
; IeeeMode: 1
; LDSByteSize: 512 bytes/workgroup (compile time only)
; SGPRBlocks: 0
; VGPRBlocks: 1
; NumSGPRsForWavesPerEU: 34
; NumVGPRsForWavesPerEU: 18
; NamedBarCnt: 0
; Occupancy: 16
; WaveLimiterHint : 1
; COMPUTE_PGM_RSRC2:SCRATCH_EN: 0
; COMPUTE_PGM_RSRC2:USER_SGPR: 2
; COMPUTE_PGM_RSRC2:TRAP_HANDLER: 0
; COMPUTE_PGM_RSRC2:TGID_X_EN: 1
; COMPUTE_PGM_RSRC2:TGID_Y_EN: 0
; COMPUTE_PGM_RSRC2:TGID_Z_EN: 0
; COMPUTE_PGM_RSRC2:TIDIG_COMP_CNT: 0
	.section	.text._ZN9rocsparseL5csrsmILj128ELj64ELb1ElifEEv20rocsparse_operation_T3_S2_NS_24const_host_device_scalarIT4_EEPKT2_PKS2_PKS4_PS4_lPiSA_PS2_21rocsparse_index_base_20rocsparse_fill_mode_20rocsparse_diag_type_b,"axG",@progbits,_ZN9rocsparseL5csrsmILj128ELj64ELb1ElifEEv20rocsparse_operation_T3_S2_NS_24const_host_device_scalarIT4_EEPKT2_PKS2_PKS4_PS4_lPiSA_PS2_21rocsparse_index_base_20rocsparse_fill_mode_20rocsparse_diag_type_b,comdat
	.globl	_ZN9rocsparseL5csrsmILj128ELj64ELb1ElifEEv20rocsparse_operation_T3_S2_NS_24const_host_device_scalarIT4_EEPKT2_PKS2_PKS4_PS4_lPiSA_PS2_21rocsparse_index_base_20rocsparse_fill_mode_20rocsparse_diag_type_b ; -- Begin function _ZN9rocsparseL5csrsmILj128ELj64ELb1ElifEEv20rocsparse_operation_T3_S2_NS_24const_host_device_scalarIT4_EEPKT2_PKS2_PKS4_PS4_lPiSA_PS2_21rocsparse_index_base_20rocsparse_fill_mode_20rocsparse_diag_type_b
	.p2align	8
	.type	_ZN9rocsparseL5csrsmILj128ELj64ELb1ElifEEv20rocsparse_operation_T3_S2_NS_24const_host_device_scalarIT4_EEPKT2_PKS2_PKS4_PS4_lPiSA_PS2_21rocsparse_index_base_20rocsparse_fill_mode_20rocsparse_diag_type_b,@function
_ZN9rocsparseL5csrsmILj128ELj64ELb1ElifEEv20rocsparse_operation_T3_S2_NS_24const_host_device_scalarIT4_EEPKT2_PKS2_PKS4_PS4_lPiSA_PS2_21rocsparse_index_base_20rocsparse_fill_mode_20rocsparse_diag_type_b: ; @_ZN9rocsparseL5csrsmILj128ELj64ELb1ElifEEv20rocsparse_operation_T3_S2_NS_24const_host_device_scalarIT4_EEPKT2_PKS2_PKS4_PS4_lPiSA_PS2_21rocsparse_index_base_20rocsparse_fill_mode_20rocsparse_diag_type_b
; %bb.0:
	s_clause 0x2
	s_load_b128 s[4:7], s[0:1], 0x58
	s_load_b128 s[12:15], s[0:1], 0x10
	s_load_b64 s[2:3], s[0:1], 0x48
	s_wait_kmcnt 0x0
	s_bitcmp1_b32 s7, 0
	s_cselect_b32 s7, -1, 0
	s_delay_alu instid0(SALU_CYCLE_1)
	s_and_b32 vcc_lo, exec_lo, s7
	s_cbranch_vccnz .LBB46_2
; %bb.1:
	s_load_b32 s12, s[12:13], 0x0
.LBB46_2:
	s_nop 0
	s_load_b64 s[22:23], s[0:1], 0x4
	s_bfe_u32 s9, ttmp6, 0x4000c
	s_and_b32 s8, ttmp6, 15
	s_add_co_i32 s9, s9, 1
	s_getreg_b32 s11, hwreg(HW_REG_IB_STS2, 6, 4)
	s_mul_i32 s9, ttmp9, s9
	v_mov_b32_e32 v10, 0
	s_add_co_i32 s8, s8, s9
	s_wait_kmcnt 0x0
	s_cvt_f32_u32 s7, s22
	s_sub_co_i32 s10, 0, s22
	s_delay_alu instid0(SALU_CYCLE_2) | instskip(SKIP_1) | instid1(TRANS32_DEP_1)
	v_rcp_iflag_f32_e32 v1, s7
	v_nop
	v_readfirstlane_b32 s7, v1
	s_mul_f32 s7, s7, 0x4f7ffffe
	s_delay_alu instid0(SALU_CYCLE_3) | instskip(NEXT) | instid1(SALU_CYCLE_3)
	s_cvt_u32_f32 s7, s7
	s_mul_i32 s10, s10, s7
	s_delay_alu instid0(SALU_CYCLE_1) | instskip(NEXT) | instid1(SALU_CYCLE_1)
	s_mul_hi_u32 s10, s7, s10
	s_add_co_i32 s7, s7, s10
	s_cmp_eq_u32 s11, 0
	s_cselect_b32 s8, ttmp9, s8
	s_delay_alu instid0(SALU_CYCLE_1) | instskip(NEXT) | instid1(SALU_CYCLE_1)
	s_mul_hi_u32 s7, s8, s7
	s_mul_i32 s9, s7, s22
	s_add_co_i32 s10, s7, 1
	s_sub_co_i32 s9, s8, s9
	s_delay_alu instid0(SALU_CYCLE_1)
	s_sub_co_i32 s11, s9, s22
	s_cmp_ge_u32 s9, s22
	s_cselect_b32 s7, s10, s7
	s_cselect_b32 s9, s11, s9
	s_add_co_i32 s10, s7, 1
	s_cmp_ge_u32 s9, s22
	s_cselect_b32 s13, s10, s7
	s_delay_alu instid0(SALU_CYCLE_1) | instskip(SKIP_2) | instid1(SALU_CYCLE_1)
	s_mul_i32 s7, s13, s22
	v_lshl_or_b32 v2, s13, 7, v0
	s_sub_co_i32 s8, s8, s7
	s_ashr_i32 s9, s8, 31
	s_delay_alu instid0(VALU_DEP_1) | instskip(SKIP_1) | instid1(SALU_CYCLE_1)
	v_ashrrev_i32_e32 v3, 31, v2
	s_lshl_b64 s[8:9], s[8:9], 2
	s_add_nc_u64 s[2:3], s[2:3], s[8:9]
	s_load_b128 s[8:11], s[0:1], 0x30
	s_load_b32 s20, s[2:3], 0x0
	s_wait_kmcnt 0x0
	s_ashr_i32 s21, s20, 31
	s_delay_alu instid0(SALU_CYCLE_1) | instskip(NEXT) | instid1(SALU_CYCLE_1)
	s_lshl_b64 s[2:3], s[20:21], 3
	s_add_nc_u64 s[2:3], s[14:15], s[2:3]
	s_load_b64 s[14:15], s[0:1], 0x40
	s_load_b128 s[16:19], s[2:3], 0x0
	s_wait_xcnt 0x0
	v_cmp_gt_i32_e64 s2, s23, v2
	s_mul_u64 s[22:23], s[10:11], s[20:21]
	s_and_saveexec_b32 s3, s2
	s_cbranch_execz .LBB46_4
; %bb.3:
	v_add_nc_u64_e32 v[4:5], s[22:23], v[2:3]
	s_delay_alu instid0(VALU_DEP_1)
	v_lshl_add_u64 v[4:5], v[4:5], 2, s[8:9]
	global_load_b32 v1, v[4:5], off
	s_wait_loadcnt 0x0
	v_mul_f32_e32 v10, s12, v1
.LBB46_4:
	s_or_b32 exec_lo, exec_lo, s3
	s_wait_kmcnt 0x0
	v_cmp_ge_i64_e64 s3, s[16:17], s[18:19]
	v_lshl_add_u64 v[2:3], v[2:3], 2, s[8:9]
	v_mov_b32_e32 v13, 1.0
	s_and_b32 vcc_lo, exec_lo, s3
	v_cmp_eq_u32_e64 s3, 0, v0
	s_cbranch_vccnz .LBB46_43
; %bb.5:
	s_clause 0x1
	s_load_b128 s[24:27], s[0:1], 0x20
	s_load_b64 s[8:9], s[0:1], 0x50
	v_dual_mov_b32 v1, 0 :: v_dual_lshlrev_b32 v4, 2, v0
	s_cmp_lg_u32 s6, 0
	s_mov_b32 s31, 0
	s_mov_b32 s30, s4
	s_delay_alu instid0(VALU_DEP_1)
	v_mov_b32_e32 v5, v1
	s_wait_xcnt 0x0
	v_cmp_ne_u32_e64 s0, 0, v0
	s_cselect_b32 s21, -1, 0
	v_or_b32_e32 v11, 0x200, v4
	s_add_co_i32 s28, s20, s4
	s_sub_nc_u64 s[12:13], s[16:17], s[30:31]
	s_cmp_eq_u32 s6, 0
	s_sub_nc_u64 s[16:17], s[18:19], s[30:31]
	s_cselect_b32 s1, -1, 0
	s_mov_b64 s[18:19], s[12:13]
	s_wait_kmcnt 0x0
	v_add_nc_u64_e32 v[6:7], s[24:25], v[4:5]
	v_add_nc_u64_e32 v[8:9], s[26:27], v[4:5]
	v_mov_b32_e32 v5, 1.0
	s_sub_co_i32 s13, s18, s12
	s_delay_alu instid0(SALU_CYCLE_1) | instskip(NEXT) | instid1(SALU_CYCLE_1)
	s_and_b32 s13, s13, 0x7f
	s_cmp_lg_u32 s13, 0
	s_cbranch_scc1 .LBB46_9
.LBB46_6:
	s_sub_nc_u64 s[24:25], s[16:17], s[18:19]
	v_dual_mov_b32 v12, -1.0 :: v_dual_mov_b32 v13, -1
	v_cmp_gt_i64_e32 vcc_lo, s[24:25], v[0:1]
	s_and_saveexec_b32 s24, vcc_lo
	s_cbranch_execz .LBB46_8
; %bb.7:
	s_lshl_b64 s[26:27], s[18:19], 2
	s_delay_alu instid0(SALU_CYCLE_1)
	v_add_nc_u64_e32 v[14:15], s[26:27], v[6:7]
	v_add_nc_u64_e32 v[16:17], s[26:27], v[8:9]
	global_load_b32 v13, v[14:15], off
	global_load_b32 v12, v[16:17], off
	s_wait_loadcnt 0x1
	v_subrev_nc_u32_e32 v13, s4, v13
.LBB46_8:
	s_wait_xcnt 0x0
	s_or_b32 exec_lo, exec_lo, s24
	ds_store_b32 v4, v13
	s_wait_loadcnt 0x0
	ds_store_b32 v11, v12
.LBB46_9:                               ; =>This Loop Header: Depth=1
                                        ;     Child Loop BB46_41 Depth 2
                                        ;       Child Loop BB46_42 Depth 3
	s_lshl_b32 s13, s13, 2
	s_wait_dscnt 0x0
	v_mov_b32_e32 v12, s13
	s_barrier_signal -1
	s_barrier_wait -1
	ds_load_2addr_stride64_b32 v[12:13], v12 offset1:2
	s_wait_dscnt 0x0
	v_readfirstlane_b32 s24, v12
	v_cmp_neq_f32_e32 vcc_lo, 0, v13
	s_cmp_lg_u32 s24, s20
	s_cselect_b32 s13, -1, 0
	s_delay_alu instid0(SALU_CYCLE_1) | instskip(NEXT) | instid1(SALU_CYCLE_1)
	s_or_b32 s13, s21, s13
	s_or_b32 vcc_lo, vcc_lo, s13
	v_cndmask_b32_e32 v12, 1.0, v13, vcc_lo
	s_nor_b32 s25, s0, vcc_lo
	s_delay_alu instid0(SALU_CYCLE_1)
	s_and_saveexec_b32 s13, s25
	s_cbranch_execz .LBB46_13
; %bb.10:                               ;   in Loop: Header=BB46_9 Depth=1
	v_mbcnt_lo_u32_b32 v12, exec_lo, 0
	s_mov_b32 s25, exec_lo
	s_delay_alu instid0(VALU_DEP_1)
	v_cmpx_eq_u32_e32 0, v12
	s_cbranch_execz .LBB46_12
; %bb.11:                               ;   in Loop: Header=BB46_9 Depth=1
	v_mov_b32_e32 v12, s28
	global_atomic_min_i32 v1, v12, s[8:9] scope:SCOPE_DEV
.LBB46_12:                              ;   in Loop: Header=BB46_9 Depth=1
	s_wait_xcnt 0x0
	s_or_b32 exec_lo, exec_lo, s25
	v_mov_b32_e32 v12, 1.0
.LBB46_13:                              ;   in Loop: Header=BB46_9 Depth=1
	s_or_b32 exec_lo, exec_lo, s13
	s_mov_b32 s26, -1
	s_mov_b32 s13, 0
	s_cmp_lt_i32 s5, 1
	s_mov_b32 s25, 0
                                        ; implicit-def: $vgpr13
	s_cbranch_scc0 .LBB46_20
; %bb.14:                               ;   in Loop: Header=BB46_9 Depth=1
	s_and_b32 vcc_lo, exec_lo, s26
	s_mov_b32 s26, 4
	s_cbranch_vccnz .LBB46_25
.LBB46_15:                              ;   in Loop: Header=BB46_9 Depth=1
	v_mov_b32_e32 v14, v10
	s_and_b32 vcc_lo, exec_lo, s25
	s_cbranch_vccnz .LBB46_30
.LBB46_16:                              ;   in Loop: Header=BB46_9 Depth=1
	s_and_b32 vcc_lo, exec_lo, s13
	s_cbranch_vccnz .LBB46_35
.LBB46_17:                              ;   in Loop: Header=BB46_9 Depth=1
	s_mov_b32 s13, -1
	s_cmp_gt_i32 s26, 3
	s_mov_b32 s24, -1
	s_cbranch_scc0 .LBB46_36
.LBB46_18:                              ;   in Loop: Header=BB46_9 Depth=1
	s_and_not1_b32 vcc_lo, exec_lo, s24
	s_cbranch_vccz .LBB46_37
.LBB46_19:                              ;   in Loop: Header=BB46_9 Depth=1
	s_and_not1_b32 vcc_lo, exec_lo, s13
	s_cbranch_vccnz .LBB46_38
	s_branch .LBB46_44
.LBB46_20:                              ;   in Loop: Header=BB46_9 Depth=1
	s_cmp_eq_u32 s5, 1
	s_mov_b32 s25, -1
                                        ; implicit-def: $vgpr13
	s_cbranch_scc0 .LBB46_24
; %bb.21:                               ;   in Loop: Header=BB46_9 Depth=1
	v_mov_b32_e32 v13, v5
	s_cmp_ge_i32 s24, s20
	s_mov_b32 s25, 0
	s_cbranch_scc0 .LBB46_24
; %bb.22:                               ;   in Loop: Header=BB46_9 Depth=1
	s_cmp_eq_u32 s24, s20
	s_mov_b32 s25, -1
                                        ; implicit-def: $vgpr13
	s_cbranch_scc0 .LBB46_24
; %bb.23:                               ;   in Loop: Header=BB46_9 Depth=1
	v_div_scale_f32 v13, null, v12, v12, 1.0
	s_mov_b32 s25, 0
	v_rcp_f32_e32 v14, v13
	v_nop
	s_delay_alu instid0(TRANS32_DEP_1) | instskip(NEXT) | instid1(VALU_DEP_1)
	v_fma_f32 v15, -v13, v14, 1.0
	v_fmac_f32_e32 v14, v15, v14
	v_div_scale_f32 v15, vcc_lo, 1.0, v12, 1.0
	s_delay_alu instid0(VALU_DEP_1) | instskip(NEXT) | instid1(VALU_DEP_1)
	v_mul_f32_e32 v16, v15, v14
	v_fma_f32 v17, -v13, v16, v15
	s_delay_alu instid0(VALU_DEP_1) | instskip(NEXT) | instid1(VALU_DEP_1)
	v_fmac_f32_e32 v16, v17, v14
	v_fma_f32 v13, -v13, v16, v15
	s_delay_alu instid0(VALU_DEP_1) | instskip(NEXT) | instid1(VALU_DEP_1)
	v_div_fmas_f32 v13, v13, v14, v16
	v_div_fixup_f32 v13, v13, v12, 1.0
	s_delay_alu instid0(VALU_DEP_1)
	v_cndmask_b32_e64 v13, v5, v13, s1
.LBB46_24:                              ;   in Loop: Header=BB46_9 Depth=1
	s_mov_b32 s26, 4
	s_branch .LBB46_15
.LBB46_25:                              ;   in Loop: Header=BB46_9 Depth=1
	s_cmp_eq_u32 s5, 0
	s_cbranch_scc1 .LBB46_27
; %bb.26:                               ;   in Loop: Header=BB46_9 Depth=1
	s_mov_b32 s25, -1
	s_branch .LBB46_29
.LBB46_27:                              ;   in Loop: Header=BB46_9 Depth=1
	s_cmp_le_i32 s24, s20
	s_mov_b32 s25, 0
	s_cbranch_scc0 .LBB46_29
; %bb.28:                               ;   in Loop: Header=BB46_9 Depth=1
	s_cmp_lg_u32 s24, s20
	s_mov_b32 s13, -1
	s_cselect_b32 s25, -1, 0
.LBB46_29:                              ;   in Loop: Header=BB46_9 Depth=1
	v_mov_b32_e32 v13, v5
	s_mov_b32 s26, 2
	v_mov_b32_e32 v14, v10
	s_and_b32 vcc_lo, exec_lo, s25
	s_cbranch_vccz .LBB46_16
.LBB46_30:                              ;   in Loop: Header=BB46_9 Depth=1
	s_and_saveexec_b32 s13, s3
	s_cbranch_execz .LBB46_32
; %bb.31:                               ;   in Loop: Header=BB46_9 Depth=1
	s_add_co_i32 s26, s24, s7
	s_delay_alu instid0(SALU_CYCLE_1)
	v_mov_b32_e32 v13, s26
	global_load_b32 v13, v13, s[14:15] scale_offset scope:SCOPE_DEV
	s_wait_loadcnt 0x0
	v_cmp_ne_u32_e32 vcc_lo, 0, v13
	s_cbranch_vccz .LBB46_39
.LBB46_32:                              ;   in Loop: Header=BB46_9 Depth=1
	s_wait_xcnt 0x0
	s_or_b32 exec_lo, exec_lo, s13
	v_mov_b32_e32 v14, 0
	s_wait_storecnt 0x0
	s_barrier_signal -1
	s_barrier_wait -1
	global_inv scope:SCOPE_DEV
	s_and_saveexec_b32 s13, s2
	s_cbranch_execz .LBB46_34
; %bb.33:                               ;   in Loop: Header=BB46_9 Depth=1
	s_ashr_i32 s25, s24, 31
	s_delay_alu instid0(SALU_CYCLE_1) | instskip(NEXT) | instid1(SALU_CYCLE_1)
	s_mul_u64 s[24:25], s[10:11], s[24:25]
	v_lshl_add_u64 v[14:15], s[24:25], 2, v[2:3]
	global_load_b32 v13, v[14:15], off
	s_wait_loadcnt 0x0
	v_fma_f32 v14, -v12, v13, v10
.LBB46_34:                              ;   in Loop: Header=BB46_9 Depth=1
	s_or_b32 exec_lo, exec_lo, s13
	v_mov_b32_e32 v13, v5
	s_mov_b32 s26, 0
	s_branch .LBB46_17
.LBB46_35:                              ;   in Loop: Header=BB46_9 Depth=1
	v_div_scale_f32 v13, null, v12, v12, 1.0
	v_div_scale_f32 v16, vcc_lo, 1.0, v12, 1.0
	s_mov_b32 s26, 2
	v_rcp_f32_e32 v14, v13
	v_nop
	s_delay_alu instid0(TRANS32_DEP_1) | instskip(NEXT) | instid1(VALU_DEP_1)
	v_fma_f32 v15, -v13, v14, 1.0
	v_fmac_f32_e32 v14, v15, v14
	s_delay_alu instid0(VALU_DEP_1) | instskip(NEXT) | instid1(VALU_DEP_1)
	v_mul_f32_e32 v15, v16, v14
	v_fma_f32 v17, -v13, v15, v16
	s_delay_alu instid0(VALU_DEP_1) | instskip(NEXT) | instid1(VALU_DEP_1)
	v_fmac_f32_e32 v15, v17, v14
	v_fma_f32 v13, -v13, v15, v16
	s_delay_alu instid0(VALU_DEP_1) | instskip(SKIP_1) | instid1(VALU_DEP_2)
	v_div_fmas_f32 v13, v13, v14, v15
	v_mov_b32_e32 v14, v10
	v_div_fixup_f32 v12, v13, v12, 1.0
	s_delay_alu instid0(VALU_DEP_1)
	v_cndmask_b32_e64 v13, v5, v12, s1
	s_mov_b32 s13, -1
	s_cmp_gt_i32 s26, 3
	s_mov_b32 s24, -1
	s_cbranch_scc1 .LBB46_18
.LBB46_36:                              ;   in Loop: Header=BB46_9 Depth=1
	s_cmp_eq_u32 s26, 0
	s_cselect_b32 s24, -1, 0
	s_delay_alu instid0(SALU_CYCLE_1)
	s_and_not1_b32 vcc_lo, exec_lo, s24
	s_cbranch_vccnz .LBB46_19
.LBB46_37:                              ;   in Loop: Header=BB46_9 Depth=1
	s_add_nc_u64 s[18:19], s[18:19], 1
	s_delay_alu instid0(SALU_CYCLE_1)
	v_cmp_ge_i64_e64 s13, s[18:19], s[16:17]
	s_and_not1_b32 vcc_lo, exec_lo, s13
	s_cbranch_vccz .LBB46_44
.LBB46_38:                              ;   in Loop: Header=BB46_9 Depth=1
	v_dual_mov_b32 v10, v14 :: v_dual_mov_b32 v5, v13
	s_sub_co_i32 s13, s18, s12
	s_delay_alu instid0(SALU_CYCLE_1) | instskip(NEXT) | instid1(SALU_CYCLE_1)
	s_and_b32 s13, s13, 0x7f
	s_cmp_lg_u32 s13, 0
	s_cbranch_scc1 .LBB46_9
	s_branch .LBB46_6
.LBB46_39:                              ;   in Loop: Header=BB46_9 Depth=1
	s_ashr_i32 s27, s26, 31
	s_mov_b32 s25, 0
	s_lshl_b64 s[26:27], s[26:27], 2
	s_delay_alu instid0(SALU_CYCLE_1)
	s_add_nc_u64 s[26:27], s[14:15], s[26:27]
	s_branch .LBB46_41
.LBB46_40:                              ;   in Loop: Header=BB46_41 Depth=2
	global_load_b32 v13, v1, s[26:27] scope:SCOPE_DEV
	s_cmp_lt_u32 s25, 0xf43
	s_cselect_b32 s29, -1, 0
	s_delay_alu instid0(SALU_CYCLE_1)
	s_cmp_lg_u32 s29, 0
	s_add_co_ci_u32 s25, s25, 0
	s_wait_loadcnt 0x0
	v_cmp_ne_u32_e32 vcc_lo, 0, v13
	s_cbranch_vccnz .LBB46_32
.LBB46_41:                              ;   Parent Loop BB46_9 Depth=1
                                        ; =>  This Loop Header: Depth=2
                                        ;       Child Loop BB46_42 Depth 3
	s_cmp_eq_u32 s25, 0
	s_mov_b32 s29, s25
	s_cbranch_scc1 .LBB46_40
.LBB46_42:                              ;   Parent Loop BB46_9 Depth=1
                                        ;     Parent Loop BB46_41 Depth=2
                                        ; =>    This Inner Loop Header: Depth=3
	s_add_co_i32 s29, s29, -1
	s_sleep 1
	s_cmp_eq_u32 s29, 0
	s_cbranch_scc0 .LBB46_42
	s_branch .LBB46_40
.LBB46_43:
	v_mov_b32_e32 v14, v10
.LBB46_44:
	s_and_saveexec_b32 s0, s2
	s_cbranch_execz .LBB46_46
; %bb.45:
	s_delay_alu instid0(VALU_DEP_1) | instskip(SKIP_3) | instid1(VALU_DEP_2)
	v_mul_f32_e32 v1, v13, v14
	s_cmp_eq_u32 s6, 0
	v_lshl_add_u64 v[2:3], s[22:23], 2, v[2:3]
	s_cselect_b32 vcc_lo, -1, 0
	v_cndmask_b32_e32 v1, v14, v1, vcc_lo
	global_store_b32 v[2:3], v1, off
.LBB46_46:
	s_wait_xcnt 0x0
	s_or_b32 exec_lo, exec_lo, s0
	global_wb scope:SCOPE_DEV
	s_wait_loadcnt 0x0
	s_wait_storecnt 0x0
	global_inv scope:SCOPE_DEV
	s_wait_loadcnt 0x0
	s_barrier_signal -1
	s_barrier_wait -1
	s_mov_b32 s0, exec_lo
	v_cmpx_eq_u32_e32 0, v0
	s_cbranch_execz .LBB46_48
; %bb.47:
	s_add_co_i32 s0, s20, s7
	s_delay_alu instid0(SALU_CYCLE_1)
	v_dual_mov_b32 v0, 1 :: v_dual_mov_b32 v1, s0
	global_store_b32 v1, v0, s[14:15] scale_offset scope:SCOPE_DEV
.LBB46_48:
	s_endpgm
	.section	.rodata,"a",@progbits
	.p2align	6, 0x0
	.amdhsa_kernel _ZN9rocsparseL5csrsmILj128ELj64ELb1ElifEEv20rocsparse_operation_T3_S2_NS_24const_host_device_scalarIT4_EEPKT2_PKS2_PKS4_PS4_lPiSA_PS2_21rocsparse_index_base_20rocsparse_fill_mode_20rocsparse_diag_type_b
		.amdhsa_group_segment_fixed_size 1024
		.amdhsa_private_segment_fixed_size 0
		.amdhsa_kernarg_size 104
		.amdhsa_user_sgpr_count 2
		.amdhsa_user_sgpr_dispatch_ptr 0
		.amdhsa_user_sgpr_queue_ptr 0
		.amdhsa_user_sgpr_kernarg_segment_ptr 1
		.amdhsa_user_sgpr_dispatch_id 0
		.amdhsa_user_sgpr_kernarg_preload_length 0
		.amdhsa_user_sgpr_kernarg_preload_offset 0
		.amdhsa_user_sgpr_private_segment_size 0
		.amdhsa_wavefront_size32 1
		.amdhsa_uses_dynamic_stack 0
		.amdhsa_enable_private_segment 0
		.amdhsa_system_sgpr_workgroup_id_x 1
		.amdhsa_system_sgpr_workgroup_id_y 0
		.amdhsa_system_sgpr_workgroup_id_z 0
		.amdhsa_system_sgpr_workgroup_info 0
		.amdhsa_system_vgpr_workitem_id 0
		.amdhsa_next_free_vgpr 18
		.amdhsa_next_free_sgpr 32
		.amdhsa_named_barrier_count 0
		.amdhsa_reserve_vcc 1
		.amdhsa_float_round_mode_32 0
		.amdhsa_float_round_mode_16_64 0
		.amdhsa_float_denorm_mode_32 3
		.amdhsa_float_denorm_mode_16_64 3
		.amdhsa_fp16_overflow 0
		.amdhsa_memory_ordered 1
		.amdhsa_forward_progress 1
		.amdhsa_inst_pref_size 14
		.amdhsa_round_robin_scheduling 0
		.amdhsa_exception_fp_ieee_invalid_op 0
		.amdhsa_exception_fp_denorm_src 0
		.amdhsa_exception_fp_ieee_div_zero 0
		.amdhsa_exception_fp_ieee_overflow 0
		.amdhsa_exception_fp_ieee_underflow 0
		.amdhsa_exception_fp_ieee_inexact 0
		.amdhsa_exception_int_div_zero 0
	.end_amdhsa_kernel
	.section	.text._ZN9rocsparseL5csrsmILj128ELj64ELb1ElifEEv20rocsparse_operation_T3_S2_NS_24const_host_device_scalarIT4_EEPKT2_PKS2_PKS4_PS4_lPiSA_PS2_21rocsparse_index_base_20rocsparse_fill_mode_20rocsparse_diag_type_b,"axG",@progbits,_ZN9rocsparseL5csrsmILj128ELj64ELb1ElifEEv20rocsparse_operation_T3_S2_NS_24const_host_device_scalarIT4_EEPKT2_PKS2_PKS4_PS4_lPiSA_PS2_21rocsparse_index_base_20rocsparse_fill_mode_20rocsparse_diag_type_b,comdat
.Lfunc_end46:
	.size	_ZN9rocsparseL5csrsmILj128ELj64ELb1ElifEEv20rocsparse_operation_T3_S2_NS_24const_host_device_scalarIT4_EEPKT2_PKS2_PKS4_PS4_lPiSA_PS2_21rocsparse_index_base_20rocsparse_fill_mode_20rocsparse_diag_type_b, .Lfunc_end46-_ZN9rocsparseL5csrsmILj128ELj64ELb1ElifEEv20rocsparse_operation_T3_S2_NS_24const_host_device_scalarIT4_EEPKT2_PKS2_PKS4_PS4_lPiSA_PS2_21rocsparse_index_base_20rocsparse_fill_mode_20rocsparse_diag_type_b
                                        ; -- End function
	.set _ZN9rocsparseL5csrsmILj128ELj64ELb1ElifEEv20rocsparse_operation_T3_S2_NS_24const_host_device_scalarIT4_EEPKT2_PKS2_PKS4_PS4_lPiSA_PS2_21rocsparse_index_base_20rocsparse_fill_mode_20rocsparse_diag_type_b.num_vgpr, 18
	.set _ZN9rocsparseL5csrsmILj128ELj64ELb1ElifEEv20rocsparse_operation_T3_S2_NS_24const_host_device_scalarIT4_EEPKT2_PKS2_PKS4_PS4_lPiSA_PS2_21rocsparse_index_base_20rocsparse_fill_mode_20rocsparse_diag_type_b.num_agpr, 0
	.set _ZN9rocsparseL5csrsmILj128ELj64ELb1ElifEEv20rocsparse_operation_T3_S2_NS_24const_host_device_scalarIT4_EEPKT2_PKS2_PKS4_PS4_lPiSA_PS2_21rocsparse_index_base_20rocsparse_fill_mode_20rocsparse_diag_type_b.numbered_sgpr, 32
	.set _ZN9rocsparseL5csrsmILj128ELj64ELb1ElifEEv20rocsparse_operation_T3_S2_NS_24const_host_device_scalarIT4_EEPKT2_PKS2_PKS4_PS4_lPiSA_PS2_21rocsparse_index_base_20rocsparse_fill_mode_20rocsparse_diag_type_b.num_named_barrier, 0
	.set _ZN9rocsparseL5csrsmILj128ELj64ELb1ElifEEv20rocsparse_operation_T3_S2_NS_24const_host_device_scalarIT4_EEPKT2_PKS2_PKS4_PS4_lPiSA_PS2_21rocsparse_index_base_20rocsparse_fill_mode_20rocsparse_diag_type_b.private_seg_size, 0
	.set _ZN9rocsparseL5csrsmILj128ELj64ELb1ElifEEv20rocsparse_operation_T3_S2_NS_24const_host_device_scalarIT4_EEPKT2_PKS2_PKS4_PS4_lPiSA_PS2_21rocsparse_index_base_20rocsparse_fill_mode_20rocsparse_diag_type_b.uses_vcc, 1
	.set _ZN9rocsparseL5csrsmILj128ELj64ELb1ElifEEv20rocsparse_operation_T3_S2_NS_24const_host_device_scalarIT4_EEPKT2_PKS2_PKS4_PS4_lPiSA_PS2_21rocsparse_index_base_20rocsparse_fill_mode_20rocsparse_diag_type_b.uses_flat_scratch, 0
	.set _ZN9rocsparseL5csrsmILj128ELj64ELb1ElifEEv20rocsparse_operation_T3_S2_NS_24const_host_device_scalarIT4_EEPKT2_PKS2_PKS4_PS4_lPiSA_PS2_21rocsparse_index_base_20rocsparse_fill_mode_20rocsparse_diag_type_b.has_dyn_sized_stack, 0
	.set _ZN9rocsparseL5csrsmILj128ELj64ELb1ElifEEv20rocsparse_operation_T3_S2_NS_24const_host_device_scalarIT4_EEPKT2_PKS2_PKS4_PS4_lPiSA_PS2_21rocsparse_index_base_20rocsparse_fill_mode_20rocsparse_diag_type_b.has_recursion, 0
	.set _ZN9rocsparseL5csrsmILj128ELj64ELb1ElifEEv20rocsparse_operation_T3_S2_NS_24const_host_device_scalarIT4_EEPKT2_PKS2_PKS4_PS4_lPiSA_PS2_21rocsparse_index_base_20rocsparse_fill_mode_20rocsparse_diag_type_b.has_indirect_call, 0
	.section	.AMDGPU.csdata,"",@progbits
; Kernel info:
; codeLenInByte = 1704
; TotalNumSgprs: 34
; NumVgprs: 18
; ScratchSize: 0
; MemoryBound: 0
; FloatMode: 240
; IeeeMode: 1
; LDSByteSize: 1024 bytes/workgroup (compile time only)
; SGPRBlocks: 0
; VGPRBlocks: 1
; NumSGPRsForWavesPerEU: 34
; NumVGPRsForWavesPerEU: 18
; NamedBarCnt: 0
; Occupancy: 16
; WaveLimiterHint : 1
; COMPUTE_PGM_RSRC2:SCRATCH_EN: 0
; COMPUTE_PGM_RSRC2:USER_SGPR: 2
; COMPUTE_PGM_RSRC2:TRAP_HANDLER: 0
; COMPUTE_PGM_RSRC2:TGID_X_EN: 1
; COMPUTE_PGM_RSRC2:TGID_Y_EN: 0
; COMPUTE_PGM_RSRC2:TGID_Z_EN: 0
; COMPUTE_PGM_RSRC2:TIDIG_COMP_CNT: 0
	.section	.text._ZN9rocsparseL5csrsmILj128ELj64ELb0ElifEEv20rocsparse_operation_T3_S2_NS_24const_host_device_scalarIT4_EEPKT2_PKS2_PKS4_PS4_lPiSA_PS2_21rocsparse_index_base_20rocsparse_fill_mode_20rocsparse_diag_type_b,"axG",@progbits,_ZN9rocsparseL5csrsmILj128ELj64ELb0ElifEEv20rocsparse_operation_T3_S2_NS_24const_host_device_scalarIT4_EEPKT2_PKS2_PKS4_PS4_lPiSA_PS2_21rocsparse_index_base_20rocsparse_fill_mode_20rocsparse_diag_type_b,comdat
	.globl	_ZN9rocsparseL5csrsmILj128ELj64ELb0ElifEEv20rocsparse_operation_T3_S2_NS_24const_host_device_scalarIT4_EEPKT2_PKS2_PKS4_PS4_lPiSA_PS2_21rocsparse_index_base_20rocsparse_fill_mode_20rocsparse_diag_type_b ; -- Begin function _ZN9rocsparseL5csrsmILj128ELj64ELb0ElifEEv20rocsparse_operation_T3_S2_NS_24const_host_device_scalarIT4_EEPKT2_PKS2_PKS4_PS4_lPiSA_PS2_21rocsparse_index_base_20rocsparse_fill_mode_20rocsparse_diag_type_b
	.p2align	8
	.type	_ZN9rocsparseL5csrsmILj128ELj64ELb0ElifEEv20rocsparse_operation_T3_S2_NS_24const_host_device_scalarIT4_EEPKT2_PKS2_PKS4_PS4_lPiSA_PS2_21rocsparse_index_base_20rocsparse_fill_mode_20rocsparse_diag_type_b,@function
_ZN9rocsparseL5csrsmILj128ELj64ELb0ElifEEv20rocsparse_operation_T3_S2_NS_24const_host_device_scalarIT4_EEPKT2_PKS2_PKS4_PS4_lPiSA_PS2_21rocsparse_index_base_20rocsparse_fill_mode_20rocsparse_diag_type_b: ; @_ZN9rocsparseL5csrsmILj128ELj64ELb0ElifEEv20rocsparse_operation_T3_S2_NS_24const_host_device_scalarIT4_EEPKT2_PKS2_PKS4_PS4_lPiSA_PS2_21rocsparse_index_base_20rocsparse_fill_mode_20rocsparse_diag_type_b
; %bb.0:
	s_clause 0x2
	s_load_b128 s[4:7], s[0:1], 0x58
	s_load_b128 s[12:15], s[0:1], 0x10
	s_load_b64 s[2:3], s[0:1], 0x48
	s_wait_kmcnt 0x0
	s_bitcmp1_b32 s7, 0
	s_cselect_b32 s7, -1, 0
	s_delay_alu instid0(SALU_CYCLE_1)
	s_and_b32 vcc_lo, exec_lo, s7
	s_cbranch_vccnz .LBB47_2
; %bb.1:
	s_load_b32 s12, s[12:13], 0x0
.LBB47_2:
	s_nop 0
	s_load_b64 s[22:23], s[0:1], 0x4
	s_bfe_u32 s9, ttmp6, 0x4000c
	s_and_b32 s8, ttmp6, 15
	s_add_co_i32 s9, s9, 1
	s_getreg_b32 s11, hwreg(HW_REG_IB_STS2, 6, 4)
	s_mul_i32 s9, ttmp9, s9
	v_mov_b32_e32 v10, 0
	s_add_co_i32 s8, s8, s9
	s_wait_kmcnt 0x0
	s_cvt_f32_u32 s7, s22
	s_sub_co_i32 s10, 0, s22
	s_delay_alu instid0(SALU_CYCLE_2) | instskip(SKIP_1) | instid1(TRANS32_DEP_1)
	v_rcp_iflag_f32_e32 v1, s7
	v_nop
	v_readfirstlane_b32 s7, v1
	s_mul_f32 s7, s7, 0x4f7ffffe
	s_delay_alu instid0(SALU_CYCLE_3) | instskip(NEXT) | instid1(SALU_CYCLE_3)
	s_cvt_u32_f32 s7, s7
	s_mul_i32 s10, s10, s7
	s_delay_alu instid0(SALU_CYCLE_1) | instskip(NEXT) | instid1(SALU_CYCLE_1)
	s_mul_hi_u32 s10, s7, s10
	s_add_co_i32 s7, s7, s10
	s_cmp_eq_u32 s11, 0
	s_cselect_b32 s8, ttmp9, s8
	s_delay_alu instid0(SALU_CYCLE_1) | instskip(NEXT) | instid1(SALU_CYCLE_1)
	s_mul_hi_u32 s7, s8, s7
	s_mul_i32 s9, s7, s22
	s_add_co_i32 s10, s7, 1
	s_sub_co_i32 s9, s8, s9
	s_delay_alu instid0(SALU_CYCLE_1)
	s_sub_co_i32 s11, s9, s22
	s_cmp_ge_u32 s9, s22
	s_cselect_b32 s7, s10, s7
	s_cselect_b32 s9, s11, s9
	s_add_co_i32 s10, s7, 1
	s_cmp_ge_u32 s9, s22
	s_cselect_b32 s13, s10, s7
	s_delay_alu instid0(SALU_CYCLE_1) | instskip(SKIP_2) | instid1(SALU_CYCLE_1)
	s_mul_i32 s7, s13, s22
	v_lshl_or_b32 v2, s13, 7, v0
	s_sub_co_i32 s8, s8, s7
	s_ashr_i32 s9, s8, 31
	s_delay_alu instid0(VALU_DEP_1) | instskip(SKIP_1) | instid1(SALU_CYCLE_1)
	v_ashrrev_i32_e32 v3, 31, v2
	s_lshl_b64 s[8:9], s[8:9], 2
	s_add_nc_u64 s[2:3], s[2:3], s[8:9]
	s_load_b128 s[8:11], s[0:1], 0x30
	s_load_b32 s20, s[2:3], 0x0
	s_wait_kmcnt 0x0
	s_ashr_i32 s21, s20, 31
	s_delay_alu instid0(SALU_CYCLE_1) | instskip(NEXT) | instid1(SALU_CYCLE_1)
	s_lshl_b64 s[2:3], s[20:21], 3
	s_add_nc_u64 s[2:3], s[14:15], s[2:3]
	s_load_b64 s[14:15], s[0:1], 0x40
	s_load_b128 s[16:19], s[2:3], 0x0
	s_wait_xcnt 0x0
	v_cmp_gt_i32_e64 s2, s23, v2
	s_mul_u64 s[22:23], s[10:11], s[20:21]
	s_and_saveexec_b32 s3, s2
	s_cbranch_execz .LBB47_4
; %bb.3:
	v_add_nc_u64_e32 v[4:5], s[22:23], v[2:3]
	s_delay_alu instid0(VALU_DEP_1)
	v_lshl_add_u64 v[4:5], v[4:5], 2, s[8:9]
	global_load_b32 v1, v[4:5], off
	s_wait_loadcnt 0x0
	v_mul_f32_e32 v10, s12, v1
.LBB47_4:
	s_or_b32 exec_lo, exec_lo, s3
	s_wait_kmcnt 0x0
	v_cmp_ge_i64_e64 s3, s[16:17], s[18:19]
	v_lshl_add_u64 v[2:3], v[2:3], 2, s[8:9]
	v_mov_b32_e32 v13, 1.0
	s_and_b32 vcc_lo, exec_lo, s3
	v_cmp_eq_u32_e64 s3, 0, v0
	s_cbranch_vccnz .LBB47_41
; %bb.5:
	s_clause 0x1
	s_load_b128 s[24:27], s[0:1], 0x20
	s_load_b64 s[8:9], s[0:1], 0x50
	v_dual_mov_b32 v1, 0 :: v_dual_lshlrev_b32 v4, 2, v0
	s_cmp_lg_u32 s6, 0
	s_mov_b32 s31, 0
	s_mov_b32 s30, s4
	s_delay_alu instid0(VALU_DEP_1)
	v_mov_b32_e32 v5, v1
	s_wait_xcnt 0x0
	v_cmp_ne_u32_e64 s0, 0, v0
	s_cselect_b32 s21, -1, 0
	v_or_b32_e32 v11, 0x200, v4
	s_add_co_i32 s28, s20, s4
	s_sub_nc_u64 s[12:13], s[16:17], s[30:31]
	s_cmp_eq_u32 s6, 0
	s_sub_nc_u64 s[16:17], s[18:19], s[30:31]
	s_cselect_b32 s1, -1, 0
	s_mov_b64 s[18:19], s[12:13]
	s_wait_kmcnt 0x0
	v_add_nc_u64_e32 v[6:7], s[24:25], v[4:5]
	v_add_nc_u64_e32 v[8:9], s[26:27], v[4:5]
	v_mov_b32_e32 v5, 1.0
	s_sub_co_i32 s13, s18, s12
	s_delay_alu instid0(SALU_CYCLE_1) | instskip(NEXT) | instid1(SALU_CYCLE_1)
	s_and_b32 s13, s13, 0x7f
	s_cmp_lg_u32 s13, 0
	s_cbranch_scc1 .LBB47_9
.LBB47_6:
	s_sub_nc_u64 s[24:25], s[16:17], s[18:19]
	v_dual_mov_b32 v12, -1.0 :: v_dual_mov_b32 v13, -1
	v_cmp_gt_i64_e32 vcc_lo, s[24:25], v[0:1]
	s_and_saveexec_b32 s24, vcc_lo
	s_cbranch_execz .LBB47_8
; %bb.7:
	s_lshl_b64 s[26:27], s[18:19], 2
	s_delay_alu instid0(SALU_CYCLE_1)
	v_add_nc_u64_e32 v[14:15], s[26:27], v[6:7]
	v_add_nc_u64_e32 v[16:17], s[26:27], v[8:9]
	global_load_b32 v13, v[14:15], off
	global_load_b32 v12, v[16:17], off
	s_wait_loadcnt 0x1
	v_subrev_nc_u32_e32 v13, s4, v13
.LBB47_8:
	s_wait_xcnt 0x0
	s_or_b32 exec_lo, exec_lo, s24
	ds_store_b32 v4, v13
	s_wait_loadcnt 0x0
	ds_store_b32 v11, v12
.LBB47_9:                               ; =>This Loop Header: Depth=1
                                        ;     Child Loop BB47_33 Depth 2
	s_lshl_b32 s13, s13, 2
	s_wait_dscnt 0x0
	v_mov_b32_e32 v12, s13
	s_barrier_signal -1
	s_barrier_wait -1
	ds_load_2addr_stride64_b32 v[12:13], v12 offset1:2
	s_wait_dscnt 0x0
	v_readfirstlane_b32 s24, v12
	v_cmp_neq_f32_e32 vcc_lo, 0, v13
	s_cmp_lg_u32 s24, s20
	s_cselect_b32 s13, -1, 0
	s_delay_alu instid0(SALU_CYCLE_1) | instskip(NEXT) | instid1(SALU_CYCLE_1)
	s_or_b32 s13, s21, s13
	s_or_b32 vcc_lo, vcc_lo, s13
	v_cndmask_b32_e32 v12, 1.0, v13, vcc_lo
	s_nor_b32 s25, s0, vcc_lo
	s_delay_alu instid0(SALU_CYCLE_1)
	s_and_saveexec_b32 s13, s25
	s_cbranch_execz .LBB47_13
; %bb.10:                               ;   in Loop: Header=BB47_9 Depth=1
	v_mbcnt_lo_u32_b32 v12, exec_lo, 0
	s_mov_b32 s25, exec_lo
	s_delay_alu instid0(VALU_DEP_1)
	v_cmpx_eq_u32_e32 0, v12
	s_cbranch_execz .LBB47_12
; %bb.11:                               ;   in Loop: Header=BB47_9 Depth=1
	v_mov_b32_e32 v12, s28
	global_atomic_min_i32 v1, v12, s[8:9] scope:SCOPE_DEV
.LBB47_12:                              ;   in Loop: Header=BB47_9 Depth=1
	s_wait_xcnt 0x0
	s_or_b32 exec_lo, exec_lo, s25
	v_mov_b32_e32 v12, 1.0
.LBB47_13:                              ;   in Loop: Header=BB47_9 Depth=1
	s_or_b32 exec_lo, exec_lo, s13
	s_mov_b32 s26, -1
	s_mov_b32 s13, 0
	s_cmp_lt_i32 s5, 1
	s_mov_b32 s25, 0
                                        ; implicit-def: $vgpr13
	s_cbranch_scc0 .LBB47_20
; %bb.14:                               ;   in Loop: Header=BB47_9 Depth=1
	s_and_b32 vcc_lo, exec_lo, s26
	s_mov_b32 s26, 4
	s_cbranch_vccnz .LBB47_25
.LBB47_15:                              ;   in Loop: Header=BB47_9 Depth=1
	v_mov_b32_e32 v14, v10
	s_and_b32 vcc_lo, exec_lo, s25
	s_cbranch_vccnz .LBB47_30
.LBB47_16:                              ;   in Loop: Header=BB47_9 Depth=1
	s_and_b32 vcc_lo, exec_lo, s13
	s_cbranch_vccnz .LBB47_37
.LBB47_17:                              ;   in Loop: Header=BB47_9 Depth=1
	s_mov_b32 s13, -1
	s_cmp_gt_i32 s26, 3
	s_mov_b32 s24, -1
	s_cbranch_scc0 .LBB47_38
.LBB47_18:                              ;   in Loop: Header=BB47_9 Depth=1
	s_and_not1_b32 vcc_lo, exec_lo, s24
	s_cbranch_vccz .LBB47_39
.LBB47_19:                              ;   in Loop: Header=BB47_9 Depth=1
	s_and_not1_b32 vcc_lo, exec_lo, s13
	s_cbranch_vccnz .LBB47_40
	s_branch .LBB47_42
.LBB47_20:                              ;   in Loop: Header=BB47_9 Depth=1
	s_cmp_eq_u32 s5, 1
	s_mov_b32 s25, -1
                                        ; implicit-def: $vgpr13
	s_cbranch_scc0 .LBB47_24
; %bb.21:                               ;   in Loop: Header=BB47_9 Depth=1
	v_mov_b32_e32 v13, v5
	s_cmp_ge_i32 s24, s20
	s_mov_b32 s25, 0
	s_cbranch_scc0 .LBB47_24
; %bb.22:                               ;   in Loop: Header=BB47_9 Depth=1
	s_cmp_eq_u32 s24, s20
	s_mov_b32 s25, -1
                                        ; implicit-def: $vgpr13
	s_cbranch_scc0 .LBB47_24
; %bb.23:                               ;   in Loop: Header=BB47_9 Depth=1
	v_div_scale_f32 v13, null, v12, v12, 1.0
	s_mov_b32 s25, 0
	v_rcp_f32_e32 v14, v13
	v_nop
	s_delay_alu instid0(TRANS32_DEP_1) | instskip(NEXT) | instid1(VALU_DEP_1)
	v_fma_f32 v15, -v13, v14, 1.0
	v_fmac_f32_e32 v14, v15, v14
	v_div_scale_f32 v15, vcc_lo, 1.0, v12, 1.0
	s_delay_alu instid0(VALU_DEP_1) | instskip(NEXT) | instid1(VALU_DEP_1)
	v_mul_f32_e32 v16, v15, v14
	v_fma_f32 v17, -v13, v16, v15
	s_delay_alu instid0(VALU_DEP_1) | instskip(NEXT) | instid1(VALU_DEP_1)
	v_fmac_f32_e32 v16, v17, v14
	v_fma_f32 v13, -v13, v16, v15
	s_delay_alu instid0(VALU_DEP_1) | instskip(NEXT) | instid1(VALU_DEP_1)
	v_div_fmas_f32 v13, v13, v14, v16
	v_div_fixup_f32 v13, v13, v12, 1.0
	s_delay_alu instid0(VALU_DEP_1)
	v_cndmask_b32_e64 v13, v5, v13, s1
.LBB47_24:                              ;   in Loop: Header=BB47_9 Depth=1
	s_mov_b32 s26, 4
	s_branch .LBB47_15
.LBB47_25:                              ;   in Loop: Header=BB47_9 Depth=1
	s_cmp_eq_u32 s5, 0
	s_cbranch_scc1 .LBB47_27
; %bb.26:                               ;   in Loop: Header=BB47_9 Depth=1
	s_mov_b32 s25, -1
	s_branch .LBB47_29
.LBB47_27:                              ;   in Loop: Header=BB47_9 Depth=1
	s_cmp_le_i32 s24, s20
	s_mov_b32 s25, 0
	s_cbranch_scc0 .LBB47_29
; %bb.28:                               ;   in Loop: Header=BB47_9 Depth=1
	s_cmp_lg_u32 s24, s20
	s_mov_b32 s13, -1
	s_cselect_b32 s25, -1, 0
.LBB47_29:                              ;   in Loop: Header=BB47_9 Depth=1
	v_mov_b32_e32 v13, v5
	s_mov_b32 s26, 2
	v_mov_b32_e32 v14, v10
	s_and_b32 vcc_lo, exec_lo, s25
	s_cbranch_vccz .LBB47_16
.LBB47_30:                              ;   in Loop: Header=BB47_9 Depth=1
	s_and_saveexec_b32 s13, s3
	s_cbranch_execz .LBB47_34
; %bb.31:                               ;   in Loop: Header=BB47_9 Depth=1
	s_add_co_i32 s26, s24, s7
	s_delay_alu instid0(SALU_CYCLE_1)
	v_mov_b32_e32 v13, s26
	global_load_b32 v13, v13, s[14:15] scale_offset scope:SCOPE_DEV
	s_wait_loadcnt 0x0
	v_cmp_ne_u32_e32 vcc_lo, 0, v13
	s_cbranch_vccnz .LBB47_34
; %bb.32:                               ;   in Loop: Header=BB47_9 Depth=1
	s_ashr_i32 s27, s26, 31
	s_delay_alu instid0(SALU_CYCLE_1) | instskip(NEXT) | instid1(SALU_CYCLE_1)
	s_lshl_b64 s[26:27], s[26:27], 2
	s_add_nc_u64 s[26:27], s[14:15], s[26:27]
.LBB47_33:                              ;   Parent Loop BB47_9 Depth=1
                                        ; =>  This Inner Loop Header: Depth=2
	global_load_b32 v13, v1, s[26:27] scope:SCOPE_DEV
	s_wait_loadcnt 0x0
	v_cmp_eq_u32_e32 vcc_lo, 0, v13
	s_cbranch_vccnz .LBB47_33
.LBB47_34:                              ;   in Loop: Header=BB47_9 Depth=1
	s_wait_xcnt 0x0
	s_or_b32 exec_lo, exec_lo, s13
	v_mov_b32_e32 v14, 0
	s_wait_storecnt 0x0
	s_barrier_signal -1
	s_barrier_wait -1
	global_inv scope:SCOPE_DEV
	s_and_saveexec_b32 s13, s2
	s_cbranch_execz .LBB47_36
; %bb.35:                               ;   in Loop: Header=BB47_9 Depth=1
	s_ashr_i32 s25, s24, 31
	s_delay_alu instid0(SALU_CYCLE_1) | instskip(NEXT) | instid1(SALU_CYCLE_1)
	s_mul_u64 s[24:25], s[10:11], s[24:25]
	v_lshl_add_u64 v[14:15], s[24:25], 2, v[2:3]
	global_load_b32 v13, v[14:15], off
	s_wait_loadcnt 0x0
	v_fma_f32 v14, -v12, v13, v10
.LBB47_36:                              ;   in Loop: Header=BB47_9 Depth=1
	s_or_b32 exec_lo, exec_lo, s13
	v_mov_b32_e32 v13, v5
	s_mov_b32 s26, 0
	s_branch .LBB47_17
.LBB47_37:                              ;   in Loop: Header=BB47_9 Depth=1
	v_div_scale_f32 v13, null, v12, v12, 1.0
	v_div_scale_f32 v16, vcc_lo, 1.0, v12, 1.0
	s_mov_b32 s26, 2
	v_rcp_f32_e32 v14, v13
	v_nop
	s_delay_alu instid0(TRANS32_DEP_1) | instskip(NEXT) | instid1(VALU_DEP_1)
	v_fma_f32 v15, -v13, v14, 1.0
	v_fmac_f32_e32 v14, v15, v14
	s_delay_alu instid0(VALU_DEP_1) | instskip(NEXT) | instid1(VALU_DEP_1)
	v_mul_f32_e32 v15, v16, v14
	v_fma_f32 v17, -v13, v15, v16
	s_delay_alu instid0(VALU_DEP_1) | instskip(NEXT) | instid1(VALU_DEP_1)
	v_fmac_f32_e32 v15, v17, v14
	v_fma_f32 v13, -v13, v15, v16
	s_delay_alu instid0(VALU_DEP_1) | instskip(SKIP_1) | instid1(VALU_DEP_2)
	v_div_fmas_f32 v13, v13, v14, v15
	v_mov_b32_e32 v14, v10
	v_div_fixup_f32 v12, v13, v12, 1.0
	s_delay_alu instid0(VALU_DEP_1)
	v_cndmask_b32_e64 v13, v5, v12, s1
	s_mov_b32 s13, -1
	s_cmp_gt_i32 s26, 3
	s_mov_b32 s24, -1
	s_cbranch_scc1 .LBB47_18
.LBB47_38:                              ;   in Loop: Header=BB47_9 Depth=1
	s_cmp_eq_u32 s26, 0
	s_cselect_b32 s24, -1, 0
	s_delay_alu instid0(SALU_CYCLE_1)
	s_and_not1_b32 vcc_lo, exec_lo, s24
	s_cbranch_vccnz .LBB47_19
.LBB47_39:                              ;   in Loop: Header=BB47_9 Depth=1
	s_add_nc_u64 s[18:19], s[18:19], 1
	s_delay_alu instid0(SALU_CYCLE_1)
	v_cmp_ge_i64_e64 s13, s[18:19], s[16:17]
	s_and_not1_b32 vcc_lo, exec_lo, s13
	s_cbranch_vccz .LBB47_42
.LBB47_40:                              ;   in Loop: Header=BB47_9 Depth=1
	v_dual_mov_b32 v10, v14 :: v_dual_mov_b32 v5, v13
	s_sub_co_i32 s13, s18, s12
	s_delay_alu instid0(SALU_CYCLE_1) | instskip(NEXT) | instid1(SALU_CYCLE_1)
	s_and_b32 s13, s13, 0x7f
	s_cmp_lg_u32 s13, 0
	s_cbranch_scc1 .LBB47_9
	s_branch .LBB47_6
.LBB47_41:
	v_mov_b32_e32 v14, v10
.LBB47_42:
	s_and_saveexec_b32 s0, s2
	s_cbranch_execz .LBB47_44
; %bb.43:
	s_delay_alu instid0(VALU_DEP_1) | instskip(SKIP_3) | instid1(VALU_DEP_2)
	v_mul_f32_e32 v1, v13, v14
	s_cmp_eq_u32 s6, 0
	v_lshl_add_u64 v[2:3], s[22:23], 2, v[2:3]
	s_cselect_b32 vcc_lo, -1, 0
	v_cndmask_b32_e32 v1, v14, v1, vcc_lo
	global_store_b32 v[2:3], v1, off
.LBB47_44:
	s_wait_xcnt 0x0
	s_or_b32 exec_lo, exec_lo, s0
	global_wb scope:SCOPE_DEV
	s_wait_loadcnt 0x0
	s_wait_storecnt 0x0
	global_inv scope:SCOPE_DEV
	s_wait_loadcnt 0x0
	s_barrier_signal -1
	s_barrier_wait -1
	s_mov_b32 s0, exec_lo
	v_cmpx_eq_u32_e32 0, v0
	s_cbranch_execz .LBB47_46
; %bb.45:
	s_add_co_i32 s0, s20, s7
	s_delay_alu instid0(SALU_CYCLE_1)
	v_dual_mov_b32 v0, 1 :: v_dual_mov_b32 v1, s0
	global_store_b32 v1, v0, s[14:15] scale_offset scope:SCOPE_DEV
.LBB47_46:
	s_endpgm
	.section	.rodata,"a",@progbits
	.p2align	6, 0x0
	.amdhsa_kernel _ZN9rocsparseL5csrsmILj128ELj64ELb0ElifEEv20rocsparse_operation_T3_S2_NS_24const_host_device_scalarIT4_EEPKT2_PKS2_PKS4_PS4_lPiSA_PS2_21rocsparse_index_base_20rocsparse_fill_mode_20rocsparse_diag_type_b
		.amdhsa_group_segment_fixed_size 1024
		.amdhsa_private_segment_fixed_size 0
		.amdhsa_kernarg_size 104
		.amdhsa_user_sgpr_count 2
		.amdhsa_user_sgpr_dispatch_ptr 0
		.amdhsa_user_sgpr_queue_ptr 0
		.amdhsa_user_sgpr_kernarg_segment_ptr 1
		.amdhsa_user_sgpr_dispatch_id 0
		.amdhsa_user_sgpr_kernarg_preload_length 0
		.amdhsa_user_sgpr_kernarg_preload_offset 0
		.amdhsa_user_sgpr_private_segment_size 0
		.amdhsa_wavefront_size32 1
		.amdhsa_uses_dynamic_stack 0
		.amdhsa_enable_private_segment 0
		.amdhsa_system_sgpr_workgroup_id_x 1
		.amdhsa_system_sgpr_workgroup_id_y 0
		.amdhsa_system_sgpr_workgroup_id_z 0
		.amdhsa_system_sgpr_workgroup_info 0
		.amdhsa_system_vgpr_workitem_id 0
		.amdhsa_next_free_vgpr 18
		.amdhsa_next_free_sgpr 32
		.amdhsa_named_barrier_count 0
		.amdhsa_reserve_vcc 1
		.amdhsa_float_round_mode_32 0
		.amdhsa_float_round_mode_16_64 0
		.amdhsa_float_denorm_mode_32 3
		.amdhsa_float_denorm_mode_16_64 3
		.amdhsa_fp16_overflow 0
		.amdhsa_memory_ordered 1
		.amdhsa_forward_progress 1
		.amdhsa_inst_pref_size 13
		.amdhsa_round_robin_scheduling 0
		.amdhsa_exception_fp_ieee_invalid_op 0
		.amdhsa_exception_fp_denorm_src 0
		.amdhsa_exception_fp_ieee_div_zero 0
		.amdhsa_exception_fp_ieee_overflow 0
		.amdhsa_exception_fp_ieee_underflow 0
		.amdhsa_exception_fp_ieee_inexact 0
		.amdhsa_exception_int_div_zero 0
	.end_amdhsa_kernel
	.section	.text._ZN9rocsparseL5csrsmILj128ELj64ELb0ElifEEv20rocsparse_operation_T3_S2_NS_24const_host_device_scalarIT4_EEPKT2_PKS2_PKS4_PS4_lPiSA_PS2_21rocsparse_index_base_20rocsparse_fill_mode_20rocsparse_diag_type_b,"axG",@progbits,_ZN9rocsparseL5csrsmILj128ELj64ELb0ElifEEv20rocsparse_operation_T3_S2_NS_24const_host_device_scalarIT4_EEPKT2_PKS2_PKS4_PS4_lPiSA_PS2_21rocsparse_index_base_20rocsparse_fill_mode_20rocsparse_diag_type_b,comdat
.Lfunc_end47:
	.size	_ZN9rocsparseL5csrsmILj128ELj64ELb0ElifEEv20rocsparse_operation_T3_S2_NS_24const_host_device_scalarIT4_EEPKT2_PKS2_PKS4_PS4_lPiSA_PS2_21rocsparse_index_base_20rocsparse_fill_mode_20rocsparse_diag_type_b, .Lfunc_end47-_ZN9rocsparseL5csrsmILj128ELj64ELb0ElifEEv20rocsparse_operation_T3_S2_NS_24const_host_device_scalarIT4_EEPKT2_PKS2_PKS4_PS4_lPiSA_PS2_21rocsparse_index_base_20rocsparse_fill_mode_20rocsparse_diag_type_b
                                        ; -- End function
	.set _ZN9rocsparseL5csrsmILj128ELj64ELb0ElifEEv20rocsparse_operation_T3_S2_NS_24const_host_device_scalarIT4_EEPKT2_PKS2_PKS4_PS4_lPiSA_PS2_21rocsparse_index_base_20rocsparse_fill_mode_20rocsparse_diag_type_b.num_vgpr, 18
	.set _ZN9rocsparseL5csrsmILj128ELj64ELb0ElifEEv20rocsparse_operation_T3_S2_NS_24const_host_device_scalarIT4_EEPKT2_PKS2_PKS4_PS4_lPiSA_PS2_21rocsparse_index_base_20rocsparse_fill_mode_20rocsparse_diag_type_b.num_agpr, 0
	.set _ZN9rocsparseL5csrsmILj128ELj64ELb0ElifEEv20rocsparse_operation_T3_S2_NS_24const_host_device_scalarIT4_EEPKT2_PKS2_PKS4_PS4_lPiSA_PS2_21rocsparse_index_base_20rocsparse_fill_mode_20rocsparse_diag_type_b.numbered_sgpr, 32
	.set _ZN9rocsparseL5csrsmILj128ELj64ELb0ElifEEv20rocsparse_operation_T3_S2_NS_24const_host_device_scalarIT4_EEPKT2_PKS2_PKS4_PS4_lPiSA_PS2_21rocsparse_index_base_20rocsparse_fill_mode_20rocsparse_diag_type_b.num_named_barrier, 0
	.set _ZN9rocsparseL5csrsmILj128ELj64ELb0ElifEEv20rocsparse_operation_T3_S2_NS_24const_host_device_scalarIT4_EEPKT2_PKS2_PKS4_PS4_lPiSA_PS2_21rocsparse_index_base_20rocsparse_fill_mode_20rocsparse_diag_type_b.private_seg_size, 0
	.set _ZN9rocsparseL5csrsmILj128ELj64ELb0ElifEEv20rocsparse_operation_T3_S2_NS_24const_host_device_scalarIT4_EEPKT2_PKS2_PKS4_PS4_lPiSA_PS2_21rocsparse_index_base_20rocsparse_fill_mode_20rocsparse_diag_type_b.uses_vcc, 1
	.set _ZN9rocsparseL5csrsmILj128ELj64ELb0ElifEEv20rocsparse_operation_T3_S2_NS_24const_host_device_scalarIT4_EEPKT2_PKS2_PKS4_PS4_lPiSA_PS2_21rocsparse_index_base_20rocsparse_fill_mode_20rocsparse_diag_type_b.uses_flat_scratch, 0
	.set _ZN9rocsparseL5csrsmILj128ELj64ELb0ElifEEv20rocsparse_operation_T3_S2_NS_24const_host_device_scalarIT4_EEPKT2_PKS2_PKS4_PS4_lPiSA_PS2_21rocsparse_index_base_20rocsparse_fill_mode_20rocsparse_diag_type_b.has_dyn_sized_stack, 0
	.set _ZN9rocsparseL5csrsmILj128ELj64ELb0ElifEEv20rocsparse_operation_T3_S2_NS_24const_host_device_scalarIT4_EEPKT2_PKS2_PKS4_PS4_lPiSA_PS2_21rocsparse_index_base_20rocsparse_fill_mode_20rocsparse_diag_type_b.has_recursion, 0
	.set _ZN9rocsparseL5csrsmILj128ELj64ELb0ElifEEv20rocsparse_operation_T3_S2_NS_24const_host_device_scalarIT4_EEPKT2_PKS2_PKS4_PS4_lPiSA_PS2_21rocsparse_index_base_20rocsparse_fill_mode_20rocsparse_diag_type_b.has_indirect_call, 0
	.section	.AMDGPU.csdata,"",@progbits
; Kernel info:
; codeLenInByte = 1640
; TotalNumSgprs: 34
; NumVgprs: 18
; ScratchSize: 0
; MemoryBound: 0
; FloatMode: 240
; IeeeMode: 1
; LDSByteSize: 1024 bytes/workgroup (compile time only)
; SGPRBlocks: 0
; VGPRBlocks: 1
; NumSGPRsForWavesPerEU: 34
; NumVGPRsForWavesPerEU: 18
; NamedBarCnt: 0
; Occupancy: 16
; WaveLimiterHint : 1
; COMPUTE_PGM_RSRC2:SCRATCH_EN: 0
; COMPUTE_PGM_RSRC2:USER_SGPR: 2
; COMPUTE_PGM_RSRC2:TRAP_HANDLER: 0
; COMPUTE_PGM_RSRC2:TGID_X_EN: 1
; COMPUTE_PGM_RSRC2:TGID_Y_EN: 0
; COMPUTE_PGM_RSRC2:TGID_Z_EN: 0
; COMPUTE_PGM_RSRC2:TIDIG_COMP_CNT: 0
	.section	.text._ZN9rocsparseL5csrsmILj256ELj64ELb1ElifEEv20rocsparse_operation_T3_S2_NS_24const_host_device_scalarIT4_EEPKT2_PKS2_PKS4_PS4_lPiSA_PS2_21rocsparse_index_base_20rocsparse_fill_mode_20rocsparse_diag_type_b,"axG",@progbits,_ZN9rocsparseL5csrsmILj256ELj64ELb1ElifEEv20rocsparse_operation_T3_S2_NS_24const_host_device_scalarIT4_EEPKT2_PKS2_PKS4_PS4_lPiSA_PS2_21rocsparse_index_base_20rocsparse_fill_mode_20rocsparse_diag_type_b,comdat
	.globl	_ZN9rocsparseL5csrsmILj256ELj64ELb1ElifEEv20rocsparse_operation_T3_S2_NS_24const_host_device_scalarIT4_EEPKT2_PKS2_PKS4_PS4_lPiSA_PS2_21rocsparse_index_base_20rocsparse_fill_mode_20rocsparse_diag_type_b ; -- Begin function _ZN9rocsparseL5csrsmILj256ELj64ELb1ElifEEv20rocsparse_operation_T3_S2_NS_24const_host_device_scalarIT4_EEPKT2_PKS2_PKS4_PS4_lPiSA_PS2_21rocsparse_index_base_20rocsparse_fill_mode_20rocsparse_diag_type_b
	.p2align	8
	.type	_ZN9rocsparseL5csrsmILj256ELj64ELb1ElifEEv20rocsparse_operation_T3_S2_NS_24const_host_device_scalarIT4_EEPKT2_PKS2_PKS4_PS4_lPiSA_PS2_21rocsparse_index_base_20rocsparse_fill_mode_20rocsparse_diag_type_b,@function
_ZN9rocsparseL5csrsmILj256ELj64ELb1ElifEEv20rocsparse_operation_T3_S2_NS_24const_host_device_scalarIT4_EEPKT2_PKS2_PKS4_PS4_lPiSA_PS2_21rocsparse_index_base_20rocsparse_fill_mode_20rocsparse_diag_type_b: ; @_ZN9rocsparseL5csrsmILj256ELj64ELb1ElifEEv20rocsparse_operation_T3_S2_NS_24const_host_device_scalarIT4_EEPKT2_PKS2_PKS4_PS4_lPiSA_PS2_21rocsparse_index_base_20rocsparse_fill_mode_20rocsparse_diag_type_b
; %bb.0:
	s_clause 0x2
	s_load_b128 s[4:7], s[0:1], 0x58
	s_load_b128 s[12:15], s[0:1], 0x10
	s_load_b64 s[2:3], s[0:1], 0x48
	s_wait_kmcnt 0x0
	s_bitcmp1_b32 s7, 0
	s_cselect_b32 s7, -1, 0
	s_delay_alu instid0(SALU_CYCLE_1)
	s_and_b32 vcc_lo, exec_lo, s7
	s_cbranch_vccnz .LBB48_2
; %bb.1:
	s_load_b32 s12, s[12:13], 0x0
.LBB48_2:
	s_nop 0
	s_load_b64 s[22:23], s[0:1], 0x4
	s_bfe_u32 s9, ttmp6, 0x4000c
	s_and_b32 s8, ttmp6, 15
	s_add_co_i32 s9, s9, 1
	s_getreg_b32 s11, hwreg(HW_REG_IB_STS2, 6, 4)
	s_mul_i32 s9, ttmp9, s9
	v_mov_b32_e32 v10, 0
	s_add_co_i32 s8, s8, s9
	s_wait_kmcnt 0x0
	s_cvt_f32_u32 s7, s22
	s_sub_co_i32 s10, 0, s22
	s_delay_alu instid0(SALU_CYCLE_2) | instskip(SKIP_1) | instid1(TRANS32_DEP_1)
	v_rcp_iflag_f32_e32 v1, s7
	v_nop
	v_readfirstlane_b32 s7, v1
	s_mul_f32 s7, s7, 0x4f7ffffe
	s_delay_alu instid0(SALU_CYCLE_3) | instskip(NEXT) | instid1(SALU_CYCLE_3)
	s_cvt_u32_f32 s7, s7
	s_mul_i32 s10, s10, s7
	s_delay_alu instid0(SALU_CYCLE_1) | instskip(NEXT) | instid1(SALU_CYCLE_1)
	s_mul_hi_u32 s10, s7, s10
	s_add_co_i32 s7, s7, s10
	s_cmp_eq_u32 s11, 0
	s_cselect_b32 s8, ttmp9, s8
	s_delay_alu instid0(SALU_CYCLE_1) | instskip(NEXT) | instid1(SALU_CYCLE_1)
	s_mul_hi_u32 s7, s8, s7
	s_mul_i32 s9, s7, s22
	s_add_co_i32 s10, s7, 1
	s_sub_co_i32 s9, s8, s9
	s_delay_alu instid0(SALU_CYCLE_1)
	s_sub_co_i32 s11, s9, s22
	s_cmp_ge_u32 s9, s22
	s_cselect_b32 s7, s10, s7
	s_cselect_b32 s9, s11, s9
	s_add_co_i32 s10, s7, 1
	s_cmp_ge_u32 s9, s22
	s_cselect_b32 s13, s10, s7
	s_delay_alu instid0(SALU_CYCLE_1) | instskip(SKIP_2) | instid1(SALU_CYCLE_1)
	s_mul_i32 s7, s13, s22
	v_lshl_or_b32 v2, s13, 8, v0
	s_sub_co_i32 s8, s8, s7
	s_ashr_i32 s9, s8, 31
	s_delay_alu instid0(VALU_DEP_1) | instskip(SKIP_1) | instid1(SALU_CYCLE_1)
	v_ashrrev_i32_e32 v3, 31, v2
	s_lshl_b64 s[8:9], s[8:9], 2
	s_add_nc_u64 s[2:3], s[2:3], s[8:9]
	s_load_b128 s[8:11], s[0:1], 0x30
	s_load_b32 s20, s[2:3], 0x0
	s_wait_kmcnt 0x0
	s_ashr_i32 s21, s20, 31
	s_delay_alu instid0(SALU_CYCLE_1) | instskip(NEXT) | instid1(SALU_CYCLE_1)
	s_lshl_b64 s[2:3], s[20:21], 3
	s_add_nc_u64 s[2:3], s[14:15], s[2:3]
	s_load_b64 s[14:15], s[0:1], 0x40
	s_load_b128 s[16:19], s[2:3], 0x0
	s_wait_xcnt 0x0
	v_cmp_gt_i32_e64 s2, s23, v2
	s_mul_u64 s[22:23], s[10:11], s[20:21]
	s_and_saveexec_b32 s3, s2
	s_cbranch_execz .LBB48_4
; %bb.3:
	v_add_nc_u64_e32 v[4:5], s[22:23], v[2:3]
	s_delay_alu instid0(VALU_DEP_1)
	v_lshl_add_u64 v[4:5], v[4:5], 2, s[8:9]
	global_load_b32 v1, v[4:5], off
	s_wait_loadcnt 0x0
	v_mul_f32_e32 v10, s12, v1
.LBB48_4:
	s_or_b32 exec_lo, exec_lo, s3
	s_wait_kmcnt 0x0
	v_cmp_ge_i64_e64 s3, s[16:17], s[18:19]
	v_lshl_add_u64 v[2:3], v[2:3], 2, s[8:9]
	v_mov_b32_e32 v13, 1.0
	s_and_b32 vcc_lo, exec_lo, s3
	v_cmp_eq_u32_e64 s3, 0, v0
	s_cbranch_vccnz .LBB48_43
; %bb.5:
	s_clause 0x1
	s_load_b128 s[24:27], s[0:1], 0x20
	s_load_b64 s[8:9], s[0:1], 0x50
	v_dual_mov_b32 v1, 0 :: v_dual_lshlrev_b32 v4, 2, v0
	s_cmp_lg_u32 s6, 0
	s_mov_b32 s31, 0
	s_mov_b32 s30, s4
	s_delay_alu instid0(VALU_DEP_1)
	v_mov_b32_e32 v5, v1
	s_wait_xcnt 0x0
	v_cmp_ne_u32_e64 s0, 0, v0
	s_cselect_b32 s21, -1, 0
	v_or_b32_e32 v11, 0x400, v4
	s_add_co_i32 s28, s20, s4
	s_sub_nc_u64 s[12:13], s[16:17], s[30:31]
	s_cmp_eq_u32 s6, 0
	s_sub_nc_u64 s[16:17], s[18:19], s[30:31]
	s_cselect_b32 s1, -1, 0
	s_mov_b64 s[18:19], s[12:13]
	s_wait_kmcnt 0x0
	v_add_nc_u64_e32 v[6:7], s[24:25], v[4:5]
	v_add_nc_u64_e32 v[8:9], s[26:27], v[4:5]
	v_mov_b32_e32 v5, 1.0
	s_sub_co_i32 s13, s18, s12
	s_delay_alu instid0(SALU_CYCLE_1) | instskip(NEXT) | instid1(SALU_CYCLE_1)
	s_and_b32 s13, s13, 0xff
	s_cmp_lg_u32 s13, 0
	s_cbranch_scc1 .LBB48_9
.LBB48_6:
	s_sub_nc_u64 s[24:25], s[16:17], s[18:19]
	v_dual_mov_b32 v12, -1.0 :: v_dual_mov_b32 v13, -1
	v_cmp_gt_i64_e32 vcc_lo, s[24:25], v[0:1]
	s_and_saveexec_b32 s24, vcc_lo
	s_cbranch_execz .LBB48_8
; %bb.7:
	s_lshl_b64 s[26:27], s[18:19], 2
	s_delay_alu instid0(SALU_CYCLE_1)
	v_add_nc_u64_e32 v[14:15], s[26:27], v[6:7]
	v_add_nc_u64_e32 v[16:17], s[26:27], v[8:9]
	global_load_b32 v13, v[14:15], off
	global_load_b32 v12, v[16:17], off
	s_wait_loadcnt 0x1
	v_subrev_nc_u32_e32 v13, s4, v13
.LBB48_8:
	s_wait_xcnt 0x0
	s_or_b32 exec_lo, exec_lo, s24
	ds_store_b32 v4, v13
	s_wait_loadcnt 0x0
	ds_store_b32 v11, v12
.LBB48_9:                               ; =>This Loop Header: Depth=1
                                        ;     Child Loop BB48_41 Depth 2
                                        ;       Child Loop BB48_42 Depth 3
	s_lshl_b32 s13, s13, 2
	s_wait_dscnt 0x0
	v_mov_b32_e32 v12, s13
	s_barrier_signal -1
	s_barrier_wait -1
	ds_load_2addr_stride64_b32 v[12:13], v12 offset1:4
	s_wait_dscnt 0x0
	v_readfirstlane_b32 s24, v12
	v_cmp_neq_f32_e32 vcc_lo, 0, v13
	s_cmp_lg_u32 s24, s20
	s_cselect_b32 s13, -1, 0
	s_delay_alu instid0(SALU_CYCLE_1) | instskip(NEXT) | instid1(SALU_CYCLE_1)
	s_or_b32 s13, s21, s13
	s_or_b32 vcc_lo, vcc_lo, s13
	v_cndmask_b32_e32 v12, 1.0, v13, vcc_lo
	s_nor_b32 s25, s0, vcc_lo
	s_delay_alu instid0(SALU_CYCLE_1)
	s_and_saveexec_b32 s13, s25
	s_cbranch_execz .LBB48_13
; %bb.10:                               ;   in Loop: Header=BB48_9 Depth=1
	v_mbcnt_lo_u32_b32 v12, exec_lo, 0
	s_mov_b32 s25, exec_lo
	s_delay_alu instid0(VALU_DEP_1)
	v_cmpx_eq_u32_e32 0, v12
	s_cbranch_execz .LBB48_12
; %bb.11:                               ;   in Loop: Header=BB48_9 Depth=1
	v_mov_b32_e32 v12, s28
	global_atomic_min_i32 v1, v12, s[8:9] scope:SCOPE_DEV
.LBB48_12:                              ;   in Loop: Header=BB48_9 Depth=1
	s_wait_xcnt 0x0
	s_or_b32 exec_lo, exec_lo, s25
	v_mov_b32_e32 v12, 1.0
.LBB48_13:                              ;   in Loop: Header=BB48_9 Depth=1
	s_or_b32 exec_lo, exec_lo, s13
	s_mov_b32 s26, -1
	s_mov_b32 s13, 0
	s_cmp_lt_i32 s5, 1
	s_mov_b32 s25, 0
                                        ; implicit-def: $vgpr13
	s_cbranch_scc0 .LBB48_20
; %bb.14:                               ;   in Loop: Header=BB48_9 Depth=1
	s_and_b32 vcc_lo, exec_lo, s26
	s_mov_b32 s26, 4
	s_cbranch_vccnz .LBB48_25
.LBB48_15:                              ;   in Loop: Header=BB48_9 Depth=1
	v_mov_b32_e32 v14, v10
	s_and_b32 vcc_lo, exec_lo, s25
	s_cbranch_vccnz .LBB48_30
.LBB48_16:                              ;   in Loop: Header=BB48_9 Depth=1
	s_and_b32 vcc_lo, exec_lo, s13
	s_cbranch_vccnz .LBB48_35
.LBB48_17:                              ;   in Loop: Header=BB48_9 Depth=1
	s_mov_b32 s13, -1
	s_cmp_gt_i32 s26, 3
	s_mov_b32 s24, -1
	s_cbranch_scc0 .LBB48_36
.LBB48_18:                              ;   in Loop: Header=BB48_9 Depth=1
	s_and_not1_b32 vcc_lo, exec_lo, s24
	s_cbranch_vccz .LBB48_37
.LBB48_19:                              ;   in Loop: Header=BB48_9 Depth=1
	s_and_not1_b32 vcc_lo, exec_lo, s13
	s_cbranch_vccnz .LBB48_38
	s_branch .LBB48_44
.LBB48_20:                              ;   in Loop: Header=BB48_9 Depth=1
	s_cmp_eq_u32 s5, 1
	s_mov_b32 s25, -1
                                        ; implicit-def: $vgpr13
	s_cbranch_scc0 .LBB48_24
; %bb.21:                               ;   in Loop: Header=BB48_9 Depth=1
	v_mov_b32_e32 v13, v5
	s_cmp_ge_i32 s24, s20
	s_mov_b32 s25, 0
	s_cbranch_scc0 .LBB48_24
; %bb.22:                               ;   in Loop: Header=BB48_9 Depth=1
	s_cmp_eq_u32 s24, s20
	s_mov_b32 s25, -1
                                        ; implicit-def: $vgpr13
	s_cbranch_scc0 .LBB48_24
; %bb.23:                               ;   in Loop: Header=BB48_9 Depth=1
	v_div_scale_f32 v13, null, v12, v12, 1.0
	s_mov_b32 s25, 0
	v_rcp_f32_e32 v14, v13
	v_nop
	s_delay_alu instid0(TRANS32_DEP_1) | instskip(NEXT) | instid1(VALU_DEP_1)
	v_fma_f32 v15, -v13, v14, 1.0
	v_fmac_f32_e32 v14, v15, v14
	v_div_scale_f32 v15, vcc_lo, 1.0, v12, 1.0
	s_delay_alu instid0(VALU_DEP_1) | instskip(NEXT) | instid1(VALU_DEP_1)
	v_mul_f32_e32 v16, v15, v14
	v_fma_f32 v17, -v13, v16, v15
	s_delay_alu instid0(VALU_DEP_1) | instskip(NEXT) | instid1(VALU_DEP_1)
	v_fmac_f32_e32 v16, v17, v14
	v_fma_f32 v13, -v13, v16, v15
	s_delay_alu instid0(VALU_DEP_1) | instskip(NEXT) | instid1(VALU_DEP_1)
	v_div_fmas_f32 v13, v13, v14, v16
	v_div_fixup_f32 v13, v13, v12, 1.0
	s_delay_alu instid0(VALU_DEP_1)
	v_cndmask_b32_e64 v13, v5, v13, s1
.LBB48_24:                              ;   in Loop: Header=BB48_9 Depth=1
	s_mov_b32 s26, 4
	s_branch .LBB48_15
.LBB48_25:                              ;   in Loop: Header=BB48_9 Depth=1
	s_cmp_eq_u32 s5, 0
	s_cbranch_scc1 .LBB48_27
; %bb.26:                               ;   in Loop: Header=BB48_9 Depth=1
	s_mov_b32 s25, -1
	s_branch .LBB48_29
.LBB48_27:                              ;   in Loop: Header=BB48_9 Depth=1
	s_cmp_le_i32 s24, s20
	s_mov_b32 s25, 0
	s_cbranch_scc0 .LBB48_29
; %bb.28:                               ;   in Loop: Header=BB48_9 Depth=1
	s_cmp_lg_u32 s24, s20
	s_mov_b32 s13, -1
	s_cselect_b32 s25, -1, 0
.LBB48_29:                              ;   in Loop: Header=BB48_9 Depth=1
	v_mov_b32_e32 v13, v5
	s_mov_b32 s26, 2
	v_mov_b32_e32 v14, v10
	s_and_b32 vcc_lo, exec_lo, s25
	s_cbranch_vccz .LBB48_16
.LBB48_30:                              ;   in Loop: Header=BB48_9 Depth=1
	s_and_saveexec_b32 s13, s3
	s_cbranch_execz .LBB48_32
; %bb.31:                               ;   in Loop: Header=BB48_9 Depth=1
	s_add_co_i32 s26, s24, s7
	s_delay_alu instid0(SALU_CYCLE_1)
	v_mov_b32_e32 v13, s26
	global_load_b32 v13, v13, s[14:15] scale_offset scope:SCOPE_DEV
	s_wait_loadcnt 0x0
	v_cmp_ne_u32_e32 vcc_lo, 0, v13
	s_cbranch_vccz .LBB48_39
.LBB48_32:                              ;   in Loop: Header=BB48_9 Depth=1
	s_wait_xcnt 0x0
	s_or_b32 exec_lo, exec_lo, s13
	v_mov_b32_e32 v14, 0
	s_wait_storecnt 0x0
	s_barrier_signal -1
	s_barrier_wait -1
	global_inv scope:SCOPE_DEV
	s_and_saveexec_b32 s13, s2
	s_cbranch_execz .LBB48_34
; %bb.33:                               ;   in Loop: Header=BB48_9 Depth=1
	s_ashr_i32 s25, s24, 31
	s_delay_alu instid0(SALU_CYCLE_1) | instskip(NEXT) | instid1(SALU_CYCLE_1)
	s_mul_u64 s[24:25], s[10:11], s[24:25]
	v_lshl_add_u64 v[14:15], s[24:25], 2, v[2:3]
	global_load_b32 v13, v[14:15], off
	s_wait_loadcnt 0x0
	v_fma_f32 v14, -v12, v13, v10
.LBB48_34:                              ;   in Loop: Header=BB48_9 Depth=1
	s_or_b32 exec_lo, exec_lo, s13
	v_mov_b32_e32 v13, v5
	s_mov_b32 s26, 0
	s_branch .LBB48_17
.LBB48_35:                              ;   in Loop: Header=BB48_9 Depth=1
	v_div_scale_f32 v13, null, v12, v12, 1.0
	v_div_scale_f32 v16, vcc_lo, 1.0, v12, 1.0
	s_mov_b32 s26, 2
	v_rcp_f32_e32 v14, v13
	v_nop
	s_delay_alu instid0(TRANS32_DEP_1) | instskip(NEXT) | instid1(VALU_DEP_1)
	v_fma_f32 v15, -v13, v14, 1.0
	v_fmac_f32_e32 v14, v15, v14
	s_delay_alu instid0(VALU_DEP_1) | instskip(NEXT) | instid1(VALU_DEP_1)
	v_mul_f32_e32 v15, v16, v14
	v_fma_f32 v17, -v13, v15, v16
	s_delay_alu instid0(VALU_DEP_1) | instskip(NEXT) | instid1(VALU_DEP_1)
	v_fmac_f32_e32 v15, v17, v14
	v_fma_f32 v13, -v13, v15, v16
	s_delay_alu instid0(VALU_DEP_1) | instskip(SKIP_1) | instid1(VALU_DEP_2)
	v_div_fmas_f32 v13, v13, v14, v15
	v_mov_b32_e32 v14, v10
	v_div_fixup_f32 v12, v13, v12, 1.0
	s_delay_alu instid0(VALU_DEP_1)
	v_cndmask_b32_e64 v13, v5, v12, s1
	s_mov_b32 s13, -1
	s_cmp_gt_i32 s26, 3
	s_mov_b32 s24, -1
	s_cbranch_scc1 .LBB48_18
.LBB48_36:                              ;   in Loop: Header=BB48_9 Depth=1
	s_cmp_eq_u32 s26, 0
	s_cselect_b32 s24, -1, 0
	s_delay_alu instid0(SALU_CYCLE_1)
	s_and_not1_b32 vcc_lo, exec_lo, s24
	s_cbranch_vccnz .LBB48_19
.LBB48_37:                              ;   in Loop: Header=BB48_9 Depth=1
	s_add_nc_u64 s[18:19], s[18:19], 1
	s_delay_alu instid0(SALU_CYCLE_1)
	v_cmp_ge_i64_e64 s13, s[18:19], s[16:17]
	s_and_not1_b32 vcc_lo, exec_lo, s13
	s_cbranch_vccz .LBB48_44
.LBB48_38:                              ;   in Loop: Header=BB48_9 Depth=1
	v_dual_mov_b32 v10, v14 :: v_dual_mov_b32 v5, v13
	s_sub_co_i32 s13, s18, s12
	s_delay_alu instid0(SALU_CYCLE_1) | instskip(NEXT) | instid1(SALU_CYCLE_1)
	s_and_b32 s13, s13, 0xff
	s_cmp_lg_u32 s13, 0
	s_cbranch_scc1 .LBB48_9
	s_branch .LBB48_6
.LBB48_39:                              ;   in Loop: Header=BB48_9 Depth=1
	s_ashr_i32 s27, s26, 31
	s_mov_b32 s25, 0
	s_lshl_b64 s[26:27], s[26:27], 2
	s_delay_alu instid0(SALU_CYCLE_1)
	s_add_nc_u64 s[26:27], s[14:15], s[26:27]
	s_branch .LBB48_41
.LBB48_40:                              ;   in Loop: Header=BB48_41 Depth=2
	global_load_b32 v13, v1, s[26:27] scope:SCOPE_DEV
	s_cmp_lt_u32 s25, 0xf43
	s_cselect_b32 s29, -1, 0
	s_delay_alu instid0(SALU_CYCLE_1)
	s_cmp_lg_u32 s29, 0
	s_add_co_ci_u32 s25, s25, 0
	s_wait_loadcnt 0x0
	v_cmp_ne_u32_e32 vcc_lo, 0, v13
	s_cbranch_vccnz .LBB48_32
.LBB48_41:                              ;   Parent Loop BB48_9 Depth=1
                                        ; =>  This Loop Header: Depth=2
                                        ;       Child Loop BB48_42 Depth 3
	s_cmp_eq_u32 s25, 0
	s_mov_b32 s29, s25
	s_cbranch_scc1 .LBB48_40
.LBB48_42:                              ;   Parent Loop BB48_9 Depth=1
                                        ;     Parent Loop BB48_41 Depth=2
                                        ; =>    This Inner Loop Header: Depth=3
	s_add_co_i32 s29, s29, -1
	s_sleep 1
	s_cmp_eq_u32 s29, 0
	s_cbranch_scc0 .LBB48_42
	s_branch .LBB48_40
.LBB48_43:
	v_mov_b32_e32 v14, v10
.LBB48_44:
	s_and_saveexec_b32 s0, s2
	s_cbranch_execz .LBB48_46
; %bb.45:
	s_delay_alu instid0(VALU_DEP_1) | instskip(SKIP_3) | instid1(VALU_DEP_2)
	v_mul_f32_e32 v1, v13, v14
	s_cmp_eq_u32 s6, 0
	v_lshl_add_u64 v[2:3], s[22:23], 2, v[2:3]
	s_cselect_b32 vcc_lo, -1, 0
	v_cndmask_b32_e32 v1, v14, v1, vcc_lo
	global_store_b32 v[2:3], v1, off
.LBB48_46:
	s_wait_xcnt 0x0
	s_or_b32 exec_lo, exec_lo, s0
	global_wb scope:SCOPE_DEV
	s_wait_loadcnt 0x0
	s_wait_storecnt 0x0
	global_inv scope:SCOPE_DEV
	s_wait_loadcnt 0x0
	s_barrier_signal -1
	s_barrier_wait -1
	s_mov_b32 s0, exec_lo
	v_cmpx_eq_u32_e32 0, v0
	s_cbranch_execz .LBB48_48
; %bb.47:
	s_add_co_i32 s0, s20, s7
	s_delay_alu instid0(SALU_CYCLE_1)
	v_dual_mov_b32 v0, 1 :: v_dual_mov_b32 v1, s0
	global_store_b32 v1, v0, s[14:15] scale_offset scope:SCOPE_DEV
.LBB48_48:
	s_endpgm
	.section	.rodata,"a",@progbits
	.p2align	6, 0x0
	.amdhsa_kernel _ZN9rocsparseL5csrsmILj256ELj64ELb1ElifEEv20rocsparse_operation_T3_S2_NS_24const_host_device_scalarIT4_EEPKT2_PKS2_PKS4_PS4_lPiSA_PS2_21rocsparse_index_base_20rocsparse_fill_mode_20rocsparse_diag_type_b
		.amdhsa_group_segment_fixed_size 2048
		.amdhsa_private_segment_fixed_size 0
		.amdhsa_kernarg_size 104
		.amdhsa_user_sgpr_count 2
		.amdhsa_user_sgpr_dispatch_ptr 0
		.amdhsa_user_sgpr_queue_ptr 0
		.amdhsa_user_sgpr_kernarg_segment_ptr 1
		.amdhsa_user_sgpr_dispatch_id 0
		.amdhsa_user_sgpr_kernarg_preload_length 0
		.amdhsa_user_sgpr_kernarg_preload_offset 0
		.amdhsa_user_sgpr_private_segment_size 0
		.amdhsa_wavefront_size32 1
		.amdhsa_uses_dynamic_stack 0
		.amdhsa_enable_private_segment 0
		.amdhsa_system_sgpr_workgroup_id_x 1
		.amdhsa_system_sgpr_workgroup_id_y 0
		.amdhsa_system_sgpr_workgroup_id_z 0
		.amdhsa_system_sgpr_workgroup_info 0
		.amdhsa_system_vgpr_workitem_id 0
		.amdhsa_next_free_vgpr 18
		.amdhsa_next_free_sgpr 32
		.amdhsa_named_barrier_count 0
		.amdhsa_reserve_vcc 1
		.amdhsa_float_round_mode_32 0
		.amdhsa_float_round_mode_16_64 0
		.amdhsa_float_denorm_mode_32 3
		.amdhsa_float_denorm_mode_16_64 3
		.amdhsa_fp16_overflow 0
		.amdhsa_memory_ordered 1
		.amdhsa_forward_progress 1
		.amdhsa_inst_pref_size 14
		.amdhsa_round_robin_scheduling 0
		.amdhsa_exception_fp_ieee_invalid_op 0
		.amdhsa_exception_fp_denorm_src 0
		.amdhsa_exception_fp_ieee_div_zero 0
		.amdhsa_exception_fp_ieee_overflow 0
		.amdhsa_exception_fp_ieee_underflow 0
		.amdhsa_exception_fp_ieee_inexact 0
		.amdhsa_exception_int_div_zero 0
	.end_amdhsa_kernel
	.section	.text._ZN9rocsparseL5csrsmILj256ELj64ELb1ElifEEv20rocsparse_operation_T3_S2_NS_24const_host_device_scalarIT4_EEPKT2_PKS2_PKS4_PS4_lPiSA_PS2_21rocsparse_index_base_20rocsparse_fill_mode_20rocsparse_diag_type_b,"axG",@progbits,_ZN9rocsparseL5csrsmILj256ELj64ELb1ElifEEv20rocsparse_operation_T3_S2_NS_24const_host_device_scalarIT4_EEPKT2_PKS2_PKS4_PS4_lPiSA_PS2_21rocsparse_index_base_20rocsparse_fill_mode_20rocsparse_diag_type_b,comdat
.Lfunc_end48:
	.size	_ZN9rocsparseL5csrsmILj256ELj64ELb1ElifEEv20rocsparse_operation_T3_S2_NS_24const_host_device_scalarIT4_EEPKT2_PKS2_PKS4_PS4_lPiSA_PS2_21rocsparse_index_base_20rocsparse_fill_mode_20rocsparse_diag_type_b, .Lfunc_end48-_ZN9rocsparseL5csrsmILj256ELj64ELb1ElifEEv20rocsparse_operation_T3_S2_NS_24const_host_device_scalarIT4_EEPKT2_PKS2_PKS4_PS4_lPiSA_PS2_21rocsparse_index_base_20rocsparse_fill_mode_20rocsparse_diag_type_b
                                        ; -- End function
	.set _ZN9rocsparseL5csrsmILj256ELj64ELb1ElifEEv20rocsparse_operation_T3_S2_NS_24const_host_device_scalarIT4_EEPKT2_PKS2_PKS4_PS4_lPiSA_PS2_21rocsparse_index_base_20rocsparse_fill_mode_20rocsparse_diag_type_b.num_vgpr, 18
	.set _ZN9rocsparseL5csrsmILj256ELj64ELb1ElifEEv20rocsparse_operation_T3_S2_NS_24const_host_device_scalarIT4_EEPKT2_PKS2_PKS4_PS4_lPiSA_PS2_21rocsparse_index_base_20rocsparse_fill_mode_20rocsparse_diag_type_b.num_agpr, 0
	.set _ZN9rocsparseL5csrsmILj256ELj64ELb1ElifEEv20rocsparse_operation_T3_S2_NS_24const_host_device_scalarIT4_EEPKT2_PKS2_PKS4_PS4_lPiSA_PS2_21rocsparse_index_base_20rocsparse_fill_mode_20rocsparse_diag_type_b.numbered_sgpr, 32
	.set _ZN9rocsparseL5csrsmILj256ELj64ELb1ElifEEv20rocsparse_operation_T3_S2_NS_24const_host_device_scalarIT4_EEPKT2_PKS2_PKS4_PS4_lPiSA_PS2_21rocsparse_index_base_20rocsparse_fill_mode_20rocsparse_diag_type_b.num_named_barrier, 0
	.set _ZN9rocsparseL5csrsmILj256ELj64ELb1ElifEEv20rocsparse_operation_T3_S2_NS_24const_host_device_scalarIT4_EEPKT2_PKS2_PKS4_PS4_lPiSA_PS2_21rocsparse_index_base_20rocsparse_fill_mode_20rocsparse_diag_type_b.private_seg_size, 0
	.set _ZN9rocsparseL5csrsmILj256ELj64ELb1ElifEEv20rocsparse_operation_T3_S2_NS_24const_host_device_scalarIT4_EEPKT2_PKS2_PKS4_PS4_lPiSA_PS2_21rocsparse_index_base_20rocsparse_fill_mode_20rocsparse_diag_type_b.uses_vcc, 1
	.set _ZN9rocsparseL5csrsmILj256ELj64ELb1ElifEEv20rocsparse_operation_T3_S2_NS_24const_host_device_scalarIT4_EEPKT2_PKS2_PKS4_PS4_lPiSA_PS2_21rocsparse_index_base_20rocsparse_fill_mode_20rocsparse_diag_type_b.uses_flat_scratch, 0
	.set _ZN9rocsparseL5csrsmILj256ELj64ELb1ElifEEv20rocsparse_operation_T3_S2_NS_24const_host_device_scalarIT4_EEPKT2_PKS2_PKS4_PS4_lPiSA_PS2_21rocsparse_index_base_20rocsparse_fill_mode_20rocsparse_diag_type_b.has_dyn_sized_stack, 0
	.set _ZN9rocsparseL5csrsmILj256ELj64ELb1ElifEEv20rocsparse_operation_T3_S2_NS_24const_host_device_scalarIT4_EEPKT2_PKS2_PKS4_PS4_lPiSA_PS2_21rocsparse_index_base_20rocsparse_fill_mode_20rocsparse_diag_type_b.has_recursion, 0
	.set _ZN9rocsparseL5csrsmILj256ELj64ELb1ElifEEv20rocsparse_operation_T3_S2_NS_24const_host_device_scalarIT4_EEPKT2_PKS2_PKS4_PS4_lPiSA_PS2_21rocsparse_index_base_20rocsparse_fill_mode_20rocsparse_diag_type_b.has_indirect_call, 0
	.section	.AMDGPU.csdata,"",@progbits
; Kernel info:
; codeLenInByte = 1704
; TotalNumSgprs: 34
; NumVgprs: 18
; ScratchSize: 0
; MemoryBound: 0
; FloatMode: 240
; IeeeMode: 1
; LDSByteSize: 2048 bytes/workgroup (compile time only)
; SGPRBlocks: 0
; VGPRBlocks: 1
; NumSGPRsForWavesPerEU: 34
; NumVGPRsForWavesPerEU: 18
; NamedBarCnt: 0
; Occupancy: 16
; WaveLimiterHint : 1
; COMPUTE_PGM_RSRC2:SCRATCH_EN: 0
; COMPUTE_PGM_RSRC2:USER_SGPR: 2
; COMPUTE_PGM_RSRC2:TRAP_HANDLER: 0
; COMPUTE_PGM_RSRC2:TGID_X_EN: 1
; COMPUTE_PGM_RSRC2:TGID_Y_EN: 0
; COMPUTE_PGM_RSRC2:TGID_Z_EN: 0
; COMPUTE_PGM_RSRC2:TIDIG_COMP_CNT: 0
	.section	.text._ZN9rocsparseL5csrsmILj256ELj64ELb0ElifEEv20rocsparse_operation_T3_S2_NS_24const_host_device_scalarIT4_EEPKT2_PKS2_PKS4_PS4_lPiSA_PS2_21rocsparse_index_base_20rocsparse_fill_mode_20rocsparse_diag_type_b,"axG",@progbits,_ZN9rocsparseL5csrsmILj256ELj64ELb0ElifEEv20rocsparse_operation_T3_S2_NS_24const_host_device_scalarIT4_EEPKT2_PKS2_PKS4_PS4_lPiSA_PS2_21rocsparse_index_base_20rocsparse_fill_mode_20rocsparse_diag_type_b,comdat
	.globl	_ZN9rocsparseL5csrsmILj256ELj64ELb0ElifEEv20rocsparse_operation_T3_S2_NS_24const_host_device_scalarIT4_EEPKT2_PKS2_PKS4_PS4_lPiSA_PS2_21rocsparse_index_base_20rocsparse_fill_mode_20rocsparse_diag_type_b ; -- Begin function _ZN9rocsparseL5csrsmILj256ELj64ELb0ElifEEv20rocsparse_operation_T3_S2_NS_24const_host_device_scalarIT4_EEPKT2_PKS2_PKS4_PS4_lPiSA_PS2_21rocsparse_index_base_20rocsparse_fill_mode_20rocsparse_diag_type_b
	.p2align	8
	.type	_ZN9rocsparseL5csrsmILj256ELj64ELb0ElifEEv20rocsparse_operation_T3_S2_NS_24const_host_device_scalarIT4_EEPKT2_PKS2_PKS4_PS4_lPiSA_PS2_21rocsparse_index_base_20rocsparse_fill_mode_20rocsparse_diag_type_b,@function
_ZN9rocsparseL5csrsmILj256ELj64ELb0ElifEEv20rocsparse_operation_T3_S2_NS_24const_host_device_scalarIT4_EEPKT2_PKS2_PKS4_PS4_lPiSA_PS2_21rocsparse_index_base_20rocsparse_fill_mode_20rocsparse_diag_type_b: ; @_ZN9rocsparseL5csrsmILj256ELj64ELb0ElifEEv20rocsparse_operation_T3_S2_NS_24const_host_device_scalarIT4_EEPKT2_PKS2_PKS4_PS4_lPiSA_PS2_21rocsparse_index_base_20rocsparse_fill_mode_20rocsparse_diag_type_b
; %bb.0:
	s_clause 0x2
	s_load_b128 s[4:7], s[0:1], 0x58
	s_load_b128 s[12:15], s[0:1], 0x10
	s_load_b64 s[2:3], s[0:1], 0x48
	s_wait_kmcnt 0x0
	s_bitcmp1_b32 s7, 0
	s_cselect_b32 s7, -1, 0
	s_delay_alu instid0(SALU_CYCLE_1)
	s_and_b32 vcc_lo, exec_lo, s7
	s_cbranch_vccnz .LBB49_2
; %bb.1:
	s_load_b32 s12, s[12:13], 0x0
.LBB49_2:
	s_nop 0
	s_load_b64 s[22:23], s[0:1], 0x4
	s_bfe_u32 s9, ttmp6, 0x4000c
	s_and_b32 s8, ttmp6, 15
	s_add_co_i32 s9, s9, 1
	s_getreg_b32 s11, hwreg(HW_REG_IB_STS2, 6, 4)
	s_mul_i32 s9, ttmp9, s9
	v_mov_b32_e32 v10, 0
	s_add_co_i32 s8, s8, s9
	s_wait_kmcnt 0x0
	s_cvt_f32_u32 s7, s22
	s_sub_co_i32 s10, 0, s22
	s_delay_alu instid0(SALU_CYCLE_2) | instskip(SKIP_1) | instid1(TRANS32_DEP_1)
	v_rcp_iflag_f32_e32 v1, s7
	v_nop
	v_readfirstlane_b32 s7, v1
	s_mul_f32 s7, s7, 0x4f7ffffe
	s_delay_alu instid0(SALU_CYCLE_3) | instskip(NEXT) | instid1(SALU_CYCLE_3)
	s_cvt_u32_f32 s7, s7
	s_mul_i32 s10, s10, s7
	s_delay_alu instid0(SALU_CYCLE_1) | instskip(NEXT) | instid1(SALU_CYCLE_1)
	s_mul_hi_u32 s10, s7, s10
	s_add_co_i32 s7, s7, s10
	s_cmp_eq_u32 s11, 0
	s_cselect_b32 s8, ttmp9, s8
	s_delay_alu instid0(SALU_CYCLE_1) | instskip(NEXT) | instid1(SALU_CYCLE_1)
	s_mul_hi_u32 s7, s8, s7
	s_mul_i32 s9, s7, s22
	s_add_co_i32 s10, s7, 1
	s_sub_co_i32 s9, s8, s9
	s_delay_alu instid0(SALU_CYCLE_1)
	s_sub_co_i32 s11, s9, s22
	s_cmp_ge_u32 s9, s22
	s_cselect_b32 s7, s10, s7
	s_cselect_b32 s9, s11, s9
	s_add_co_i32 s10, s7, 1
	s_cmp_ge_u32 s9, s22
	s_cselect_b32 s13, s10, s7
	s_delay_alu instid0(SALU_CYCLE_1) | instskip(SKIP_2) | instid1(SALU_CYCLE_1)
	s_mul_i32 s7, s13, s22
	v_lshl_or_b32 v2, s13, 8, v0
	s_sub_co_i32 s8, s8, s7
	s_ashr_i32 s9, s8, 31
	s_delay_alu instid0(VALU_DEP_1) | instskip(SKIP_1) | instid1(SALU_CYCLE_1)
	v_ashrrev_i32_e32 v3, 31, v2
	s_lshl_b64 s[8:9], s[8:9], 2
	s_add_nc_u64 s[2:3], s[2:3], s[8:9]
	s_load_b128 s[8:11], s[0:1], 0x30
	s_load_b32 s20, s[2:3], 0x0
	s_wait_kmcnt 0x0
	s_ashr_i32 s21, s20, 31
	s_delay_alu instid0(SALU_CYCLE_1) | instskip(NEXT) | instid1(SALU_CYCLE_1)
	s_lshl_b64 s[2:3], s[20:21], 3
	s_add_nc_u64 s[2:3], s[14:15], s[2:3]
	s_load_b64 s[14:15], s[0:1], 0x40
	s_load_b128 s[16:19], s[2:3], 0x0
	s_wait_xcnt 0x0
	v_cmp_gt_i32_e64 s2, s23, v2
	s_mul_u64 s[22:23], s[10:11], s[20:21]
	s_and_saveexec_b32 s3, s2
	s_cbranch_execz .LBB49_4
; %bb.3:
	v_add_nc_u64_e32 v[4:5], s[22:23], v[2:3]
	s_delay_alu instid0(VALU_DEP_1)
	v_lshl_add_u64 v[4:5], v[4:5], 2, s[8:9]
	global_load_b32 v1, v[4:5], off
	s_wait_loadcnt 0x0
	v_mul_f32_e32 v10, s12, v1
.LBB49_4:
	s_or_b32 exec_lo, exec_lo, s3
	s_wait_kmcnt 0x0
	v_cmp_ge_i64_e64 s3, s[16:17], s[18:19]
	v_lshl_add_u64 v[2:3], v[2:3], 2, s[8:9]
	v_mov_b32_e32 v13, 1.0
	s_and_b32 vcc_lo, exec_lo, s3
	v_cmp_eq_u32_e64 s3, 0, v0
	s_cbranch_vccnz .LBB49_41
; %bb.5:
	s_clause 0x1
	s_load_b128 s[24:27], s[0:1], 0x20
	s_load_b64 s[8:9], s[0:1], 0x50
	v_dual_mov_b32 v1, 0 :: v_dual_lshlrev_b32 v4, 2, v0
	s_cmp_lg_u32 s6, 0
	s_mov_b32 s31, 0
	s_mov_b32 s30, s4
	s_delay_alu instid0(VALU_DEP_1)
	v_mov_b32_e32 v5, v1
	s_wait_xcnt 0x0
	v_cmp_ne_u32_e64 s0, 0, v0
	s_cselect_b32 s21, -1, 0
	v_or_b32_e32 v11, 0x400, v4
	s_add_co_i32 s28, s20, s4
	s_sub_nc_u64 s[12:13], s[16:17], s[30:31]
	s_cmp_eq_u32 s6, 0
	s_sub_nc_u64 s[16:17], s[18:19], s[30:31]
	s_cselect_b32 s1, -1, 0
	s_mov_b64 s[18:19], s[12:13]
	s_wait_kmcnt 0x0
	v_add_nc_u64_e32 v[6:7], s[24:25], v[4:5]
	v_add_nc_u64_e32 v[8:9], s[26:27], v[4:5]
	v_mov_b32_e32 v5, 1.0
	s_sub_co_i32 s13, s18, s12
	s_delay_alu instid0(SALU_CYCLE_1) | instskip(NEXT) | instid1(SALU_CYCLE_1)
	s_and_b32 s13, s13, 0xff
	s_cmp_lg_u32 s13, 0
	s_cbranch_scc1 .LBB49_9
.LBB49_6:
	s_sub_nc_u64 s[24:25], s[16:17], s[18:19]
	v_dual_mov_b32 v12, -1.0 :: v_dual_mov_b32 v13, -1
	v_cmp_gt_i64_e32 vcc_lo, s[24:25], v[0:1]
	s_and_saveexec_b32 s24, vcc_lo
	s_cbranch_execz .LBB49_8
; %bb.7:
	s_lshl_b64 s[26:27], s[18:19], 2
	s_delay_alu instid0(SALU_CYCLE_1)
	v_add_nc_u64_e32 v[14:15], s[26:27], v[6:7]
	v_add_nc_u64_e32 v[16:17], s[26:27], v[8:9]
	global_load_b32 v13, v[14:15], off
	global_load_b32 v12, v[16:17], off
	s_wait_loadcnt 0x1
	v_subrev_nc_u32_e32 v13, s4, v13
.LBB49_8:
	s_wait_xcnt 0x0
	s_or_b32 exec_lo, exec_lo, s24
	ds_store_b32 v4, v13
	s_wait_loadcnt 0x0
	ds_store_b32 v11, v12
.LBB49_9:                               ; =>This Loop Header: Depth=1
                                        ;     Child Loop BB49_33 Depth 2
	s_lshl_b32 s13, s13, 2
	s_wait_dscnt 0x0
	v_mov_b32_e32 v12, s13
	s_barrier_signal -1
	s_barrier_wait -1
	ds_load_2addr_stride64_b32 v[12:13], v12 offset1:4
	s_wait_dscnt 0x0
	v_readfirstlane_b32 s24, v12
	v_cmp_neq_f32_e32 vcc_lo, 0, v13
	s_cmp_lg_u32 s24, s20
	s_cselect_b32 s13, -1, 0
	s_delay_alu instid0(SALU_CYCLE_1) | instskip(NEXT) | instid1(SALU_CYCLE_1)
	s_or_b32 s13, s21, s13
	s_or_b32 vcc_lo, vcc_lo, s13
	v_cndmask_b32_e32 v12, 1.0, v13, vcc_lo
	s_nor_b32 s25, s0, vcc_lo
	s_delay_alu instid0(SALU_CYCLE_1)
	s_and_saveexec_b32 s13, s25
	s_cbranch_execz .LBB49_13
; %bb.10:                               ;   in Loop: Header=BB49_9 Depth=1
	v_mbcnt_lo_u32_b32 v12, exec_lo, 0
	s_mov_b32 s25, exec_lo
	s_delay_alu instid0(VALU_DEP_1)
	v_cmpx_eq_u32_e32 0, v12
	s_cbranch_execz .LBB49_12
; %bb.11:                               ;   in Loop: Header=BB49_9 Depth=1
	v_mov_b32_e32 v12, s28
	global_atomic_min_i32 v1, v12, s[8:9] scope:SCOPE_DEV
.LBB49_12:                              ;   in Loop: Header=BB49_9 Depth=1
	s_wait_xcnt 0x0
	s_or_b32 exec_lo, exec_lo, s25
	v_mov_b32_e32 v12, 1.0
.LBB49_13:                              ;   in Loop: Header=BB49_9 Depth=1
	s_or_b32 exec_lo, exec_lo, s13
	s_mov_b32 s26, -1
	s_mov_b32 s13, 0
	s_cmp_lt_i32 s5, 1
	s_mov_b32 s25, 0
                                        ; implicit-def: $vgpr13
	s_cbranch_scc0 .LBB49_20
; %bb.14:                               ;   in Loop: Header=BB49_9 Depth=1
	s_and_b32 vcc_lo, exec_lo, s26
	s_mov_b32 s26, 4
	s_cbranch_vccnz .LBB49_25
.LBB49_15:                              ;   in Loop: Header=BB49_9 Depth=1
	v_mov_b32_e32 v14, v10
	s_and_b32 vcc_lo, exec_lo, s25
	s_cbranch_vccnz .LBB49_30
.LBB49_16:                              ;   in Loop: Header=BB49_9 Depth=1
	s_and_b32 vcc_lo, exec_lo, s13
	s_cbranch_vccnz .LBB49_37
.LBB49_17:                              ;   in Loop: Header=BB49_9 Depth=1
	s_mov_b32 s13, -1
	s_cmp_gt_i32 s26, 3
	s_mov_b32 s24, -1
	s_cbranch_scc0 .LBB49_38
.LBB49_18:                              ;   in Loop: Header=BB49_9 Depth=1
	s_and_not1_b32 vcc_lo, exec_lo, s24
	s_cbranch_vccz .LBB49_39
.LBB49_19:                              ;   in Loop: Header=BB49_9 Depth=1
	s_and_not1_b32 vcc_lo, exec_lo, s13
	s_cbranch_vccnz .LBB49_40
	s_branch .LBB49_42
.LBB49_20:                              ;   in Loop: Header=BB49_9 Depth=1
	s_cmp_eq_u32 s5, 1
	s_mov_b32 s25, -1
                                        ; implicit-def: $vgpr13
	s_cbranch_scc0 .LBB49_24
; %bb.21:                               ;   in Loop: Header=BB49_9 Depth=1
	v_mov_b32_e32 v13, v5
	s_cmp_ge_i32 s24, s20
	s_mov_b32 s25, 0
	s_cbranch_scc0 .LBB49_24
; %bb.22:                               ;   in Loop: Header=BB49_9 Depth=1
	s_cmp_eq_u32 s24, s20
	s_mov_b32 s25, -1
                                        ; implicit-def: $vgpr13
	s_cbranch_scc0 .LBB49_24
; %bb.23:                               ;   in Loop: Header=BB49_9 Depth=1
	v_div_scale_f32 v13, null, v12, v12, 1.0
	s_mov_b32 s25, 0
	v_rcp_f32_e32 v14, v13
	v_nop
	s_delay_alu instid0(TRANS32_DEP_1) | instskip(NEXT) | instid1(VALU_DEP_1)
	v_fma_f32 v15, -v13, v14, 1.0
	v_fmac_f32_e32 v14, v15, v14
	v_div_scale_f32 v15, vcc_lo, 1.0, v12, 1.0
	s_delay_alu instid0(VALU_DEP_1) | instskip(NEXT) | instid1(VALU_DEP_1)
	v_mul_f32_e32 v16, v15, v14
	v_fma_f32 v17, -v13, v16, v15
	s_delay_alu instid0(VALU_DEP_1) | instskip(NEXT) | instid1(VALU_DEP_1)
	v_fmac_f32_e32 v16, v17, v14
	v_fma_f32 v13, -v13, v16, v15
	s_delay_alu instid0(VALU_DEP_1) | instskip(NEXT) | instid1(VALU_DEP_1)
	v_div_fmas_f32 v13, v13, v14, v16
	v_div_fixup_f32 v13, v13, v12, 1.0
	s_delay_alu instid0(VALU_DEP_1)
	v_cndmask_b32_e64 v13, v5, v13, s1
.LBB49_24:                              ;   in Loop: Header=BB49_9 Depth=1
	s_mov_b32 s26, 4
	s_branch .LBB49_15
.LBB49_25:                              ;   in Loop: Header=BB49_9 Depth=1
	s_cmp_eq_u32 s5, 0
	s_cbranch_scc1 .LBB49_27
; %bb.26:                               ;   in Loop: Header=BB49_9 Depth=1
	s_mov_b32 s25, -1
	s_branch .LBB49_29
.LBB49_27:                              ;   in Loop: Header=BB49_9 Depth=1
	s_cmp_le_i32 s24, s20
	s_mov_b32 s25, 0
	s_cbranch_scc0 .LBB49_29
; %bb.28:                               ;   in Loop: Header=BB49_9 Depth=1
	s_cmp_lg_u32 s24, s20
	s_mov_b32 s13, -1
	s_cselect_b32 s25, -1, 0
.LBB49_29:                              ;   in Loop: Header=BB49_9 Depth=1
	v_mov_b32_e32 v13, v5
	s_mov_b32 s26, 2
	v_mov_b32_e32 v14, v10
	s_and_b32 vcc_lo, exec_lo, s25
	s_cbranch_vccz .LBB49_16
.LBB49_30:                              ;   in Loop: Header=BB49_9 Depth=1
	s_and_saveexec_b32 s13, s3
	s_cbranch_execz .LBB49_34
; %bb.31:                               ;   in Loop: Header=BB49_9 Depth=1
	s_add_co_i32 s26, s24, s7
	s_delay_alu instid0(SALU_CYCLE_1)
	v_mov_b32_e32 v13, s26
	global_load_b32 v13, v13, s[14:15] scale_offset scope:SCOPE_DEV
	s_wait_loadcnt 0x0
	v_cmp_ne_u32_e32 vcc_lo, 0, v13
	s_cbranch_vccnz .LBB49_34
; %bb.32:                               ;   in Loop: Header=BB49_9 Depth=1
	s_ashr_i32 s27, s26, 31
	s_delay_alu instid0(SALU_CYCLE_1) | instskip(NEXT) | instid1(SALU_CYCLE_1)
	s_lshl_b64 s[26:27], s[26:27], 2
	s_add_nc_u64 s[26:27], s[14:15], s[26:27]
.LBB49_33:                              ;   Parent Loop BB49_9 Depth=1
                                        ; =>  This Inner Loop Header: Depth=2
	global_load_b32 v13, v1, s[26:27] scope:SCOPE_DEV
	s_wait_loadcnt 0x0
	v_cmp_eq_u32_e32 vcc_lo, 0, v13
	s_cbranch_vccnz .LBB49_33
.LBB49_34:                              ;   in Loop: Header=BB49_9 Depth=1
	s_wait_xcnt 0x0
	s_or_b32 exec_lo, exec_lo, s13
	v_mov_b32_e32 v14, 0
	s_wait_storecnt 0x0
	s_barrier_signal -1
	s_barrier_wait -1
	global_inv scope:SCOPE_DEV
	s_and_saveexec_b32 s13, s2
	s_cbranch_execz .LBB49_36
; %bb.35:                               ;   in Loop: Header=BB49_9 Depth=1
	s_ashr_i32 s25, s24, 31
	s_delay_alu instid0(SALU_CYCLE_1) | instskip(NEXT) | instid1(SALU_CYCLE_1)
	s_mul_u64 s[24:25], s[10:11], s[24:25]
	v_lshl_add_u64 v[14:15], s[24:25], 2, v[2:3]
	global_load_b32 v13, v[14:15], off
	s_wait_loadcnt 0x0
	v_fma_f32 v14, -v12, v13, v10
.LBB49_36:                              ;   in Loop: Header=BB49_9 Depth=1
	s_or_b32 exec_lo, exec_lo, s13
	v_mov_b32_e32 v13, v5
	s_mov_b32 s26, 0
	s_branch .LBB49_17
.LBB49_37:                              ;   in Loop: Header=BB49_9 Depth=1
	v_div_scale_f32 v13, null, v12, v12, 1.0
	v_div_scale_f32 v16, vcc_lo, 1.0, v12, 1.0
	s_mov_b32 s26, 2
	v_rcp_f32_e32 v14, v13
	v_nop
	s_delay_alu instid0(TRANS32_DEP_1) | instskip(NEXT) | instid1(VALU_DEP_1)
	v_fma_f32 v15, -v13, v14, 1.0
	v_fmac_f32_e32 v14, v15, v14
	s_delay_alu instid0(VALU_DEP_1) | instskip(NEXT) | instid1(VALU_DEP_1)
	v_mul_f32_e32 v15, v16, v14
	v_fma_f32 v17, -v13, v15, v16
	s_delay_alu instid0(VALU_DEP_1) | instskip(NEXT) | instid1(VALU_DEP_1)
	v_fmac_f32_e32 v15, v17, v14
	v_fma_f32 v13, -v13, v15, v16
	s_delay_alu instid0(VALU_DEP_1) | instskip(SKIP_1) | instid1(VALU_DEP_2)
	v_div_fmas_f32 v13, v13, v14, v15
	v_mov_b32_e32 v14, v10
	v_div_fixup_f32 v12, v13, v12, 1.0
	s_delay_alu instid0(VALU_DEP_1)
	v_cndmask_b32_e64 v13, v5, v12, s1
	s_mov_b32 s13, -1
	s_cmp_gt_i32 s26, 3
	s_mov_b32 s24, -1
	s_cbranch_scc1 .LBB49_18
.LBB49_38:                              ;   in Loop: Header=BB49_9 Depth=1
	s_cmp_eq_u32 s26, 0
	s_cselect_b32 s24, -1, 0
	s_delay_alu instid0(SALU_CYCLE_1)
	s_and_not1_b32 vcc_lo, exec_lo, s24
	s_cbranch_vccnz .LBB49_19
.LBB49_39:                              ;   in Loop: Header=BB49_9 Depth=1
	s_add_nc_u64 s[18:19], s[18:19], 1
	s_delay_alu instid0(SALU_CYCLE_1)
	v_cmp_ge_i64_e64 s13, s[18:19], s[16:17]
	s_and_not1_b32 vcc_lo, exec_lo, s13
	s_cbranch_vccz .LBB49_42
.LBB49_40:                              ;   in Loop: Header=BB49_9 Depth=1
	v_dual_mov_b32 v10, v14 :: v_dual_mov_b32 v5, v13
	s_sub_co_i32 s13, s18, s12
	s_delay_alu instid0(SALU_CYCLE_1) | instskip(NEXT) | instid1(SALU_CYCLE_1)
	s_and_b32 s13, s13, 0xff
	s_cmp_lg_u32 s13, 0
	s_cbranch_scc1 .LBB49_9
	s_branch .LBB49_6
.LBB49_41:
	v_mov_b32_e32 v14, v10
.LBB49_42:
	s_and_saveexec_b32 s0, s2
	s_cbranch_execz .LBB49_44
; %bb.43:
	s_delay_alu instid0(VALU_DEP_1) | instskip(SKIP_3) | instid1(VALU_DEP_2)
	v_mul_f32_e32 v1, v13, v14
	s_cmp_eq_u32 s6, 0
	v_lshl_add_u64 v[2:3], s[22:23], 2, v[2:3]
	s_cselect_b32 vcc_lo, -1, 0
	v_cndmask_b32_e32 v1, v14, v1, vcc_lo
	global_store_b32 v[2:3], v1, off
.LBB49_44:
	s_wait_xcnt 0x0
	s_or_b32 exec_lo, exec_lo, s0
	global_wb scope:SCOPE_DEV
	s_wait_loadcnt 0x0
	s_wait_storecnt 0x0
	global_inv scope:SCOPE_DEV
	s_wait_loadcnt 0x0
	s_barrier_signal -1
	s_barrier_wait -1
	s_mov_b32 s0, exec_lo
	v_cmpx_eq_u32_e32 0, v0
	s_cbranch_execz .LBB49_46
; %bb.45:
	s_add_co_i32 s0, s20, s7
	s_delay_alu instid0(SALU_CYCLE_1)
	v_dual_mov_b32 v0, 1 :: v_dual_mov_b32 v1, s0
	global_store_b32 v1, v0, s[14:15] scale_offset scope:SCOPE_DEV
.LBB49_46:
	s_endpgm
	.section	.rodata,"a",@progbits
	.p2align	6, 0x0
	.amdhsa_kernel _ZN9rocsparseL5csrsmILj256ELj64ELb0ElifEEv20rocsparse_operation_T3_S2_NS_24const_host_device_scalarIT4_EEPKT2_PKS2_PKS4_PS4_lPiSA_PS2_21rocsparse_index_base_20rocsparse_fill_mode_20rocsparse_diag_type_b
		.amdhsa_group_segment_fixed_size 2048
		.amdhsa_private_segment_fixed_size 0
		.amdhsa_kernarg_size 104
		.amdhsa_user_sgpr_count 2
		.amdhsa_user_sgpr_dispatch_ptr 0
		.amdhsa_user_sgpr_queue_ptr 0
		.amdhsa_user_sgpr_kernarg_segment_ptr 1
		.amdhsa_user_sgpr_dispatch_id 0
		.amdhsa_user_sgpr_kernarg_preload_length 0
		.amdhsa_user_sgpr_kernarg_preload_offset 0
		.amdhsa_user_sgpr_private_segment_size 0
		.amdhsa_wavefront_size32 1
		.amdhsa_uses_dynamic_stack 0
		.amdhsa_enable_private_segment 0
		.amdhsa_system_sgpr_workgroup_id_x 1
		.amdhsa_system_sgpr_workgroup_id_y 0
		.amdhsa_system_sgpr_workgroup_id_z 0
		.amdhsa_system_sgpr_workgroup_info 0
		.amdhsa_system_vgpr_workitem_id 0
		.amdhsa_next_free_vgpr 18
		.amdhsa_next_free_sgpr 32
		.amdhsa_named_barrier_count 0
		.amdhsa_reserve_vcc 1
		.amdhsa_float_round_mode_32 0
		.amdhsa_float_round_mode_16_64 0
		.amdhsa_float_denorm_mode_32 3
		.amdhsa_float_denorm_mode_16_64 3
		.amdhsa_fp16_overflow 0
		.amdhsa_memory_ordered 1
		.amdhsa_forward_progress 1
		.amdhsa_inst_pref_size 13
		.amdhsa_round_robin_scheduling 0
		.amdhsa_exception_fp_ieee_invalid_op 0
		.amdhsa_exception_fp_denorm_src 0
		.amdhsa_exception_fp_ieee_div_zero 0
		.amdhsa_exception_fp_ieee_overflow 0
		.amdhsa_exception_fp_ieee_underflow 0
		.amdhsa_exception_fp_ieee_inexact 0
		.amdhsa_exception_int_div_zero 0
	.end_amdhsa_kernel
	.section	.text._ZN9rocsparseL5csrsmILj256ELj64ELb0ElifEEv20rocsparse_operation_T3_S2_NS_24const_host_device_scalarIT4_EEPKT2_PKS2_PKS4_PS4_lPiSA_PS2_21rocsparse_index_base_20rocsparse_fill_mode_20rocsparse_diag_type_b,"axG",@progbits,_ZN9rocsparseL5csrsmILj256ELj64ELb0ElifEEv20rocsparse_operation_T3_S2_NS_24const_host_device_scalarIT4_EEPKT2_PKS2_PKS4_PS4_lPiSA_PS2_21rocsparse_index_base_20rocsparse_fill_mode_20rocsparse_diag_type_b,comdat
.Lfunc_end49:
	.size	_ZN9rocsparseL5csrsmILj256ELj64ELb0ElifEEv20rocsparse_operation_T3_S2_NS_24const_host_device_scalarIT4_EEPKT2_PKS2_PKS4_PS4_lPiSA_PS2_21rocsparse_index_base_20rocsparse_fill_mode_20rocsparse_diag_type_b, .Lfunc_end49-_ZN9rocsparseL5csrsmILj256ELj64ELb0ElifEEv20rocsparse_operation_T3_S2_NS_24const_host_device_scalarIT4_EEPKT2_PKS2_PKS4_PS4_lPiSA_PS2_21rocsparse_index_base_20rocsparse_fill_mode_20rocsparse_diag_type_b
                                        ; -- End function
	.set _ZN9rocsparseL5csrsmILj256ELj64ELb0ElifEEv20rocsparse_operation_T3_S2_NS_24const_host_device_scalarIT4_EEPKT2_PKS2_PKS4_PS4_lPiSA_PS2_21rocsparse_index_base_20rocsparse_fill_mode_20rocsparse_diag_type_b.num_vgpr, 18
	.set _ZN9rocsparseL5csrsmILj256ELj64ELb0ElifEEv20rocsparse_operation_T3_S2_NS_24const_host_device_scalarIT4_EEPKT2_PKS2_PKS4_PS4_lPiSA_PS2_21rocsparse_index_base_20rocsparse_fill_mode_20rocsparse_diag_type_b.num_agpr, 0
	.set _ZN9rocsparseL5csrsmILj256ELj64ELb0ElifEEv20rocsparse_operation_T3_S2_NS_24const_host_device_scalarIT4_EEPKT2_PKS2_PKS4_PS4_lPiSA_PS2_21rocsparse_index_base_20rocsparse_fill_mode_20rocsparse_diag_type_b.numbered_sgpr, 32
	.set _ZN9rocsparseL5csrsmILj256ELj64ELb0ElifEEv20rocsparse_operation_T3_S2_NS_24const_host_device_scalarIT4_EEPKT2_PKS2_PKS4_PS4_lPiSA_PS2_21rocsparse_index_base_20rocsparse_fill_mode_20rocsparse_diag_type_b.num_named_barrier, 0
	.set _ZN9rocsparseL5csrsmILj256ELj64ELb0ElifEEv20rocsparse_operation_T3_S2_NS_24const_host_device_scalarIT4_EEPKT2_PKS2_PKS4_PS4_lPiSA_PS2_21rocsparse_index_base_20rocsparse_fill_mode_20rocsparse_diag_type_b.private_seg_size, 0
	.set _ZN9rocsparseL5csrsmILj256ELj64ELb0ElifEEv20rocsparse_operation_T3_S2_NS_24const_host_device_scalarIT4_EEPKT2_PKS2_PKS4_PS4_lPiSA_PS2_21rocsparse_index_base_20rocsparse_fill_mode_20rocsparse_diag_type_b.uses_vcc, 1
	.set _ZN9rocsparseL5csrsmILj256ELj64ELb0ElifEEv20rocsparse_operation_T3_S2_NS_24const_host_device_scalarIT4_EEPKT2_PKS2_PKS4_PS4_lPiSA_PS2_21rocsparse_index_base_20rocsparse_fill_mode_20rocsparse_diag_type_b.uses_flat_scratch, 0
	.set _ZN9rocsparseL5csrsmILj256ELj64ELb0ElifEEv20rocsparse_operation_T3_S2_NS_24const_host_device_scalarIT4_EEPKT2_PKS2_PKS4_PS4_lPiSA_PS2_21rocsparse_index_base_20rocsparse_fill_mode_20rocsparse_diag_type_b.has_dyn_sized_stack, 0
	.set _ZN9rocsparseL5csrsmILj256ELj64ELb0ElifEEv20rocsparse_operation_T3_S2_NS_24const_host_device_scalarIT4_EEPKT2_PKS2_PKS4_PS4_lPiSA_PS2_21rocsparse_index_base_20rocsparse_fill_mode_20rocsparse_diag_type_b.has_recursion, 0
	.set _ZN9rocsparseL5csrsmILj256ELj64ELb0ElifEEv20rocsparse_operation_T3_S2_NS_24const_host_device_scalarIT4_EEPKT2_PKS2_PKS4_PS4_lPiSA_PS2_21rocsparse_index_base_20rocsparse_fill_mode_20rocsparse_diag_type_b.has_indirect_call, 0
	.section	.AMDGPU.csdata,"",@progbits
; Kernel info:
; codeLenInByte = 1640
; TotalNumSgprs: 34
; NumVgprs: 18
; ScratchSize: 0
; MemoryBound: 0
; FloatMode: 240
; IeeeMode: 1
; LDSByteSize: 2048 bytes/workgroup (compile time only)
; SGPRBlocks: 0
; VGPRBlocks: 1
; NumSGPRsForWavesPerEU: 34
; NumVGPRsForWavesPerEU: 18
; NamedBarCnt: 0
; Occupancy: 16
; WaveLimiterHint : 1
; COMPUTE_PGM_RSRC2:SCRATCH_EN: 0
; COMPUTE_PGM_RSRC2:USER_SGPR: 2
; COMPUTE_PGM_RSRC2:TRAP_HANDLER: 0
; COMPUTE_PGM_RSRC2:TGID_X_EN: 1
; COMPUTE_PGM_RSRC2:TGID_Y_EN: 0
; COMPUTE_PGM_RSRC2:TGID_Z_EN: 0
; COMPUTE_PGM_RSRC2:TIDIG_COMP_CNT: 0
	.section	.text._ZN9rocsparseL5csrsmILj512ELj64ELb1ElifEEv20rocsparse_operation_T3_S2_NS_24const_host_device_scalarIT4_EEPKT2_PKS2_PKS4_PS4_lPiSA_PS2_21rocsparse_index_base_20rocsparse_fill_mode_20rocsparse_diag_type_b,"axG",@progbits,_ZN9rocsparseL5csrsmILj512ELj64ELb1ElifEEv20rocsparse_operation_T3_S2_NS_24const_host_device_scalarIT4_EEPKT2_PKS2_PKS4_PS4_lPiSA_PS2_21rocsparse_index_base_20rocsparse_fill_mode_20rocsparse_diag_type_b,comdat
	.globl	_ZN9rocsparseL5csrsmILj512ELj64ELb1ElifEEv20rocsparse_operation_T3_S2_NS_24const_host_device_scalarIT4_EEPKT2_PKS2_PKS4_PS4_lPiSA_PS2_21rocsparse_index_base_20rocsparse_fill_mode_20rocsparse_diag_type_b ; -- Begin function _ZN9rocsparseL5csrsmILj512ELj64ELb1ElifEEv20rocsparse_operation_T3_S2_NS_24const_host_device_scalarIT4_EEPKT2_PKS2_PKS4_PS4_lPiSA_PS2_21rocsparse_index_base_20rocsparse_fill_mode_20rocsparse_diag_type_b
	.p2align	8
	.type	_ZN9rocsparseL5csrsmILj512ELj64ELb1ElifEEv20rocsparse_operation_T3_S2_NS_24const_host_device_scalarIT4_EEPKT2_PKS2_PKS4_PS4_lPiSA_PS2_21rocsparse_index_base_20rocsparse_fill_mode_20rocsparse_diag_type_b,@function
_ZN9rocsparseL5csrsmILj512ELj64ELb1ElifEEv20rocsparse_operation_T3_S2_NS_24const_host_device_scalarIT4_EEPKT2_PKS2_PKS4_PS4_lPiSA_PS2_21rocsparse_index_base_20rocsparse_fill_mode_20rocsparse_diag_type_b: ; @_ZN9rocsparseL5csrsmILj512ELj64ELb1ElifEEv20rocsparse_operation_T3_S2_NS_24const_host_device_scalarIT4_EEPKT2_PKS2_PKS4_PS4_lPiSA_PS2_21rocsparse_index_base_20rocsparse_fill_mode_20rocsparse_diag_type_b
; %bb.0:
	s_clause 0x2
	s_load_b128 s[4:7], s[0:1], 0x58
	s_load_b128 s[12:15], s[0:1], 0x10
	s_load_b64 s[2:3], s[0:1], 0x48
	s_wait_kmcnt 0x0
	s_bitcmp1_b32 s7, 0
	s_cselect_b32 s7, -1, 0
	s_delay_alu instid0(SALU_CYCLE_1)
	s_and_b32 vcc_lo, exec_lo, s7
	s_cbranch_vccnz .LBB50_2
; %bb.1:
	s_load_b32 s12, s[12:13], 0x0
.LBB50_2:
	s_nop 0
	s_load_b64 s[22:23], s[0:1], 0x4
	s_bfe_u32 s9, ttmp6, 0x4000c
	s_and_b32 s8, ttmp6, 15
	s_add_co_i32 s9, s9, 1
	s_getreg_b32 s11, hwreg(HW_REG_IB_STS2, 6, 4)
	s_mul_i32 s9, ttmp9, s9
	v_mov_b32_e32 v10, 0
	s_add_co_i32 s8, s8, s9
	s_wait_kmcnt 0x0
	s_cvt_f32_u32 s7, s22
	s_sub_co_i32 s10, 0, s22
	s_delay_alu instid0(SALU_CYCLE_2) | instskip(SKIP_1) | instid1(TRANS32_DEP_1)
	v_rcp_iflag_f32_e32 v1, s7
	v_nop
	v_readfirstlane_b32 s7, v1
	s_mul_f32 s7, s7, 0x4f7ffffe
	s_delay_alu instid0(SALU_CYCLE_3) | instskip(NEXT) | instid1(SALU_CYCLE_3)
	s_cvt_u32_f32 s7, s7
	s_mul_i32 s10, s10, s7
	s_delay_alu instid0(SALU_CYCLE_1) | instskip(NEXT) | instid1(SALU_CYCLE_1)
	s_mul_hi_u32 s10, s7, s10
	s_add_co_i32 s7, s7, s10
	s_cmp_eq_u32 s11, 0
	s_cselect_b32 s8, ttmp9, s8
	s_delay_alu instid0(SALU_CYCLE_1) | instskip(NEXT) | instid1(SALU_CYCLE_1)
	s_mul_hi_u32 s7, s8, s7
	s_mul_i32 s9, s7, s22
	s_add_co_i32 s10, s7, 1
	s_sub_co_i32 s9, s8, s9
	s_delay_alu instid0(SALU_CYCLE_1)
	s_sub_co_i32 s11, s9, s22
	s_cmp_ge_u32 s9, s22
	s_cselect_b32 s7, s10, s7
	s_cselect_b32 s9, s11, s9
	s_add_co_i32 s10, s7, 1
	s_cmp_ge_u32 s9, s22
	s_cselect_b32 s13, s10, s7
	s_delay_alu instid0(SALU_CYCLE_1) | instskip(SKIP_2) | instid1(SALU_CYCLE_1)
	s_mul_i32 s7, s13, s22
	v_lshl_or_b32 v2, s13, 9, v0
	s_sub_co_i32 s8, s8, s7
	s_ashr_i32 s9, s8, 31
	s_delay_alu instid0(VALU_DEP_1) | instskip(SKIP_1) | instid1(SALU_CYCLE_1)
	v_ashrrev_i32_e32 v3, 31, v2
	s_lshl_b64 s[8:9], s[8:9], 2
	s_add_nc_u64 s[2:3], s[2:3], s[8:9]
	s_load_b128 s[8:11], s[0:1], 0x30
	s_load_b32 s20, s[2:3], 0x0
	s_wait_kmcnt 0x0
	s_ashr_i32 s21, s20, 31
	s_delay_alu instid0(SALU_CYCLE_1) | instskip(NEXT) | instid1(SALU_CYCLE_1)
	s_lshl_b64 s[2:3], s[20:21], 3
	s_add_nc_u64 s[2:3], s[14:15], s[2:3]
	s_load_b64 s[14:15], s[0:1], 0x40
	s_load_b128 s[16:19], s[2:3], 0x0
	s_wait_xcnt 0x0
	v_cmp_gt_i32_e64 s2, s23, v2
	s_mul_u64 s[22:23], s[10:11], s[20:21]
	s_and_saveexec_b32 s3, s2
	s_cbranch_execz .LBB50_4
; %bb.3:
	v_add_nc_u64_e32 v[4:5], s[22:23], v[2:3]
	s_delay_alu instid0(VALU_DEP_1)
	v_lshl_add_u64 v[4:5], v[4:5], 2, s[8:9]
	global_load_b32 v1, v[4:5], off
	s_wait_loadcnt 0x0
	v_mul_f32_e32 v10, s12, v1
.LBB50_4:
	s_or_b32 exec_lo, exec_lo, s3
	s_wait_kmcnt 0x0
	v_cmp_ge_i64_e64 s3, s[16:17], s[18:19]
	v_lshl_add_u64 v[2:3], v[2:3], 2, s[8:9]
	v_mov_b32_e32 v13, 1.0
	s_and_b32 vcc_lo, exec_lo, s3
	v_cmp_eq_u32_e64 s3, 0, v0
	s_cbranch_vccnz .LBB50_43
; %bb.5:
	s_clause 0x1
	s_load_b128 s[24:27], s[0:1], 0x20
	s_load_b64 s[8:9], s[0:1], 0x50
	v_dual_mov_b32 v1, 0 :: v_dual_lshlrev_b32 v4, 2, v0
	s_cmp_lg_u32 s6, 0
	s_mov_b32 s31, 0
	s_mov_b32 s30, s4
	s_delay_alu instid0(VALU_DEP_1)
	v_mov_b32_e32 v5, v1
	s_wait_xcnt 0x0
	v_cmp_ne_u32_e64 s0, 0, v0
	s_cselect_b32 s21, -1, 0
	v_or_b32_e32 v11, 0x800, v4
	s_add_co_i32 s28, s20, s4
	s_sub_nc_u64 s[12:13], s[16:17], s[30:31]
	s_cmp_eq_u32 s6, 0
	s_sub_nc_u64 s[16:17], s[18:19], s[30:31]
	s_cselect_b32 s1, -1, 0
	s_mov_b64 s[18:19], s[12:13]
	s_wait_kmcnt 0x0
	v_add_nc_u64_e32 v[6:7], s[24:25], v[4:5]
	v_add_nc_u64_e32 v[8:9], s[26:27], v[4:5]
	v_mov_b32_e32 v5, 1.0
	s_sub_co_i32 s13, s18, s12
	s_delay_alu instid0(SALU_CYCLE_1) | instskip(NEXT) | instid1(SALU_CYCLE_1)
	s_and_b32 s13, s13, 0x1ff
	s_cmp_lg_u32 s13, 0
	s_cbranch_scc1 .LBB50_9
.LBB50_6:
	s_sub_nc_u64 s[24:25], s[16:17], s[18:19]
	v_dual_mov_b32 v12, -1.0 :: v_dual_mov_b32 v13, -1
	v_cmp_gt_i64_e32 vcc_lo, s[24:25], v[0:1]
	s_and_saveexec_b32 s24, vcc_lo
	s_cbranch_execz .LBB50_8
; %bb.7:
	s_lshl_b64 s[26:27], s[18:19], 2
	s_delay_alu instid0(SALU_CYCLE_1)
	v_add_nc_u64_e32 v[14:15], s[26:27], v[6:7]
	v_add_nc_u64_e32 v[16:17], s[26:27], v[8:9]
	global_load_b32 v13, v[14:15], off
	global_load_b32 v12, v[16:17], off
	s_wait_loadcnt 0x1
	v_subrev_nc_u32_e32 v13, s4, v13
.LBB50_8:
	s_wait_xcnt 0x0
	s_or_b32 exec_lo, exec_lo, s24
	ds_store_b32 v4, v13
	s_wait_loadcnt 0x0
	ds_store_b32 v11, v12
.LBB50_9:                               ; =>This Loop Header: Depth=1
                                        ;     Child Loop BB50_41 Depth 2
                                        ;       Child Loop BB50_42 Depth 3
	s_lshl_b32 s13, s13, 2
	s_wait_dscnt 0x0
	v_mov_b32_e32 v12, s13
	s_barrier_signal -1
	s_barrier_wait -1
	ds_load_2addr_stride64_b32 v[12:13], v12 offset1:8
	s_wait_dscnt 0x0
	v_readfirstlane_b32 s24, v12
	v_cmp_neq_f32_e32 vcc_lo, 0, v13
	s_cmp_lg_u32 s24, s20
	s_cselect_b32 s13, -1, 0
	s_delay_alu instid0(SALU_CYCLE_1) | instskip(NEXT) | instid1(SALU_CYCLE_1)
	s_or_b32 s13, s21, s13
	s_or_b32 vcc_lo, vcc_lo, s13
	v_cndmask_b32_e32 v12, 1.0, v13, vcc_lo
	s_nor_b32 s25, s0, vcc_lo
	s_delay_alu instid0(SALU_CYCLE_1)
	s_and_saveexec_b32 s13, s25
	s_cbranch_execz .LBB50_13
; %bb.10:                               ;   in Loop: Header=BB50_9 Depth=1
	v_mbcnt_lo_u32_b32 v12, exec_lo, 0
	s_mov_b32 s25, exec_lo
	s_delay_alu instid0(VALU_DEP_1)
	v_cmpx_eq_u32_e32 0, v12
	s_cbranch_execz .LBB50_12
; %bb.11:                               ;   in Loop: Header=BB50_9 Depth=1
	v_mov_b32_e32 v12, s28
	global_atomic_min_i32 v1, v12, s[8:9] scope:SCOPE_DEV
.LBB50_12:                              ;   in Loop: Header=BB50_9 Depth=1
	s_wait_xcnt 0x0
	s_or_b32 exec_lo, exec_lo, s25
	v_mov_b32_e32 v12, 1.0
.LBB50_13:                              ;   in Loop: Header=BB50_9 Depth=1
	s_or_b32 exec_lo, exec_lo, s13
	s_mov_b32 s26, -1
	s_mov_b32 s13, 0
	s_cmp_lt_i32 s5, 1
	s_mov_b32 s25, 0
                                        ; implicit-def: $vgpr13
	s_cbranch_scc0 .LBB50_20
; %bb.14:                               ;   in Loop: Header=BB50_9 Depth=1
	s_and_b32 vcc_lo, exec_lo, s26
	s_mov_b32 s26, 4
	s_cbranch_vccnz .LBB50_25
.LBB50_15:                              ;   in Loop: Header=BB50_9 Depth=1
	v_mov_b32_e32 v14, v10
	s_and_b32 vcc_lo, exec_lo, s25
	s_cbranch_vccnz .LBB50_30
.LBB50_16:                              ;   in Loop: Header=BB50_9 Depth=1
	s_and_b32 vcc_lo, exec_lo, s13
	s_cbranch_vccnz .LBB50_35
.LBB50_17:                              ;   in Loop: Header=BB50_9 Depth=1
	s_mov_b32 s13, -1
	s_cmp_gt_i32 s26, 3
	s_mov_b32 s24, -1
	s_cbranch_scc0 .LBB50_36
.LBB50_18:                              ;   in Loop: Header=BB50_9 Depth=1
	s_and_not1_b32 vcc_lo, exec_lo, s24
	s_cbranch_vccz .LBB50_37
.LBB50_19:                              ;   in Loop: Header=BB50_9 Depth=1
	s_and_not1_b32 vcc_lo, exec_lo, s13
	s_cbranch_vccnz .LBB50_38
	s_branch .LBB50_44
.LBB50_20:                              ;   in Loop: Header=BB50_9 Depth=1
	s_cmp_eq_u32 s5, 1
	s_mov_b32 s25, -1
                                        ; implicit-def: $vgpr13
	s_cbranch_scc0 .LBB50_24
; %bb.21:                               ;   in Loop: Header=BB50_9 Depth=1
	v_mov_b32_e32 v13, v5
	s_cmp_ge_i32 s24, s20
	s_mov_b32 s25, 0
	s_cbranch_scc0 .LBB50_24
; %bb.22:                               ;   in Loop: Header=BB50_9 Depth=1
	s_cmp_eq_u32 s24, s20
	s_mov_b32 s25, -1
                                        ; implicit-def: $vgpr13
	s_cbranch_scc0 .LBB50_24
; %bb.23:                               ;   in Loop: Header=BB50_9 Depth=1
	v_div_scale_f32 v13, null, v12, v12, 1.0
	s_mov_b32 s25, 0
	v_rcp_f32_e32 v14, v13
	v_nop
	s_delay_alu instid0(TRANS32_DEP_1) | instskip(NEXT) | instid1(VALU_DEP_1)
	v_fma_f32 v15, -v13, v14, 1.0
	v_fmac_f32_e32 v14, v15, v14
	v_div_scale_f32 v15, vcc_lo, 1.0, v12, 1.0
	s_delay_alu instid0(VALU_DEP_1) | instskip(NEXT) | instid1(VALU_DEP_1)
	v_mul_f32_e32 v16, v15, v14
	v_fma_f32 v17, -v13, v16, v15
	s_delay_alu instid0(VALU_DEP_1) | instskip(NEXT) | instid1(VALU_DEP_1)
	v_fmac_f32_e32 v16, v17, v14
	v_fma_f32 v13, -v13, v16, v15
	s_delay_alu instid0(VALU_DEP_1) | instskip(NEXT) | instid1(VALU_DEP_1)
	v_div_fmas_f32 v13, v13, v14, v16
	v_div_fixup_f32 v13, v13, v12, 1.0
	s_delay_alu instid0(VALU_DEP_1)
	v_cndmask_b32_e64 v13, v5, v13, s1
.LBB50_24:                              ;   in Loop: Header=BB50_9 Depth=1
	s_mov_b32 s26, 4
	s_branch .LBB50_15
.LBB50_25:                              ;   in Loop: Header=BB50_9 Depth=1
	s_cmp_eq_u32 s5, 0
	s_cbranch_scc1 .LBB50_27
; %bb.26:                               ;   in Loop: Header=BB50_9 Depth=1
	s_mov_b32 s25, -1
	s_branch .LBB50_29
.LBB50_27:                              ;   in Loop: Header=BB50_9 Depth=1
	s_cmp_le_i32 s24, s20
	s_mov_b32 s25, 0
	s_cbranch_scc0 .LBB50_29
; %bb.28:                               ;   in Loop: Header=BB50_9 Depth=1
	s_cmp_lg_u32 s24, s20
	s_mov_b32 s13, -1
	s_cselect_b32 s25, -1, 0
.LBB50_29:                              ;   in Loop: Header=BB50_9 Depth=1
	v_mov_b32_e32 v13, v5
	s_mov_b32 s26, 2
	v_mov_b32_e32 v14, v10
	s_and_b32 vcc_lo, exec_lo, s25
	s_cbranch_vccz .LBB50_16
.LBB50_30:                              ;   in Loop: Header=BB50_9 Depth=1
	s_and_saveexec_b32 s13, s3
	s_cbranch_execz .LBB50_32
; %bb.31:                               ;   in Loop: Header=BB50_9 Depth=1
	s_add_co_i32 s26, s24, s7
	s_delay_alu instid0(SALU_CYCLE_1)
	v_mov_b32_e32 v13, s26
	global_load_b32 v13, v13, s[14:15] scale_offset scope:SCOPE_DEV
	s_wait_loadcnt 0x0
	v_cmp_ne_u32_e32 vcc_lo, 0, v13
	s_cbranch_vccz .LBB50_39
.LBB50_32:                              ;   in Loop: Header=BB50_9 Depth=1
	s_wait_xcnt 0x0
	s_or_b32 exec_lo, exec_lo, s13
	v_mov_b32_e32 v14, 0
	s_wait_storecnt 0x0
	s_barrier_signal -1
	s_barrier_wait -1
	global_inv scope:SCOPE_DEV
	s_and_saveexec_b32 s13, s2
	s_cbranch_execz .LBB50_34
; %bb.33:                               ;   in Loop: Header=BB50_9 Depth=1
	s_ashr_i32 s25, s24, 31
	s_delay_alu instid0(SALU_CYCLE_1) | instskip(NEXT) | instid1(SALU_CYCLE_1)
	s_mul_u64 s[24:25], s[10:11], s[24:25]
	v_lshl_add_u64 v[14:15], s[24:25], 2, v[2:3]
	global_load_b32 v13, v[14:15], off
	s_wait_loadcnt 0x0
	v_fma_f32 v14, -v12, v13, v10
.LBB50_34:                              ;   in Loop: Header=BB50_9 Depth=1
	s_or_b32 exec_lo, exec_lo, s13
	v_mov_b32_e32 v13, v5
	s_mov_b32 s26, 0
	s_branch .LBB50_17
.LBB50_35:                              ;   in Loop: Header=BB50_9 Depth=1
	v_div_scale_f32 v13, null, v12, v12, 1.0
	v_div_scale_f32 v16, vcc_lo, 1.0, v12, 1.0
	s_mov_b32 s26, 2
	v_rcp_f32_e32 v14, v13
	v_nop
	s_delay_alu instid0(TRANS32_DEP_1) | instskip(NEXT) | instid1(VALU_DEP_1)
	v_fma_f32 v15, -v13, v14, 1.0
	v_fmac_f32_e32 v14, v15, v14
	s_delay_alu instid0(VALU_DEP_1) | instskip(NEXT) | instid1(VALU_DEP_1)
	v_mul_f32_e32 v15, v16, v14
	v_fma_f32 v17, -v13, v15, v16
	s_delay_alu instid0(VALU_DEP_1) | instskip(NEXT) | instid1(VALU_DEP_1)
	v_fmac_f32_e32 v15, v17, v14
	v_fma_f32 v13, -v13, v15, v16
	s_delay_alu instid0(VALU_DEP_1) | instskip(SKIP_1) | instid1(VALU_DEP_2)
	v_div_fmas_f32 v13, v13, v14, v15
	v_mov_b32_e32 v14, v10
	v_div_fixup_f32 v12, v13, v12, 1.0
	s_delay_alu instid0(VALU_DEP_1)
	v_cndmask_b32_e64 v13, v5, v12, s1
	s_mov_b32 s13, -1
	s_cmp_gt_i32 s26, 3
	s_mov_b32 s24, -1
	s_cbranch_scc1 .LBB50_18
.LBB50_36:                              ;   in Loop: Header=BB50_9 Depth=1
	s_cmp_eq_u32 s26, 0
	s_cselect_b32 s24, -1, 0
	s_delay_alu instid0(SALU_CYCLE_1)
	s_and_not1_b32 vcc_lo, exec_lo, s24
	s_cbranch_vccnz .LBB50_19
.LBB50_37:                              ;   in Loop: Header=BB50_9 Depth=1
	s_add_nc_u64 s[18:19], s[18:19], 1
	s_delay_alu instid0(SALU_CYCLE_1)
	v_cmp_ge_i64_e64 s13, s[18:19], s[16:17]
	s_and_not1_b32 vcc_lo, exec_lo, s13
	s_cbranch_vccz .LBB50_44
.LBB50_38:                              ;   in Loop: Header=BB50_9 Depth=1
	v_dual_mov_b32 v10, v14 :: v_dual_mov_b32 v5, v13
	s_sub_co_i32 s13, s18, s12
	s_delay_alu instid0(SALU_CYCLE_1) | instskip(NEXT) | instid1(SALU_CYCLE_1)
	s_and_b32 s13, s13, 0x1ff
	s_cmp_lg_u32 s13, 0
	s_cbranch_scc1 .LBB50_9
	s_branch .LBB50_6
.LBB50_39:                              ;   in Loop: Header=BB50_9 Depth=1
	s_ashr_i32 s27, s26, 31
	s_mov_b32 s25, 0
	s_lshl_b64 s[26:27], s[26:27], 2
	s_delay_alu instid0(SALU_CYCLE_1)
	s_add_nc_u64 s[26:27], s[14:15], s[26:27]
	s_branch .LBB50_41
.LBB50_40:                              ;   in Loop: Header=BB50_41 Depth=2
	global_load_b32 v13, v1, s[26:27] scope:SCOPE_DEV
	s_cmp_lt_u32 s25, 0xf43
	s_cselect_b32 s29, -1, 0
	s_delay_alu instid0(SALU_CYCLE_1)
	s_cmp_lg_u32 s29, 0
	s_add_co_ci_u32 s25, s25, 0
	s_wait_loadcnt 0x0
	v_cmp_ne_u32_e32 vcc_lo, 0, v13
	s_cbranch_vccnz .LBB50_32
.LBB50_41:                              ;   Parent Loop BB50_9 Depth=1
                                        ; =>  This Loop Header: Depth=2
                                        ;       Child Loop BB50_42 Depth 3
	s_cmp_eq_u32 s25, 0
	s_mov_b32 s29, s25
	s_cbranch_scc1 .LBB50_40
.LBB50_42:                              ;   Parent Loop BB50_9 Depth=1
                                        ;     Parent Loop BB50_41 Depth=2
                                        ; =>    This Inner Loop Header: Depth=3
	s_add_co_i32 s29, s29, -1
	s_sleep 1
	s_cmp_eq_u32 s29, 0
	s_cbranch_scc0 .LBB50_42
	s_branch .LBB50_40
.LBB50_43:
	v_mov_b32_e32 v14, v10
.LBB50_44:
	s_and_saveexec_b32 s0, s2
	s_cbranch_execz .LBB50_46
; %bb.45:
	s_delay_alu instid0(VALU_DEP_1) | instskip(SKIP_3) | instid1(VALU_DEP_2)
	v_mul_f32_e32 v1, v13, v14
	s_cmp_eq_u32 s6, 0
	v_lshl_add_u64 v[2:3], s[22:23], 2, v[2:3]
	s_cselect_b32 vcc_lo, -1, 0
	v_cndmask_b32_e32 v1, v14, v1, vcc_lo
	global_store_b32 v[2:3], v1, off
.LBB50_46:
	s_wait_xcnt 0x0
	s_or_b32 exec_lo, exec_lo, s0
	global_wb scope:SCOPE_DEV
	s_wait_loadcnt 0x0
	s_wait_storecnt 0x0
	global_inv scope:SCOPE_DEV
	s_wait_loadcnt 0x0
	s_barrier_signal -1
	s_barrier_wait -1
	s_mov_b32 s0, exec_lo
	v_cmpx_eq_u32_e32 0, v0
	s_cbranch_execz .LBB50_48
; %bb.47:
	s_add_co_i32 s0, s20, s7
	s_delay_alu instid0(SALU_CYCLE_1)
	v_dual_mov_b32 v0, 1 :: v_dual_mov_b32 v1, s0
	global_store_b32 v1, v0, s[14:15] scale_offset scope:SCOPE_DEV
.LBB50_48:
	s_endpgm
	.section	.rodata,"a",@progbits
	.p2align	6, 0x0
	.amdhsa_kernel _ZN9rocsparseL5csrsmILj512ELj64ELb1ElifEEv20rocsparse_operation_T3_S2_NS_24const_host_device_scalarIT4_EEPKT2_PKS2_PKS4_PS4_lPiSA_PS2_21rocsparse_index_base_20rocsparse_fill_mode_20rocsparse_diag_type_b
		.amdhsa_group_segment_fixed_size 4096
		.amdhsa_private_segment_fixed_size 0
		.amdhsa_kernarg_size 104
		.amdhsa_user_sgpr_count 2
		.amdhsa_user_sgpr_dispatch_ptr 0
		.amdhsa_user_sgpr_queue_ptr 0
		.amdhsa_user_sgpr_kernarg_segment_ptr 1
		.amdhsa_user_sgpr_dispatch_id 0
		.amdhsa_user_sgpr_kernarg_preload_length 0
		.amdhsa_user_sgpr_kernarg_preload_offset 0
		.amdhsa_user_sgpr_private_segment_size 0
		.amdhsa_wavefront_size32 1
		.amdhsa_uses_dynamic_stack 0
		.amdhsa_enable_private_segment 0
		.amdhsa_system_sgpr_workgroup_id_x 1
		.amdhsa_system_sgpr_workgroup_id_y 0
		.amdhsa_system_sgpr_workgroup_id_z 0
		.amdhsa_system_sgpr_workgroup_info 0
		.amdhsa_system_vgpr_workitem_id 0
		.amdhsa_next_free_vgpr 18
		.amdhsa_next_free_sgpr 32
		.amdhsa_named_barrier_count 0
		.amdhsa_reserve_vcc 1
		.amdhsa_float_round_mode_32 0
		.amdhsa_float_round_mode_16_64 0
		.amdhsa_float_denorm_mode_32 3
		.amdhsa_float_denorm_mode_16_64 3
		.amdhsa_fp16_overflow 0
		.amdhsa_memory_ordered 1
		.amdhsa_forward_progress 1
		.amdhsa_inst_pref_size 14
		.amdhsa_round_robin_scheduling 0
		.amdhsa_exception_fp_ieee_invalid_op 0
		.amdhsa_exception_fp_denorm_src 0
		.amdhsa_exception_fp_ieee_div_zero 0
		.amdhsa_exception_fp_ieee_overflow 0
		.amdhsa_exception_fp_ieee_underflow 0
		.amdhsa_exception_fp_ieee_inexact 0
		.amdhsa_exception_int_div_zero 0
	.end_amdhsa_kernel
	.section	.text._ZN9rocsparseL5csrsmILj512ELj64ELb1ElifEEv20rocsparse_operation_T3_S2_NS_24const_host_device_scalarIT4_EEPKT2_PKS2_PKS4_PS4_lPiSA_PS2_21rocsparse_index_base_20rocsparse_fill_mode_20rocsparse_diag_type_b,"axG",@progbits,_ZN9rocsparseL5csrsmILj512ELj64ELb1ElifEEv20rocsparse_operation_T3_S2_NS_24const_host_device_scalarIT4_EEPKT2_PKS2_PKS4_PS4_lPiSA_PS2_21rocsparse_index_base_20rocsparse_fill_mode_20rocsparse_diag_type_b,comdat
.Lfunc_end50:
	.size	_ZN9rocsparseL5csrsmILj512ELj64ELb1ElifEEv20rocsparse_operation_T3_S2_NS_24const_host_device_scalarIT4_EEPKT2_PKS2_PKS4_PS4_lPiSA_PS2_21rocsparse_index_base_20rocsparse_fill_mode_20rocsparse_diag_type_b, .Lfunc_end50-_ZN9rocsparseL5csrsmILj512ELj64ELb1ElifEEv20rocsparse_operation_T3_S2_NS_24const_host_device_scalarIT4_EEPKT2_PKS2_PKS4_PS4_lPiSA_PS2_21rocsparse_index_base_20rocsparse_fill_mode_20rocsparse_diag_type_b
                                        ; -- End function
	.set _ZN9rocsparseL5csrsmILj512ELj64ELb1ElifEEv20rocsparse_operation_T3_S2_NS_24const_host_device_scalarIT4_EEPKT2_PKS2_PKS4_PS4_lPiSA_PS2_21rocsparse_index_base_20rocsparse_fill_mode_20rocsparse_diag_type_b.num_vgpr, 18
	.set _ZN9rocsparseL5csrsmILj512ELj64ELb1ElifEEv20rocsparse_operation_T3_S2_NS_24const_host_device_scalarIT4_EEPKT2_PKS2_PKS4_PS4_lPiSA_PS2_21rocsparse_index_base_20rocsparse_fill_mode_20rocsparse_diag_type_b.num_agpr, 0
	.set _ZN9rocsparseL5csrsmILj512ELj64ELb1ElifEEv20rocsparse_operation_T3_S2_NS_24const_host_device_scalarIT4_EEPKT2_PKS2_PKS4_PS4_lPiSA_PS2_21rocsparse_index_base_20rocsparse_fill_mode_20rocsparse_diag_type_b.numbered_sgpr, 32
	.set _ZN9rocsparseL5csrsmILj512ELj64ELb1ElifEEv20rocsparse_operation_T3_S2_NS_24const_host_device_scalarIT4_EEPKT2_PKS2_PKS4_PS4_lPiSA_PS2_21rocsparse_index_base_20rocsparse_fill_mode_20rocsparse_diag_type_b.num_named_barrier, 0
	.set _ZN9rocsparseL5csrsmILj512ELj64ELb1ElifEEv20rocsparse_operation_T3_S2_NS_24const_host_device_scalarIT4_EEPKT2_PKS2_PKS4_PS4_lPiSA_PS2_21rocsparse_index_base_20rocsparse_fill_mode_20rocsparse_diag_type_b.private_seg_size, 0
	.set _ZN9rocsparseL5csrsmILj512ELj64ELb1ElifEEv20rocsparse_operation_T3_S2_NS_24const_host_device_scalarIT4_EEPKT2_PKS2_PKS4_PS4_lPiSA_PS2_21rocsparse_index_base_20rocsparse_fill_mode_20rocsparse_diag_type_b.uses_vcc, 1
	.set _ZN9rocsparseL5csrsmILj512ELj64ELb1ElifEEv20rocsparse_operation_T3_S2_NS_24const_host_device_scalarIT4_EEPKT2_PKS2_PKS4_PS4_lPiSA_PS2_21rocsparse_index_base_20rocsparse_fill_mode_20rocsparse_diag_type_b.uses_flat_scratch, 0
	.set _ZN9rocsparseL5csrsmILj512ELj64ELb1ElifEEv20rocsparse_operation_T3_S2_NS_24const_host_device_scalarIT4_EEPKT2_PKS2_PKS4_PS4_lPiSA_PS2_21rocsparse_index_base_20rocsparse_fill_mode_20rocsparse_diag_type_b.has_dyn_sized_stack, 0
	.set _ZN9rocsparseL5csrsmILj512ELj64ELb1ElifEEv20rocsparse_operation_T3_S2_NS_24const_host_device_scalarIT4_EEPKT2_PKS2_PKS4_PS4_lPiSA_PS2_21rocsparse_index_base_20rocsparse_fill_mode_20rocsparse_diag_type_b.has_recursion, 0
	.set _ZN9rocsparseL5csrsmILj512ELj64ELb1ElifEEv20rocsparse_operation_T3_S2_NS_24const_host_device_scalarIT4_EEPKT2_PKS2_PKS4_PS4_lPiSA_PS2_21rocsparse_index_base_20rocsparse_fill_mode_20rocsparse_diag_type_b.has_indirect_call, 0
	.section	.AMDGPU.csdata,"",@progbits
; Kernel info:
; codeLenInByte = 1704
; TotalNumSgprs: 34
; NumVgprs: 18
; ScratchSize: 0
; MemoryBound: 0
; FloatMode: 240
; IeeeMode: 1
; LDSByteSize: 4096 bytes/workgroup (compile time only)
; SGPRBlocks: 0
; VGPRBlocks: 1
; NumSGPRsForWavesPerEU: 34
; NumVGPRsForWavesPerEU: 18
; NamedBarCnt: 0
; Occupancy: 16
; WaveLimiterHint : 1
; COMPUTE_PGM_RSRC2:SCRATCH_EN: 0
; COMPUTE_PGM_RSRC2:USER_SGPR: 2
; COMPUTE_PGM_RSRC2:TRAP_HANDLER: 0
; COMPUTE_PGM_RSRC2:TGID_X_EN: 1
; COMPUTE_PGM_RSRC2:TGID_Y_EN: 0
; COMPUTE_PGM_RSRC2:TGID_Z_EN: 0
; COMPUTE_PGM_RSRC2:TIDIG_COMP_CNT: 0
	.section	.text._ZN9rocsparseL5csrsmILj512ELj64ELb0ElifEEv20rocsparse_operation_T3_S2_NS_24const_host_device_scalarIT4_EEPKT2_PKS2_PKS4_PS4_lPiSA_PS2_21rocsparse_index_base_20rocsparse_fill_mode_20rocsparse_diag_type_b,"axG",@progbits,_ZN9rocsparseL5csrsmILj512ELj64ELb0ElifEEv20rocsparse_operation_T3_S2_NS_24const_host_device_scalarIT4_EEPKT2_PKS2_PKS4_PS4_lPiSA_PS2_21rocsparse_index_base_20rocsparse_fill_mode_20rocsparse_diag_type_b,comdat
	.globl	_ZN9rocsparseL5csrsmILj512ELj64ELb0ElifEEv20rocsparse_operation_T3_S2_NS_24const_host_device_scalarIT4_EEPKT2_PKS2_PKS4_PS4_lPiSA_PS2_21rocsparse_index_base_20rocsparse_fill_mode_20rocsparse_diag_type_b ; -- Begin function _ZN9rocsparseL5csrsmILj512ELj64ELb0ElifEEv20rocsparse_operation_T3_S2_NS_24const_host_device_scalarIT4_EEPKT2_PKS2_PKS4_PS4_lPiSA_PS2_21rocsparse_index_base_20rocsparse_fill_mode_20rocsparse_diag_type_b
	.p2align	8
	.type	_ZN9rocsparseL5csrsmILj512ELj64ELb0ElifEEv20rocsparse_operation_T3_S2_NS_24const_host_device_scalarIT4_EEPKT2_PKS2_PKS4_PS4_lPiSA_PS2_21rocsparse_index_base_20rocsparse_fill_mode_20rocsparse_diag_type_b,@function
_ZN9rocsparseL5csrsmILj512ELj64ELb0ElifEEv20rocsparse_operation_T3_S2_NS_24const_host_device_scalarIT4_EEPKT2_PKS2_PKS4_PS4_lPiSA_PS2_21rocsparse_index_base_20rocsparse_fill_mode_20rocsparse_diag_type_b: ; @_ZN9rocsparseL5csrsmILj512ELj64ELb0ElifEEv20rocsparse_operation_T3_S2_NS_24const_host_device_scalarIT4_EEPKT2_PKS2_PKS4_PS4_lPiSA_PS2_21rocsparse_index_base_20rocsparse_fill_mode_20rocsparse_diag_type_b
; %bb.0:
	s_clause 0x2
	s_load_b128 s[4:7], s[0:1], 0x58
	s_load_b128 s[12:15], s[0:1], 0x10
	s_load_b64 s[2:3], s[0:1], 0x48
	s_wait_kmcnt 0x0
	s_bitcmp1_b32 s7, 0
	s_cselect_b32 s7, -1, 0
	s_delay_alu instid0(SALU_CYCLE_1)
	s_and_b32 vcc_lo, exec_lo, s7
	s_cbranch_vccnz .LBB51_2
; %bb.1:
	s_load_b32 s12, s[12:13], 0x0
.LBB51_2:
	s_nop 0
	s_load_b64 s[22:23], s[0:1], 0x4
	s_bfe_u32 s9, ttmp6, 0x4000c
	s_and_b32 s8, ttmp6, 15
	s_add_co_i32 s9, s9, 1
	s_getreg_b32 s11, hwreg(HW_REG_IB_STS2, 6, 4)
	s_mul_i32 s9, ttmp9, s9
	v_mov_b32_e32 v10, 0
	s_add_co_i32 s8, s8, s9
	s_wait_kmcnt 0x0
	s_cvt_f32_u32 s7, s22
	s_sub_co_i32 s10, 0, s22
	s_delay_alu instid0(SALU_CYCLE_2) | instskip(SKIP_1) | instid1(TRANS32_DEP_1)
	v_rcp_iflag_f32_e32 v1, s7
	v_nop
	v_readfirstlane_b32 s7, v1
	s_mul_f32 s7, s7, 0x4f7ffffe
	s_delay_alu instid0(SALU_CYCLE_3) | instskip(NEXT) | instid1(SALU_CYCLE_3)
	s_cvt_u32_f32 s7, s7
	s_mul_i32 s10, s10, s7
	s_delay_alu instid0(SALU_CYCLE_1) | instskip(NEXT) | instid1(SALU_CYCLE_1)
	s_mul_hi_u32 s10, s7, s10
	s_add_co_i32 s7, s7, s10
	s_cmp_eq_u32 s11, 0
	s_cselect_b32 s8, ttmp9, s8
	s_delay_alu instid0(SALU_CYCLE_1) | instskip(NEXT) | instid1(SALU_CYCLE_1)
	s_mul_hi_u32 s7, s8, s7
	s_mul_i32 s9, s7, s22
	s_add_co_i32 s10, s7, 1
	s_sub_co_i32 s9, s8, s9
	s_delay_alu instid0(SALU_CYCLE_1)
	s_sub_co_i32 s11, s9, s22
	s_cmp_ge_u32 s9, s22
	s_cselect_b32 s7, s10, s7
	s_cselect_b32 s9, s11, s9
	s_add_co_i32 s10, s7, 1
	s_cmp_ge_u32 s9, s22
	s_cselect_b32 s13, s10, s7
	s_delay_alu instid0(SALU_CYCLE_1) | instskip(SKIP_2) | instid1(SALU_CYCLE_1)
	s_mul_i32 s7, s13, s22
	v_lshl_or_b32 v2, s13, 9, v0
	s_sub_co_i32 s8, s8, s7
	s_ashr_i32 s9, s8, 31
	s_delay_alu instid0(VALU_DEP_1) | instskip(SKIP_1) | instid1(SALU_CYCLE_1)
	v_ashrrev_i32_e32 v3, 31, v2
	s_lshl_b64 s[8:9], s[8:9], 2
	s_add_nc_u64 s[2:3], s[2:3], s[8:9]
	s_load_b128 s[8:11], s[0:1], 0x30
	s_load_b32 s20, s[2:3], 0x0
	s_wait_kmcnt 0x0
	s_ashr_i32 s21, s20, 31
	s_delay_alu instid0(SALU_CYCLE_1) | instskip(NEXT) | instid1(SALU_CYCLE_1)
	s_lshl_b64 s[2:3], s[20:21], 3
	s_add_nc_u64 s[2:3], s[14:15], s[2:3]
	s_load_b64 s[14:15], s[0:1], 0x40
	s_load_b128 s[16:19], s[2:3], 0x0
	s_wait_xcnt 0x0
	v_cmp_gt_i32_e64 s2, s23, v2
	s_mul_u64 s[22:23], s[10:11], s[20:21]
	s_and_saveexec_b32 s3, s2
	s_cbranch_execz .LBB51_4
; %bb.3:
	v_add_nc_u64_e32 v[4:5], s[22:23], v[2:3]
	s_delay_alu instid0(VALU_DEP_1)
	v_lshl_add_u64 v[4:5], v[4:5], 2, s[8:9]
	global_load_b32 v1, v[4:5], off
	s_wait_loadcnt 0x0
	v_mul_f32_e32 v10, s12, v1
.LBB51_4:
	s_or_b32 exec_lo, exec_lo, s3
	s_wait_kmcnt 0x0
	v_cmp_ge_i64_e64 s3, s[16:17], s[18:19]
	v_lshl_add_u64 v[2:3], v[2:3], 2, s[8:9]
	v_mov_b32_e32 v13, 1.0
	s_and_b32 vcc_lo, exec_lo, s3
	v_cmp_eq_u32_e64 s3, 0, v0
	s_cbranch_vccnz .LBB51_41
; %bb.5:
	s_clause 0x1
	s_load_b128 s[24:27], s[0:1], 0x20
	s_load_b64 s[8:9], s[0:1], 0x50
	v_dual_mov_b32 v1, 0 :: v_dual_lshlrev_b32 v4, 2, v0
	s_cmp_lg_u32 s6, 0
	s_mov_b32 s31, 0
	s_mov_b32 s30, s4
	s_delay_alu instid0(VALU_DEP_1)
	v_mov_b32_e32 v5, v1
	s_wait_xcnt 0x0
	v_cmp_ne_u32_e64 s0, 0, v0
	s_cselect_b32 s21, -1, 0
	v_or_b32_e32 v11, 0x800, v4
	s_add_co_i32 s28, s20, s4
	s_sub_nc_u64 s[12:13], s[16:17], s[30:31]
	s_cmp_eq_u32 s6, 0
	s_sub_nc_u64 s[16:17], s[18:19], s[30:31]
	s_cselect_b32 s1, -1, 0
	s_mov_b64 s[18:19], s[12:13]
	s_wait_kmcnt 0x0
	v_add_nc_u64_e32 v[6:7], s[24:25], v[4:5]
	v_add_nc_u64_e32 v[8:9], s[26:27], v[4:5]
	v_mov_b32_e32 v5, 1.0
	s_sub_co_i32 s13, s18, s12
	s_delay_alu instid0(SALU_CYCLE_1) | instskip(NEXT) | instid1(SALU_CYCLE_1)
	s_and_b32 s13, s13, 0x1ff
	s_cmp_lg_u32 s13, 0
	s_cbranch_scc1 .LBB51_9
.LBB51_6:
	s_sub_nc_u64 s[24:25], s[16:17], s[18:19]
	v_dual_mov_b32 v12, -1.0 :: v_dual_mov_b32 v13, -1
	v_cmp_gt_i64_e32 vcc_lo, s[24:25], v[0:1]
	s_and_saveexec_b32 s24, vcc_lo
	s_cbranch_execz .LBB51_8
; %bb.7:
	s_lshl_b64 s[26:27], s[18:19], 2
	s_delay_alu instid0(SALU_CYCLE_1)
	v_add_nc_u64_e32 v[14:15], s[26:27], v[6:7]
	v_add_nc_u64_e32 v[16:17], s[26:27], v[8:9]
	global_load_b32 v13, v[14:15], off
	global_load_b32 v12, v[16:17], off
	s_wait_loadcnt 0x1
	v_subrev_nc_u32_e32 v13, s4, v13
.LBB51_8:
	s_wait_xcnt 0x0
	s_or_b32 exec_lo, exec_lo, s24
	ds_store_b32 v4, v13
	s_wait_loadcnt 0x0
	ds_store_b32 v11, v12
.LBB51_9:                               ; =>This Loop Header: Depth=1
                                        ;     Child Loop BB51_33 Depth 2
	s_lshl_b32 s13, s13, 2
	s_wait_dscnt 0x0
	v_mov_b32_e32 v12, s13
	s_barrier_signal -1
	s_barrier_wait -1
	ds_load_2addr_stride64_b32 v[12:13], v12 offset1:8
	s_wait_dscnt 0x0
	v_readfirstlane_b32 s24, v12
	v_cmp_neq_f32_e32 vcc_lo, 0, v13
	s_cmp_lg_u32 s24, s20
	s_cselect_b32 s13, -1, 0
	s_delay_alu instid0(SALU_CYCLE_1) | instskip(NEXT) | instid1(SALU_CYCLE_1)
	s_or_b32 s13, s21, s13
	s_or_b32 vcc_lo, vcc_lo, s13
	v_cndmask_b32_e32 v12, 1.0, v13, vcc_lo
	s_nor_b32 s25, s0, vcc_lo
	s_delay_alu instid0(SALU_CYCLE_1)
	s_and_saveexec_b32 s13, s25
	s_cbranch_execz .LBB51_13
; %bb.10:                               ;   in Loop: Header=BB51_9 Depth=1
	v_mbcnt_lo_u32_b32 v12, exec_lo, 0
	s_mov_b32 s25, exec_lo
	s_delay_alu instid0(VALU_DEP_1)
	v_cmpx_eq_u32_e32 0, v12
	s_cbranch_execz .LBB51_12
; %bb.11:                               ;   in Loop: Header=BB51_9 Depth=1
	v_mov_b32_e32 v12, s28
	global_atomic_min_i32 v1, v12, s[8:9] scope:SCOPE_DEV
.LBB51_12:                              ;   in Loop: Header=BB51_9 Depth=1
	s_wait_xcnt 0x0
	s_or_b32 exec_lo, exec_lo, s25
	v_mov_b32_e32 v12, 1.0
.LBB51_13:                              ;   in Loop: Header=BB51_9 Depth=1
	s_or_b32 exec_lo, exec_lo, s13
	s_mov_b32 s26, -1
	s_mov_b32 s13, 0
	s_cmp_lt_i32 s5, 1
	s_mov_b32 s25, 0
                                        ; implicit-def: $vgpr13
	s_cbranch_scc0 .LBB51_20
; %bb.14:                               ;   in Loop: Header=BB51_9 Depth=1
	s_and_b32 vcc_lo, exec_lo, s26
	s_mov_b32 s26, 4
	s_cbranch_vccnz .LBB51_25
.LBB51_15:                              ;   in Loop: Header=BB51_9 Depth=1
	v_mov_b32_e32 v14, v10
	s_and_b32 vcc_lo, exec_lo, s25
	s_cbranch_vccnz .LBB51_30
.LBB51_16:                              ;   in Loop: Header=BB51_9 Depth=1
	s_and_b32 vcc_lo, exec_lo, s13
	s_cbranch_vccnz .LBB51_37
.LBB51_17:                              ;   in Loop: Header=BB51_9 Depth=1
	s_mov_b32 s13, -1
	s_cmp_gt_i32 s26, 3
	s_mov_b32 s24, -1
	s_cbranch_scc0 .LBB51_38
.LBB51_18:                              ;   in Loop: Header=BB51_9 Depth=1
	s_and_not1_b32 vcc_lo, exec_lo, s24
	s_cbranch_vccz .LBB51_39
.LBB51_19:                              ;   in Loop: Header=BB51_9 Depth=1
	s_and_not1_b32 vcc_lo, exec_lo, s13
	s_cbranch_vccnz .LBB51_40
	s_branch .LBB51_42
.LBB51_20:                              ;   in Loop: Header=BB51_9 Depth=1
	s_cmp_eq_u32 s5, 1
	s_mov_b32 s25, -1
                                        ; implicit-def: $vgpr13
	s_cbranch_scc0 .LBB51_24
; %bb.21:                               ;   in Loop: Header=BB51_9 Depth=1
	v_mov_b32_e32 v13, v5
	s_cmp_ge_i32 s24, s20
	s_mov_b32 s25, 0
	s_cbranch_scc0 .LBB51_24
; %bb.22:                               ;   in Loop: Header=BB51_9 Depth=1
	s_cmp_eq_u32 s24, s20
	s_mov_b32 s25, -1
                                        ; implicit-def: $vgpr13
	s_cbranch_scc0 .LBB51_24
; %bb.23:                               ;   in Loop: Header=BB51_9 Depth=1
	v_div_scale_f32 v13, null, v12, v12, 1.0
	s_mov_b32 s25, 0
	v_rcp_f32_e32 v14, v13
	v_nop
	s_delay_alu instid0(TRANS32_DEP_1) | instskip(NEXT) | instid1(VALU_DEP_1)
	v_fma_f32 v15, -v13, v14, 1.0
	v_fmac_f32_e32 v14, v15, v14
	v_div_scale_f32 v15, vcc_lo, 1.0, v12, 1.0
	s_delay_alu instid0(VALU_DEP_1) | instskip(NEXT) | instid1(VALU_DEP_1)
	v_mul_f32_e32 v16, v15, v14
	v_fma_f32 v17, -v13, v16, v15
	s_delay_alu instid0(VALU_DEP_1) | instskip(NEXT) | instid1(VALU_DEP_1)
	v_fmac_f32_e32 v16, v17, v14
	v_fma_f32 v13, -v13, v16, v15
	s_delay_alu instid0(VALU_DEP_1) | instskip(NEXT) | instid1(VALU_DEP_1)
	v_div_fmas_f32 v13, v13, v14, v16
	v_div_fixup_f32 v13, v13, v12, 1.0
	s_delay_alu instid0(VALU_DEP_1)
	v_cndmask_b32_e64 v13, v5, v13, s1
.LBB51_24:                              ;   in Loop: Header=BB51_9 Depth=1
	s_mov_b32 s26, 4
	s_branch .LBB51_15
.LBB51_25:                              ;   in Loop: Header=BB51_9 Depth=1
	s_cmp_eq_u32 s5, 0
	s_cbranch_scc1 .LBB51_27
; %bb.26:                               ;   in Loop: Header=BB51_9 Depth=1
	s_mov_b32 s25, -1
	s_branch .LBB51_29
.LBB51_27:                              ;   in Loop: Header=BB51_9 Depth=1
	s_cmp_le_i32 s24, s20
	s_mov_b32 s25, 0
	s_cbranch_scc0 .LBB51_29
; %bb.28:                               ;   in Loop: Header=BB51_9 Depth=1
	s_cmp_lg_u32 s24, s20
	s_mov_b32 s13, -1
	s_cselect_b32 s25, -1, 0
.LBB51_29:                              ;   in Loop: Header=BB51_9 Depth=1
	v_mov_b32_e32 v13, v5
	s_mov_b32 s26, 2
	v_mov_b32_e32 v14, v10
	s_and_b32 vcc_lo, exec_lo, s25
	s_cbranch_vccz .LBB51_16
.LBB51_30:                              ;   in Loop: Header=BB51_9 Depth=1
	s_and_saveexec_b32 s13, s3
	s_cbranch_execz .LBB51_34
; %bb.31:                               ;   in Loop: Header=BB51_9 Depth=1
	s_add_co_i32 s26, s24, s7
	s_delay_alu instid0(SALU_CYCLE_1)
	v_mov_b32_e32 v13, s26
	global_load_b32 v13, v13, s[14:15] scale_offset scope:SCOPE_DEV
	s_wait_loadcnt 0x0
	v_cmp_ne_u32_e32 vcc_lo, 0, v13
	s_cbranch_vccnz .LBB51_34
; %bb.32:                               ;   in Loop: Header=BB51_9 Depth=1
	s_ashr_i32 s27, s26, 31
	s_delay_alu instid0(SALU_CYCLE_1) | instskip(NEXT) | instid1(SALU_CYCLE_1)
	s_lshl_b64 s[26:27], s[26:27], 2
	s_add_nc_u64 s[26:27], s[14:15], s[26:27]
.LBB51_33:                              ;   Parent Loop BB51_9 Depth=1
                                        ; =>  This Inner Loop Header: Depth=2
	global_load_b32 v13, v1, s[26:27] scope:SCOPE_DEV
	s_wait_loadcnt 0x0
	v_cmp_eq_u32_e32 vcc_lo, 0, v13
	s_cbranch_vccnz .LBB51_33
.LBB51_34:                              ;   in Loop: Header=BB51_9 Depth=1
	s_wait_xcnt 0x0
	s_or_b32 exec_lo, exec_lo, s13
	v_mov_b32_e32 v14, 0
	s_wait_storecnt 0x0
	s_barrier_signal -1
	s_barrier_wait -1
	global_inv scope:SCOPE_DEV
	s_and_saveexec_b32 s13, s2
	s_cbranch_execz .LBB51_36
; %bb.35:                               ;   in Loop: Header=BB51_9 Depth=1
	s_ashr_i32 s25, s24, 31
	s_delay_alu instid0(SALU_CYCLE_1) | instskip(NEXT) | instid1(SALU_CYCLE_1)
	s_mul_u64 s[24:25], s[10:11], s[24:25]
	v_lshl_add_u64 v[14:15], s[24:25], 2, v[2:3]
	global_load_b32 v13, v[14:15], off
	s_wait_loadcnt 0x0
	v_fma_f32 v14, -v12, v13, v10
.LBB51_36:                              ;   in Loop: Header=BB51_9 Depth=1
	s_or_b32 exec_lo, exec_lo, s13
	v_mov_b32_e32 v13, v5
	s_mov_b32 s26, 0
	s_branch .LBB51_17
.LBB51_37:                              ;   in Loop: Header=BB51_9 Depth=1
	v_div_scale_f32 v13, null, v12, v12, 1.0
	v_div_scale_f32 v16, vcc_lo, 1.0, v12, 1.0
	s_mov_b32 s26, 2
	v_rcp_f32_e32 v14, v13
	v_nop
	s_delay_alu instid0(TRANS32_DEP_1) | instskip(NEXT) | instid1(VALU_DEP_1)
	v_fma_f32 v15, -v13, v14, 1.0
	v_fmac_f32_e32 v14, v15, v14
	s_delay_alu instid0(VALU_DEP_1) | instskip(NEXT) | instid1(VALU_DEP_1)
	v_mul_f32_e32 v15, v16, v14
	v_fma_f32 v17, -v13, v15, v16
	s_delay_alu instid0(VALU_DEP_1) | instskip(NEXT) | instid1(VALU_DEP_1)
	v_fmac_f32_e32 v15, v17, v14
	v_fma_f32 v13, -v13, v15, v16
	s_delay_alu instid0(VALU_DEP_1) | instskip(SKIP_1) | instid1(VALU_DEP_2)
	v_div_fmas_f32 v13, v13, v14, v15
	v_mov_b32_e32 v14, v10
	v_div_fixup_f32 v12, v13, v12, 1.0
	s_delay_alu instid0(VALU_DEP_1)
	v_cndmask_b32_e64 v13, v5, v12, s1
	s_mov_b32 s13, -1
	s_cmp_gt_i32 s26, 3
	s_mov_b32 s24, -1
	s_cbranch_scc1 .LBB51_18
.LBB51_38:                              ;   in Loop: Header=BB51_9 Depth=1
	s_cmp_eq_u32 s26, 0
	s_cselect_b32 s24, -1, 0
	s_delay_alu instid0(SALU_CYCLE_1)
	s_and_not1_b32 vcc_lo, exec_lo, s24
	s_cbranch_vccnz .LBB51_19
.LBB51_39:                              ;   in Loop: Header=BB51_9 Depth=1
	s_add_nc_u64 s[18:19], s[18:19], 1
	s_delay_alu instid0(SALU_CYCLE_1)
	v_cmp_ge_i64_e64 s13, s[18:19], s[16:17]
	s_and_not1_b32 vcc_lo, exec_lo, s13
	s_cbranch_vccz .LBB51_42
.LBB51_40:                              ;   in Loop: Header=BB51_9 Depth=1
	v_dual_mov_b32 v10, v14 :: v_dual_mov_b32 v5, v13
	s_sub_co_i32 s13, s18, s12
	s_delay_alu instid0(SALU_CYCLE_1) | instskip(NEXT) | instid1(SALU_CYCLE_1)
	s_and_b32 s13, s13, 0x1ff
	s_cmp_lg_u32 s13, 0
	s_cbranch_scc1 .LBB51_9
	s_branch .LBB51_6
.LBB51_41:
	v_mov_b32_e32 v14, v10
.LBB51_42:
	s_and_saveexec_b32 s0, s2
	s_cbranch_execz .LBB51_44
; %bb.43:
	s_delay_alu instid0(VALU_DEP_1) | instskip(SKIP_3) | instid1(VALU_DEP_2)
	v_mul_f32_e32 v1, v13, v14
	s_cmp_eq_u32 s6, 0
	v_lshl_add_u64 v[2:3], s[22:23], 2, v[2:3]
	s_cselect_b32 vcc_lo, -1, 0
	v_cndmask_b32_e32 v1, v14, v1, vcc_lo
	global_store_b32 v[2:3], v1, off
.LBB51_44:
	s_wait_xcnt 0x0
	s_or_b32 exec_lo, exec_lo, s0
	global_wb scope:SCOPE_DEV
	s_wait_loadcnt 0x0
	s_wait_storecnt 0x0
	global_inv scope:SCOPE_DEV
	s_wait_loadcnt 0x0
	s_barrier_signal -1
	s_barrier_wait -1
	s_mov_b32 s0, exec_lo
	v_cmpx_eq_u32_e32 0, v0
	s_cbranch_execz .LBB51_46
; %bb.45:
	s_add_co_i32 s0, s20, s7
	s_delay_alu instid0(SALU_CYCLE_1)
	v_dual_mov_b32 v0, 1 :: v_dual_mov_b32 v1, s0
	global_store_b32 v1, v0, s[14:15] scale_offset scope:SCOPE_DEV
.LBB51_46:
	s_endpgm
	.section	.rodata,"a",@progbits
	.p2align	6, 0x0
	.amdhsa_kernel _ZN9rocsparseL5csrsmILj512ELj64ELb0ElifEEv20rocsparse_operation_T3_S2_NS_24const_host_device_scalarIT4_EEPKT2_PKS2_PKS4_PS4_lPiSA_PS2_21rocsparse_index_base_20rocsparse_fill_mode_20rocsparse_diag_type_b
		.amdhsa_group_segment_fixed_size 4096
		.amdhsa_private_segment_fixed_size 0
		.amdhsa_kernarg_size 104
		.amdhsa_user_sgpr_count 2
		.amdhsa_user_sgpr_dispatch_ptr 0
		.amdhsa_user_sgpr_queue_ptr 0
		.amdhsa_user_sgpr_kernarg_segment_ptr 1
		.amdhsa_user_sgpr_dispatch_id 0
		.amdhsa_user_sgpr_kernarg_preload_length 0
		.amdhsa_user_sgpr_kernarg_preload_offset 0
		.amdhsa_user_sgpr_private_segment_size 0
		.amdhsa_wavefront_size32 1
		.amdhsa_uses_dynamic_stack 0
		.amdhsa_enable_private_segment 0
		.amdhsa_system_sgpr_workgroup_id_x 1
		.amdhsa_system_sgpr_workgroup_id_y 0
		.amdhsa_system_sgpr_workgroup_id_z 0
		.amdhsa_system_sgpr_workgroup_info 0
		.amdhsa_system_vgpr_workitem_id 0
		.amdhsa_next_free_vgpr 18
		.amdhsa_next_free_sgpr 32
		.amdhsa_named_barrier_count 0
		.amdhsa_reserve_vcc 1
		.amdhsa_float_round_mode_32 0
		.amdhsa_float_round_mode_16_64 0
		.amdhsa_float_denorm_mode_32 3
		.amdhsa_float_denorm_mode_16_64 3
		.amdhsa_fp16_overflow 0
		.amdhsa_memory_ordered 1
		.amdhsa_forward_progress 1
		.amdhsa_inst_pref_size 13
		.amdhsa_round_robin_scheduling 0
		.amdhsa_exception_fp_ieee_invalid_op 0
		.amdhsa_exception_fp_denorm_src 0
		.amdhsa_exception_fp_ieee_div_zero 0
		.amdhsa_exception_fp_ieee_overflow 0
		.amdhsa_exception_fp_ieee_underflow 0
		.amdhsa_exception_fp_ieee_inexact 0
		.amdhsa_exception_int_div_zero 0
	.end_amdhsa_kernel
	.section	.text._ZN9rocsparseL5csrsmILj512ELj64ELb0ElifEEv20rocsparse_operation_T3_S2_NS_24const_host_device_scalarIT4_EEPKT2_PKS2_PKS4_PS4_lPiSA_PS2_21rocsparse_index_base_20rocsparse_fill_mode_20rocsparse_diag_type_b,"axG",@progbits,_ZN9rocsparseL5csrsmILj512ELj64ELb0ElifEEv20rocsparse_operation_T3_S2_NS_24const_host_device_scalarIT4_EEPKT2_PKS2_PKS4_PS4_lPiSA_PS2_21rocsparse_index_base_20rocsparse_fill_mode_20rocsparse_diag_type_b,comdat
.Lfunc_end51:
	.size	_ZN9rocsparseL5csrsmILj512ELj64ELb0ElifEEv20rocsparse_operation_T3_S2_NS_24const_host_device_scalarIT4_EEPKT2_PKS2_PKS4_PS4_lPiSA_PS2_21rocsparse_index_base_20rocsparse_fill_mode_20rocsparse_diag_type_b, .Lfunc_end51-_ZN9rocsparseL5csrsmILj512ELj64ELb0ElifEEv20rocsparse_operation_T3_S2_NS_24const_host_device_scalarIT4_EEPKT2_PKS2_PKS4_PS4_lPiSA_PS2_21rocsparse_index_base_20rocsparse_fill_mode_20rocsparse_diag_type_b
                                        ; -- End function
	.set _ZN9rocsparseL5csrsmILj512ELj64ELb0ElifEEv20rocsparse_operation_T3_S2_NS_24const_host_device_scalarIT4_EEPKT2_PKS2_PKS4_PS4_lPiSA_PS2_21rocsparse_index_base_20rocsparse_fill_mode_20rocsparse_diag_type_b.num_vgpr, 18
	.set _ZN9rocsparseL5csrsmILj512ELj64ELb0ElifEEv20rocsparse_operation_T3_S2_NS_24const_host_device_scalarIT4_EEPKT2_PKS2_PKS4_PS4_lPiSA_PS2_21rocsparse_index_base_20rocsparse_fill_mode_20rocsparse_diag_type_b.num_agpr, 0
	.set _ZN9rocsparseL5csrsmILj512ELj64ELb0ElifEEv20rocsparse_operation_T3_S2_NS_24const_host_device_scalarIT4_EEPKT2_PKS2_PKS4_PS4_lPiSA_PS2_21rocsparse_index_base_20rocsparse_fill_mode_20rocsparse_diag_type_b.numbered_sgpr, 32
	.set _ZN9rocsparseL5csrsmILj512ELj64ELb0ElifEEv20rocsparse_operation_T3_S2_NS_24const_host_device_scalarIT4_EEPKT2_PKS2_PKS4_PS4_lPiSA_PS2_21rocsparse_index_base_20rocsparse_fill_mode_20rocsparse_diag_type_b.num_named_barrier, 0
	.set _ZN9rocsparseL5csrsmILj512ELj64ELb0ElifEEv20rocsparse_operation_T3_S2_NS_24const_host_device_scalarIT4_EEPKT2_PKS2_PKS4_PS4_lPiSA_PS2_21rocsparse_index_base_20rocsparse_fill_mode_20rocsparse_diag_type_b.private_seg_size, 0
	.set _ZN9rocsparseL5csrsmILj512ELj64ELb0ElifEEv20rocsparse_operation_T3_S2_NS_24const_host_device_scalarIT4_EEPKT2_PKS2_PKS4_PS4_lPiSA_PS2_21rocsparse_index_base_20rocsparse_fill_mode_20rocsparse_diag_type_b.uses_vcc, 1
	.set _ZN9rocsparseL5csrsmILj512ELj64ELb0ElifEEv20rocsparse_operation_T3_S2_NS_24const_host_device_scalarIT4_EEPKT2_PKS2_PKS4_PS4_lPiSA_PS2_21rocsparse_index_base_20rocsparse_fill_mode_20rocsparse_diag_type_b.uses_flat_scratch, 0
	.set _ZN9rocsparseL5csrsmILj512ELj64ELb0ElifEEv20rocsparse_operation_T3_S2_NS_24const_host_device_scalarIT4_EEPKT2_PKS2_PKS4_PS4_lPiSA_PS2_21rocsparse_index_base_20rocsparse_fill_mode_20rocsparse_diag_type_b.has_dyn_sized_stack, 0
	.set _ZN9rocsparseL5csrsmILj512ELj64ELb0ElifEEv20rocsparse_operation_T3_S2_NS_24const_host_device_scalarIT4_EEPKT2_PKS2_PKS4_PS4_lPiSA_PS2_21rocsparse_index_base_20rocsparse_fill_mode_20rocsparse_diag_type_b.has_recursion, 0
	.set _ZN9rocsparseL5csrsmILj512ELj64ELb0ElifEEv20rocsparse_operation_T3_S2_NS_24const_host_device_scalarIT4_EEPKT2_PKS2_PKS4_PS4_lPiSA_PS2_21rocsparse_index_base_20rocsparse_fill_mode_20rocsparse_diag_type_b.has_indirect_call, 0
	.section	.AMDGPU.csdata,"",@progbits
; Kernel info:
; codeLenInByte = 1640
; TotalNumSgprs: 34
; NumVgprs: 18
; ScratchSize: 0
; MemoryBound: 0
; FloatMode: 240
; IeeeMode: 1
; LDSByteSize: 4096 bytes/workgroup (compile time only)
; SGPRBlocks: 0
; VGPRBlocks: 1
; NumSGPRsForWavesPerEU: 34
; NumVGPRsForWavesPerEU: 18
; NamedBarCnt: 0
; Occupancy: 16
; WaveLimiterHint : 1
; COMPUTE_PGM_RSRC2:SCRATCH_EN: 0
; COMPUTE_PGM_RSRC2:USER_SGPR: 2
; COMPUTE_PGM_RSRC2:TRAP_HANDLER: 0
; COMPUTE_PGM_RSRC2:TGID_X_EN: 1
; COMPUTE_PGM_RSRC2:TGID_Y_EN: 0
; COMPUTE_PGM_RSRC2:TGID_Z_EN: 0
; COMPUTE_PGM_RSRC2:TIDIG_COMP_CNT: 0
	.section	.text._ZN9rocsparseL5csrsmILj1024ELj64ELb1ElifEEv20rocsparse_operation_T3_S2_NS_24const_host_device_scalarIT4_EEPKT2_PKS2_PKS4_PS4_lPiSA_PS2_21rocsparse_index_base_20rocsparse_fill_mode_20rocsparse_diag_type_b,"axG",@progbits,_ZN9rocsparseL5csrsmILj1024ELj64ELb1ElifEEv20rocsparse_operation_T3_S2_NS_24const_host_device_scalarIT4_EEPKT2_PKS2_PKS4_PS4_lPiSA_PS2_21rocsparse_index_base_20rocsparse_fill_mode_20rocsparse_diag_type_b,comdat
	.globl	_ZN9rocsparseL5csrsmILj1024ELj64ELb1ElifEEv20rocsparse_operation_T3_S2_NS_24const_host_device_scalarIT4_EEPKT2_PKS2_PKS4_PS4_lPiSA_PS2_21rocsparse_index_base_20rocsparse_fill_mode_20rocsparse_diag_type_b ; -- Begin function _ZN9rocsparseL5csrsmILj1024ELj64ELb1ElifEEv20rocsparse_operation_T3_S2_NS_24const_host_device_scalarIT4_EEPKT2_PKS2_PKS4_PS4_lPiSA_PS2_21rocsparse_index_base_20rocsparse_fill_mode_20rocsparse_diag_type_b
	.p2align	8
	.type	_ZN9rocsparseL5csrsmILj1024ELj64ELb1ElifEEv20rocsparse_operation_T3_S2_NS_24const_host_device_scalarIT4_EEPKT2_PKS2_PKS4_PS4_lPiSA_PS2_21rocsparse_index_base_20rocsparse_fill_mode_20rocsparse_diag_type_b,@function
_ZN9rocsparseL5csrsmILj1024ELj64ELb1ElifEEv20rocsparse_operation_T3_S2_NS_24const_host_device_scalarIT4_EEPKT2_PKS2_PKS4_PS4_lPiSA_PS2_21rocsparse_index_base_20rocsparse_fill_mode_20rocsparse_diag_type_b: ; @_ZN9rocsparseL5csrsmILj1024ELj64ELb1ElifEEv20rocsparse_operation_T3_S2_NS_24const_host_device_scalarIT4_EEPKT2_PKS2_PKS4_PS4_lPiSA_PS2_21rocsparse_index_base_20rocsparse_fill_mode_20rocsparse_diag_type_b
; %bb.0:
	s_clause 0x2
	s_load_b128 s[4:7], s[0:1], 0x58
	s_load_b128 s[12:15], s[0:1], 0x10
	s_load_b64 s[2:3], s[0:1], 0x48
	s_wait_kmcnt 0x0
	s_bitcmp1_b32 s7, 0
	s_cselect_b32 s7, -1, 0
	s_delay_alu instid0(SALU_CYCLE_1)
	s_and_b32 vcc_lo, exec_lo, s7
	s_cbranch_vccnz .LBB52_2
; %bb.1:
	s_load_b32 s12, s[12:13], 0x0
.LBB52_2:
	s_nop 0
	s_load_b64 s[22:23], s[0:1], 0x4
	s_bfe_u32 s9, ttmp6, 0x4000c
	s_and_b32 s8, ttmp6, 15
	s_add_co_i32 s9, s9, 1
	s_getreg_b32 s11, hwreg(HW_REG_IB_STS2, 6, 4)
	s_mul_i32 s9, ttmp9, s9
	v_mov_b32_e32 v10, 0
	s_add_co_i32 s8, s8, s9
	s_wait_kmcnt 0x0
	s_cvt_f32_u32 s7, s22
	s_sub_co_i32 s10, 0, s22
	s_delay_alu instid0(SALU_CYCLE_2) | instskip(SKIP_1) | instid1(TRANS32_DEP_1)
	v_rcp_iflag_f32_e32 v1, s7
	v_nop
	v_readfirstlane_b32 s7, v1
	s_mul_f32 s7, s7, 0x4f7ffffe
	s_delay_alu instid0(SALU_CYCLE_3) | instskip(NEXT) | instid1(SALU_CYCLE_3)
	s_cvt_u32_f32 s7, s7
	s_mul_i32 s10, s10, s7
	s_delay_alu instid0(SALU_CYCLE_1) | instskip(NEXT) | instid1(SALU_CYCLE_1)
	s_mul_hi_u32 s10, s7, s10
	s_add_co_i32 s7, s7, s10
	s_cmp_eq_u32 s11, 0
	s_cselect_b32 s8, ttmp9, s8
	s_delay_alu instid0(SALU_CYCLE_1) | instskip(NEXT) | instid1(SALU_CYCLE_1)
	s_mul_hi_u32 s7, s8, s7
	s_mul_i32 s9, s7, s22
	s_add_co_i32 s10, s7, 1
	s_sub_co_i32 s9, s8, s9
	s_delay_alu instid0(SALU_CYCLE_1)
	s_sub_co_i32 s11, s9, s22
	s_cmp_ge_u32 s9, s22
	s_cselect_b32 s7, s10, s7
	s_cselect_b32 s9, s11, s9
	s_add_co_i32 s10, s7, 1
	s_cmp_ge_u32 s9, s22
	s_cselect_b32 s13, s10, s7
	s_delay_alu instid0(SALU_CYCLE_1) | instskip(SKIP_2) | instid1(SALU_CYCLE_1)
	s_mul_i32 s7, s13, s22
	v_lshl_or_b32 v2, s13, 10, v0
	s_sub_co_i32 s8, s8, s7
	s_ashr_i32 s9, s8, 31
	s_delay_alu instid0(VALU_DEP_1) | instskip(SKIP_1) | instid1(SALU_CYCLE_1)
	v_ashrrev_i32_e32 v3, 31, v2
	s_lshl_b64 s[8:9], s[8:9], 2
	s_add_nc_u64 s[2:3], s[2:3], s[8:9]
	s_load_b128 s[8:11], s[0:1], 0x30
	s_load_b32 s20, s[2:3], 0x0
	s_wait_kmcnt 0x0
	s_ashr_i32 s21, s20, 31
	s_delay_alu instid0(SALU_CYCLE_1) | instskip(NEXT) | instid1(SALU_CYCLE_1)
	s_lshl_b64 s[2:3], s[20:21], 3
	s_add_nc_u64 s[2:3], s[14:15], s[2:3]
	s_load_b64 s[14:15], s[0:1], 0x40
	s_load_b128 s[16:19], s[2:3], 0x0
	s_wait_xcnt 0x0
	v_cmp_gt_i32_e64 s2, s23, v2
	s_mul_u64 s[22:23], s[10:11], s[20:21]
	s_and_saveexec_b32 s3, s2
	s_cbranch_execz .LBB52_4
; %bb.3:
	v_add_nc_u64_e32 v[4:5], s[22:23], v[2:3]
	s_delay_alu instid0(VALU_DEP_1)
	v_lshl_add_u64 v[4:5], v[4:5], 2, s[8:9]
	global_load_b32 v1, v[4:5], off
	s_wait_loadcnt 0x0
	v_mul_f32_e32 v10, s12, v1
.LBB52_4:
	s_or_b32 exec_lo, exec_lo, s3
	s_wait_kmcnt 0x0
	v_cmp_ge_i64_e64 s3, s[16:17], s[18:19]
	v_lshl_add_u64 v[2:3], v[2:3], 2, s[8:9]
	v_mov_b32_e32 v13, 1.0
	s_and_b32 vcc_lo, exec_lo, s3
	v_cmp_eq_u32_e64 s3, 0, v0
	s_cbranch_vccnz .LBB52_43
; %bb.5:
	s_clause 0x1
	s_load_b128 s[24:27], s[0:1], 0x20
	s_load_b64 s[8:9], s[0:1], 0x50
	v_dual_mov_b32 v1, 0 :: v_dual_lshlrev_b32 v4, 2, v0
	s_cmp_lg_u32 s6, 0
	s_mov_b32 s31, 0
	s_mov_b32 s30, s4
	s_delay_alu instid0(VALU_DEP_1)
	v_mov_b32_e32 v5, v1
	s_wait_xcnt 0x0
	v_cmp_ne_u32_e64 s0, 0, v0
	s_cselect_b32 s21, -1, 0
	v_or_b32_e32 v11, 0x1000, v4
	s_add_co_i32 s28, s20, s4
	s_sub_nc_u64 s[12:13], s[16:17], s[30:31]
	s_cmp_eq_u32 s6, 0
	s_sub_nc_u64 s[16:17], s[18:19], s[30:31]
	s_cselect_b32 s1, -1, 0
	s_mov_b64 s[18:19], s[12:13]
	s_wait_kmcnt 0x0
	v_add_nc_u64_e32 v[6:7], s[24:25], v[4:5]
	v_add_nc_u64_e32 v[8:9], s[26:27], v[4:5]
	v_mov_b32_e32 v5, 1.0
	s_sub_co_i32 s13, s18, s12
	s_delay_alu instid0(SALU_CYCLE_1) | instskip(NEXT) | instid1(SALU_CYCLE_1)
	s_and_b32 s13, s13, 0x3ff
	s_cmp_lg_u32 s13, 0
	s_cbranch_scc1 .LBB52_9
.LBB52_6:
	s_sub_nc_u64 s[24:25], s[16:17], s[18:19]
	v_dual_mov_b32 v12, -1.0 :: v_dual_mov_b32 v13, -1
	v_cmp_gt_i64_e32 vcc_lo, s[24:25], v[0:1]
	s_and_saveexec_b32 s24, vcc_lo
	s_cbranch_execz .LBB52_8
; %bb.7:
	s_lshl_b64 s[26:27], s[18:19], 2
	s_delay_alu instid0(SALU_CYCLE_1)
	v_add_nc_u64_e32 v[14:15], s[26:27], v[6:7]
	v_add_nc_u64_e32 v[16:17], s[26:27], v[8:9]
	global_load_b32 v13, v[14:15], off
	global_load_b32 v12, v[16:17], off
	s_wait_loadcnt 0x1
	v_subrev_nc_u32_e32 v13, s4, v13
.LBB52_8:
	s_wait_xcnt 0x0
	s_or_b32 exec_lo, exec_lo, s24
	ds_store_b32 v4, v13
	s_wait_loadcnt 0x0
	ds_store_b32 v11, v12
.LBB52_9:                               ; =>This Loop Header: Depth=1
                                        ;     Child Loop BB52_41 Depth 2
                                        ;       Child Loop BB52_42 Depth 3
	s_lshl_b32 s13, s13, 2
	s_wait_dscnt 0x0
	v_mov_b32_e32 v12, s13
	s_barrier_signal -1
	s_barrier_wait -1
	ds_load_2addr_stride64_b32 v[12:13], v12 offset1:16
	s_wait_dscnt 0x0
	v_readfirstlane_b32 s24, v12
	v_cmp_neq_f32_e32 vcc_lo, 0, v13
	s_cmp_lg_u32 s24, s20
	s_cselect_b32 s13, -1, 0
	s_delay_alu instid0(SALU_CYCLE_1) | instskip(NEXT) | instid1(SALU_CYCLE_1)
	s_or_b32 s13, s21, s13
	s_or_b32 vcc_lo, vcc_lo, s13
	v_cndmask_b32_e32 v12, 1.0, v13, vcc_lo
	s_nor_b32 s25, s0, vcc_lo
	s_delay_alu instid0(SALU_CYCLE_1)
	s_and_saveexec_b32 s13, s25
	s_cbranch_execz .LBB52_13
; %bb.10:                               ;   in Loop: Header=BB52_9 Depth=1
	v_mbcnt_lo_u32_b32 v12, exec_lo, 0
	s_mov_b32 s25, exec_lo
	s_delay_alu instid0(VALU_DEP_1)
	v_cmpx_eq_u32_e32 0, v12
	s_cbranch_execz .LBB52_12
; %bb.11:                               ;   in Loop: Header=BB52_9 Depth=1
	v_mov_b32_e32 v12, s28
	global_atomic_min_i32 v1, v12, s[8:9] scope:SCOPE_DEV
.LBB52_12:                              ;   in Loop: Header=BB52_9 Depth=1
	s_wait_xcnt 0x0
	s_or_b32 exec_lo, exec_lo, s25
	v_mov_b32_e32 v12, 1.0
.LBB52_13:                              ;   in Loop: Header=BB52_9 Depth=1
	s_or_b32 exec_lo, exec_lo, s13
	s_mov_b32 s26, -1
	s_mov_b32 s13, 0
	s_cmp_lt_i32 s5, 1
	s_mov_b32 s25, 0
                                        ; implicit-def: $vgpr13
	s_cbranch_scc0 .LBB52_20
; %bb.14:                               ;   in Loop: Header=BB52_9 Depth=1
	s_and_b32 vcc_lo, exec_lo, s26
	s_mov_b32 s26, 4
	s_cbranch_vccnz .LBB52_25
.LBB52_15:                              ;   in Loop: Header=BB52_9 Depth=1
	v_mov_b32_e32 v14, v10
	s_and_b32 vcc_lo, exec_lo, s25
	s_cbranch_vccnz .LBB52_30
.LBB52_16:                              ;   in Loop: Header=BB52_9 Depth=1
	s_and_b32 vcc_lo, exec_lo, s13
	s_cbranch_vccnz .LBB52_35
.LBB52_17:                              ;   in Loop: Header=BB52_9 Depth=1
	s_mov_b32 s13, -1
	s_cmp_gt_i32 s26, 3
	s_mov_b32 s24, -1
	s_cbranch_scc0 .LBB52_36
.LBB52_18:                              ;   in Loop: Header=BB52_9 Depth=1
	s_and_not1_b32 vcc_lo, exec_lo, s24
	s_cbranch_vccz .LBB52_37
.LBB52_19:                              ;   in Loop: Header=BB52_9 Depth=1
	s_and_not1_b32 vcc_lo, exec_lo, s13
	s_cbranch_vccnz .LBB52_38
	s_branch .LBB52_44
.LBB52_20:                              ;   in Loop: Header=BB52_9 Depth=1
	s_cmp_eq_u32 s5, 1
	s_mov_b32 s25, -1
                                        ; implicit-def: $vgpr13
	s_cbranch_scc0 .LBB52_24
; %bb.21:                               ;   in Loop: Header=BB52_9 Depth=1
	v_mov_b32_e32 v13, v5
	s_cmp_ge_i32 s24, s20
	s_mov_b32 s25, 0
	s_cbranch_scc0 .LBB52_24
; %bb.22:                               ;   in Loop: Header=BB52_9 Depth=1
	s_cmp_eq_u32 s24, s20
	s_mov_b32 s25, -1
                                        ; implicit-def: $vgpr13
	s_cbranch_scc0 .LBB52_24
; %bb.23:                               ;   in Loop: Header=BB52_9 Depth=1
	v_div_scale_f32 v13, null, v12, v12, 1.0
	s_mov_b32 s25, 0
	v_rcp_f32_e32 v14, v13
	v_nop
	s_delay_alu instid0(TRANS32_DEP_1) | instskip(NEXT) | instid1(VALU_DEP_1)
	v_fma_f32 v15, -v13, v14, 1.0
	v_fmac_f32_e32 v14, v15, v14
	v_div_scale_f32 v15, vcc_lo, 1.0, v12, 1.0
	s_delay_alu instid0(VALU_DEP_1) | instskip(NEXT) | instid1(VALU_DEP_1)
	v_mul_f32_e32 v16, v15, v14
	v_fma_f32 v17, -v13, v16, v15
	s_delay_alu instid0(VALU_DEP_1) | instskip(NEXT) | instid1(VALU_DEP_1)
	v_fmac_f32_e32 v16, v17, v14
	v_fma_f32 v13, -v13, v16, v15
	s_delay_alu instid0(VALU_DEP_1) | instskip(NEXT) | instid1(VALU_DEP_1)
	v_div_fmas_f32 v13, v13, v14, v16
	v_div_fixup_f32 v13, v13, v12, 1.0
	s_delay_alu instid0(VALU_DEP_1)
	v_cndmask_b32_e64 v13, v5, v13, s1
.LBB52_24:                              ;   in Loop: Header=BB52_9 Depth=1
	s_mov_b32 s26, 4
	s_branch .LBB52_15
.LBB52_25:                              ;   in Loop: Header=BB52_9 Depth=1
	s_cmp_eq_u32 s5, 0
	s_cbranch_scc1 .LBB52_27
; %bb.26:                               ;   in Loop: Header=BB52_9 Depth=1
	s_mov_b32 s25, -1
	s_branch .LBB52_29
.LBB52_27:                              ;   in Loop: Header=BB52_9 Depth=1
	s_cmp_le_i32 s24, s20
	s_mov_b32 s25, 0
	s_cbranch_scc0 .LBB52_29
; %bb.28:                               ;   in Loop: Header=BB52_9 Depth=1
	s_cmp_lg_u32 s24, s20
	s_mov_b32 s13, -1
	s_cselect_b32 s25, -1, 0
.LBB52_29:                              ;   in Loop: Header=BB52_9 Depth=1
	v_mov_b32_e32 v13, v5
	s_mov_b32 s26, 2
	v_mov_b32_e32 v14, v10
	s_and_b32 vcc_lo, exec_lo, s25
	s_cbranch_vccz .LBB52_16
.LBB52_30:                              ;   in Loop: Header=BB52_9 Depth=1
	s_and_saveexec_b32 s13, s3
	s_cbranch_execz .LBB52_32
; %bb.31:                               ;   in Loop: Header=BB52_9 Depth=1
	s_add_co_i32 s26, s24, s7
	s_delay_alu instid0(SALU_CYCLE_1)
	v_mov_b32_e32 v13, s26
	global_load_b32 v13, v13, s[14:15] scale_offset scope:SCOPE_DEV
	s_wait_loadcnt 0x0
	v_cmp_ne_u32_e32 vcc_lo, 0, v13
	s_cbranch_vccz .LBB52_39
.LBB52_32:                              ;   in Loop: Header=BB52_9 Depth=1
	s_wait_xcnt 0x0
	s_or_b32 exec_lo, exec_lo, s13
	v_mov_b32_e32 v14, 0
	s_wait_storecnt 0x0
	s_barrier_signal -1
	s_barrier_wait -1
	global_inv scope:SCOPE_DEV
	s_and_saveexec_b32 s13, s2
	s_cbranch_execz .LBB52_34
; %bb.33:                               ;   in Loop: Header=BB52_9 Depth=1
	s_ashr_i32 s25, s24, 31
	s_delay_alu instid0(SALU_CYCLE_1) | instskip(NEXT) | instid1(SALU_CYCLE_1)
	s_mul_u64 s[24:25], s[10:11], s[24:25]
	v_lshl_add_u64 v[14:15], s[24:25], 2, v[2:3]
	global_load_b32 v13, v[14:15], off
	s_wait_loadcnt 0x0
	v_fma_f32 v14, -v12, v13, v10
.LBB52_34:                              ;   in Loop: Header=BB52_9 Depth=1
	s_or_b32 exec_lo, exec_lo, s13
	v_mov_b32_e32 v13, v5
	s_mov_b32 s26, 0
	s_branch .LBB52_17
.LBB52_35:                              ;   in Loop: Header=BB52_9 Depth=1
	v_div_scale_f32 v13, null, v12, v12, 1.0
	v_div_scale_f32 v16, vcc_lo, 1.0, v12, 1.0
	s_mov_b32 s26, 2
	v_rcp_f32_e32 v14, v13
	v_nop
	s_delay_alu instid0(TRANS32_DEP_1) | instskip(NEXT) | instid1(VALU_DEP_1)
	v_fma_f32 v15, -v13, v14, 1.0
	v_fmac_f32_e32 v14, v15, v14
	s_delay_alu instid0(VALU_DEP_1) | instskip(NEXT) | instid1(VALU_DEP_1)
	v_mul_f32_e32 v15, v16, v14
	v_fma_f32 v17, -v13, v15, v16
	s_delay_alu instid0(VALU_DEP_1) | instskip(NEXT) | instid1(VALU_DEP_1)
	v_fmac_f32_e32 v15, v17, v14
	v_fma_f32 v13, -v13, v15, v16
	s_delay_alu instid0(VALU_DEP_1) | instskip(SKIP_1) | instid1(VALU_DEP_2)
	v_div_fmas_f32 v13, v13, v14, v15
	v_mov_b32_e32 v14, v10
	v_div_fixup_f32 v12, v13, v12, 1.0
	s_delay_alu instid0(VALU_DEP_1)
	v_cndmask_b32_e64 v13, v5, v12, s1
	s_mov_b32 s13, -1
	s_cmp_gt_i32 s26, 3
	s_mov_b32 s24, -1
	s_cbranch_scc1 .LBB52_18
.LBB52_36:                              ;   in Loop: Header=BB52_9 Depth=1
	s_cmp_eq_u32 s26, 0
	s_cselect_b32 s24, -1, 0
	s_delay_alu instid0(SALU_CYCLE_1)
	s_and_not1_b32 vcc_lo, exec_lo, s24
	s_cbranch_vccnz .LBB52_19
.LBB52_37:                              ;   in Loop: Header=BB52_9 Depth=1
	s_add_nc_u64 s[18:19], s[18:19], 1
	s_delay_alu instid0(SALU_CYCLE_1)
	v_cmp_ge_i64_e64 s13, s[18:19], s[16:17]
	s_and_not1_b32 vcc_lo, exec_lo, s13
	s_cbranch_vccz .LBB52_44
.LBB52_38:                              ;   in Loop: Header=BB52_9 Depth=1
	v_dual_mov_b32 v10, v14 :: v_dual_mov_b32 v5, v13
	s_sub_co_i32 s13, s18, s12
	s_delay_alu instid0(SALU_CYCLE_1) | instskip(NEXT) | instid1(SALU_CYCLE_1)
	s_and_b32 s13, s13, 0x3ff
	s_cmp_lg_u32 s13, 0
	s_cbranch_scc1 .LBB52_9
	s_branch .LBB52_6
.LBB52_39:                              ;   in Loop: Header=BB52_9 Depth=1
	s_ashr_i32 s27, s26, 31
	s_mov_b32 s25, 0
	s_lshl_b64 s[26:27], s[26:27], 2
	s_delay_alu instid0(SALU_CYCLE_1)
	s_add_nc_u64 s[26:27], s[14:15], s[26:27]
	s_branch .LBB52_41
.LBB52_40:                              ;   in Loop: Header=BB52_41 Depth=2
	global_load_b32 v13, v1, s[26:27] scope:SCOPE_DEV
	s_cmp_lt_u32 s25, 0xf43
	s_cselect_b32 s29, -1, 0
	s_delay_alu instid0(SALU_CYCLE_1)
	s_cmp_lg_u32 s29, 0
	s_add_co_ci_u32 s25, s25, 0
	s_wait_loadcnt 0x0
	v_cmp_ne_u32_e32 vcc_lo, 0, v13
	s_cbranch_vccnz .LBB52_32
.LBB52_41:                              ;   Parent Loop BB52_9 Depth=1
                                        ; =>  This Loop Header: Depth=2
                                        ;       Child Loop BB52_42 Depth 3
	s_cmp_eq_u32 s25, 0
	s_mov_b32 s29, s25
	s_cbranch_scc1 .LBB52_40
.LBB52_42:                              ;   Parent Loop BB52_9 Depth=1
                                        ;     Parent Loop BB52_41 Depth=2
                                        ; =>    This Inner Loop Header: Depth=3
	s_add_co_i32 s29, s29, -1
	s_sleep 1
	s_cmp_eq_u32 s29, 0
	s_cbranch_scc0 .LBB52_42
	s_branch .LBB52_40
.LBB52_43:
	v_mov_b32_e32 v14, v10
.LBB52_44:
	s_and_saveexec_b32 s0, s2
	s_cbranch_execz .LBB52_46
; %bb.45:
	s_delay_alu instid0(VALU_DEP_1) | instskip(SKIP_3) | instid1(VALU_DEP_2)
	v_mul_f32_e32 v1, v13, v14
	s_cmp_eq_u32 s6, 0
	v_lshl_add_u64 v[2:3], s[22:23], 2, v[2:3]
	s_cselect_b32 vcc_lo, -1, 0
	v_cndmask_b32_e32 v1, v14, v1, vcc_lo
	global_store_b32 v[2:3], v1, off
.LBB52_46:
	s_wait_xcnt 0x0
	s_or_b32 exec_lo, exec_lo, s0
	global_wb scope:SCOPE_DEV
	s_wait_loadcnt 0x0
	s_wait_storecnt 0x0
	global_inv scope:SCOPE_DEV
	s_wait_loadcnt 0x0
	s_barrier_signal -1
	s_barrier_wait -1
	s_mov_b32 s0, exec_lo
	v_cmpx_eq_u32_e32 0, v0
	s_cbranch_execz .LBB52_48
; %bb.47:
	s_add_co_i32 s0, s20, s7
	s_delay_alu instid0(SALU_CYCLE_1)
	v_dual_mov_b32 v0, 1 :: v_dual_mov_b32 v1, s0
	global_store_b32 v1, v0, s[14:15] scale_offset scope:SCOPE_DEV
.LBB52_48:
	s_endpgm
	.section	.rodata,"a",@progbits
	.p2align	6, 0x0
	.amdhsa_kernel _ZN9rocsparseL5csrsmILj1024ELj64ELb1ElifEEv20rocsparse_operation_T3_S2_NS_24const_host_device_scalarIT4_EEPKT2_PKS2_PKS4_PS4_lPiSA_PS2_21rocsparse_index_base_20rocsparse_fill_mode_20rocsparse_diag_type_b
		.amdhsa_group_segment_fixed_size 8192
		.amdhsa_private_segment_fixed_size 0
		.amdhsa_kernarg_size 104
		.amdhsa_user_sgpr_count 2
		.amdhsa_user_sgpr_dispatch_ptr 0
		.amdhsa_user_sgpr_queue_ptr 0
		.amdhsa_user_sgpr_kernarg_segment_ptr 1
		.amdhsa_user_sgpr_dispatch_id 0
		.amdhsa_user_sgpr_kernarg_preload_length 0
		.amdhsa_user_sgpr_kernarg_preload_offset 0
		.amdhsa_user_sgpr_private_segment_size 0
		.amdhsa_wavefront_size32 1
		.amdhsa_uses_dynamic_stack 0
		.amdhsa_enable_private_segment 0
		.amdhsa_system_sgpr_workgroup_id_x 1
		.amdhsa_system_sgpr_workgroup_id_y 0
		.amdhsa_system_sgpr_workgroup_id_z 0
		.amdhsa_system_sgpr_workgroup_info 0
		.amdhsa_system_vgpr_workitem_id 0
		.amdhsa_next_free_vgpr 18
		.amdhsa_next_free_sgpr 32
		.amdhsa_named_barrier_count 0
		.amdhsa_reserve_vcc 1
		.amdhsa_float_round_mode_32 0
		.amdhsa_float_round_mode_16_64 0
		.amdhsa_float_denorm_mode_32 3
		.amdhsa_float_denorm_mode_16_64 3
		.amdhsa_fp16_overflow 0
		.amdhsa_memory_ordered 1
		.amdhsa_forward_progress 1
		.amdhsa_inst_pref_size 14
		.amdhsa_round_robin_scheduling 0
		.amdhsa_exception_fp_ieee_invalid_op 0
		.amdhsa_exception_fp_denorm_src 0
		.amdhsa_exception_fp_ieee_div_zero 0
		.amdhsa_exception_fp_ieee_overflow 0
		.amdhsa_exception_fp_ieee_underflow 0
		.amdhsa_exception_fp_ieee_inexact 0
		.amdhsa_exception_int_div_zero 0
	.end_amdhsa_kernel
	.section	.text._ZN9rocsparseL5csrsmILj1024ELj64ELb1ElifEEv20rocsparse_operation_T3_S2_NS_24const_host_device_scalarIT4_EEPKT2_PKS2_PKS4_PS4_lPiSA_PS2_21rocsparse_index_base_20rocsparse_fill_mode_20rocsparse_diag_type_b,"axG",@progbits,_ZN9rocsparseL5csrsmILj1024ELj64ELb1ElifEEv20rocsparse_operation_T3_S2_NS_24const_host_device_scalarIT4_EEPKT2_PKS2_PKS4_PS4_lPiSA_PS2_21rocsparse_index_base_20rocsparse_fill_mode_20rocsparse_diag_type_b,comdat
.Lfunc_end52:
	.size	_ZN9rocsparseL5csrsmILj1024ELj64ELb1ElifEEv20rocsparse_operation_T3_S2_NS_24const_host_device_scalarIT4_EEPKT2_PKS2_PKS4_PS4_lPiSA_PS2_21rocsparse_index_base_20rocsparse_fill_mode_20rocsparse_diag_type_b, .Lfunc_end52-_ZN9rocsparseL5csrsmILj1024ELj64ELb1ElifEEv20rocsparse_operation_T3_S2_NS_24const_host_device_scalarIT4_EEPKT2_PKS2_PKS4_PS4_lPiSA_PS2_21rocsparse_index_base_20rocsparse_fill_mode_20rocsparse_diag_type_b
                                        ; -- End function
	.set _ZN9rocsparseL5csrsmILj1024ELj64ELb1ElifEEv20rocsparse_operation_T3_S2_NS_24const_host_device_scalarIT4_EEPKT2_PKS2_PKS4_PS4_lPiSA_PS2_21rocsparse_index_base_20rocsparse_fill_mode_20rocsparse_diag_type_b.num_vgpr, 18
	.set _ZN9rocsparseL5csrsmILj1024ELj64ELb1ElifEEv20rocsparse_operation_T3_S2_NS_24const_host_device_scalarIT4_EEPKT2_PKS2_PKS4_PS4_lPiSA_PS2_21rocsparse_index_base_20rocsparse_fill_mode_20rocsparse_diag_type_b.num_agpr, 0
	.set _ZN9rocsparseL5csrsmILj1024ELj64ELb1ElifEEv20rocsparse_operation_T3_S2_NS_24const_host_device_scalarIT4_EEPKT2_PKS2_PKS4_PS4_lPiSA_PS2_21rocsparse_index_base_20rocsparse_fill_mode_20rocsparse_diag_type_b.numbered_sgpr, 32
	.set _ZN9rocsparseL5csrsmILj1024ELj64ELb1ElifEEv20rocsparse_operation_T3_S2_NS_24const_host_device_scalarIT4_EEPKT2_PKS2_PKS4_PS4_lPiSA_PS2_21rocsparse_index_base_20rocsparse_fill_mode_20rocsparse_diag_type_b.num_named_barrier, 0
	.set _ZN9rocsparseL5csrsmILj1024ELj64ELb1ElifEEv20rocsparse_operation_T3_S2_NS_24const_host_device_scalarIT4_EEPKT2_PKS2_PKS4_PS4_lPiSA_PS2_21rocsparse_index_base_20rocsparse_fill_mode_20rocsparse_diag_type_b.private_seg_size, 0
	.set _ZN9rocsparseL5csrsmILj1024ELj64ELb1ElifEEv20rocsparse_operation_T3_S2_NS_24const_host_device_scalarIT4_EEPKT2_PKS2_PKS4_PS4_lPiSA_PS2_21rocsparse_index_base_20rocsparse_fill_mode_20rocsparse_diag_type_b.uses_vcc, 1
	.set _ZN9rocsparseL5csrsmILj1024ELj64ELb1ElifEEv20rocsparse_operation_T3_S2_NS_24const_host_device_scalarIT4_EEPKT2_PKS2_PKS4_PS4_lPiSA_PS2_21rocsparse_index_base_20rocsparse_fill_mode_20rocsparse_diag_type_b.uses_flat_scratch, 0
	.set _ZN9rocsparseL5csrsmILj1024ELj64ELb1ElifEEv20rocsparse_operation_T3_S2_NS_24const_host_device_scalarIT4_EEPKT2_PKS2_PKS4_PS4_lPiSA_PS2_21rocsparse_index_base_20rocsparse_fill_mode_20rocsparse_diag_type_b.has_dyn_sized_stack, 0
	.set _ZN9rocsparseL5csrsmILj1024ELj64ELb1ElifEEv20rocsparse_operation_T3_S2_NS_24const_host_device_scalarIT4_EEPKT2_PKS2_PKS4_PS4_lPiSA_PS2_21rocsparse_index_base_20rocsparse_fill_mode_20rocsparse_diag_type_b.has_recursion, 0
	.set _ZN9rocsparseL5csrsmILj1024ELj64ELb1ElifEEv20rocsparse_operation_T3_S2_NS_24const_host_device_scalarIT4_EEPKT2_PKS2_PKS4_PS4_lPiSA_PS2_21rocsparse_index_base_20rocsparse_fill_mode_20rocsparse_diag_type_b.has_indirect_call, 0
	.section	.AMDGPU.csdata,"",@progbits
; Kernel info:
; codeLenInByte = 1704
; TotalNumSgprs: 34
; NumVgprs: 18
; ScratchSize: 0
; MemoryBound: 0
; FloatMode: 240
; IeeeMode: 1
; LDSByteSize: 8192 bytes/workgroup (compile time only)
; SGPRBlocks: 0
; VGPRBlocks: 1
; NumSGPRsForWavesPerEU: 34
; NumVGPRsForWavesPerEU: 18
; NamedBarCnt: 0
; Occupancy: 16
; WaveLimiterHint : 1
; COMPUTE_PGM_RSRC2:SCRATCH_EN: 0
; COMPUTE_PGM_RSRC2:USER_SGPR: 2
; COMPUTE_PGM_RSRC2:TRAP_HANDLER: 0
; COMPUTE_PGM_RSRC2:TGID_X_EN: 1
; COMPUTE_PGM_RSRC2:TGID_Y_EN: 0
; COMPUTE_PGM_RSRC2:TGID_Z_EN: 0
; COMPUTE_PGM_RSRC2:TIDIG_COMP_CNT: 0
	.section	.text._ZN9rocsparseL5csrsmILj1024ELj64ELb0ElifEEv20rocsparse_operation_T3_S2_NS_24const_host_device_scalarIT4_EEPKT2_PKS2_PKS4_PS4_lPiSA_PS2_21rocsparse_index_base_20rocsparse_fill_mode_20rocsparse_diag_type_b,"axG",@progbits,_ZN9rocsparseL5csrsmILj1024ELj64ELb0ElifEEv20rocsparse_operation_T3_S2_NS_24const_host_device_scalarIT4_EEPKT2_PKS2_PKS4_PS4_lPiSA_PS2_21rocsparse_index_base_20rocsparse_fill_mode_20rocsparse_diag_type_b,comdat
	.globl	_ZN9rocsparseL5csrsmILj1024ELj64ELb0ElifEEv20rocsparse_operation_T3_S2_NS_24const_host_device_scalarIT4_EEPKT2_PKS2_PKS4_PS4_lPiSA_PS2_21rocsparse_index_base_20rocsparse_fill_mode_20rocsparse_diag_type_b ; -- Begin function _ZN9rocsparseL5csrsmILj1024ELj64ELb0ElifEEv20rocsparse_operation_T3_S2_NS_24const_host_device_scalarIT4_EEPKT2_PKS2_PKS4_PS4_lPiSA_PS2_21rocsparse_index_base_20rocsparse_fill_mode_20rocsparse_diag_type_b
	.p2align	8
	.type	_ZN9rocsparseL5csrsmILj1024ELj64ELb0ElifEEv20rocsparse_operation_T3_S2_NS_24const_host_device_scalarIT4_EEPKT2_PKS2_PKS4_PS4_lPiSA_PS2_21rocsparse_index_base_20rocsparse_fill_mode_20rocsparse_diag_type_b,@function
_ZN9rocsparseL5csrsmILj1024ELj64ELb0ElifEEv20rocsparse_operation_T3_S2_NS_24const_host_device_scalarIT4_EEPKT2_PKS2_PKS4_PS4_lPiSA_PS2_21rocsparse_index_base_20rocsparse_fill_mode_20rocsparse_diag_type_b: ; @_ZN9rocsparseL5csrsmILj1024ELj64ELb0ElifEEv20rocsparse_operation_T3_S2_NS_24const_host_device_scalarIT4_EEPKT2_PKS2_PKS4_PS4_lPiSA_PS2_21rocsparse_index_base_20rocsparse_fill_mode_20rocsparse_diag_type_b
; %bb.0:
	s_clause 0x2
	s_load_b128 s[4:7], s[0:1], 0x58
	s_load_b128 s[12:15], s[0:1], 0x10
	s_load_b64 s[2:3], s[0:1], 0x48
	s_wait_kmcnt 0x0
	s_bitcmp1_b32 s7, 0
	s_cselect_b32 s7, -1, 0
	s_delay_alu instid0(SALU_CYCLE_1)
	s_and_b32 vcc_lo, exec_lo, s7
	s_cbranch_vccnz .LBB53_2
; %bb.1:
	s_load_b32 s12, s[12:13], 0x0
.LBB53_2:
	s_nop 0
	s_load_b64 s[22:23], s[0:1], 0x4
	s_bfe_u32 s9, ttmp6, 0x4000c
	s_and_b32 s8, ttmp6, 15
	s_add_co_i32 s9, s9, 1
	s_getreg_b32 s11, hwreg(HW_REG_IB_STS2, 6, 4)
	s_mul_i32 s9, ttmp9, s9
	v_mov_b32_e32 v10, 0
	s_add_co_i32 s8, s8, s9
	s_wait_kmcnt 0x0
	s_cvt_f32_u32 s7, s22
	s_sub_co_i32 s10, 0, s22
	s_delay_alu instid0(SALU_CYCLE_2) | instskip(SKIP_1) | instid1(TRANS32_DEP_1)
	v_rcp_iflag_f32_e32 v1, s7
	v_nop
	v_readfirstlane_b32 s7, v1
	s_mul_f32 s7, s7, 0x4f7ffffe
	s_delay_alu instid0(SALU_CYCLE_3) | instskip(NEXT) | instid1(SALU_CYCLE_3)
	s_cvt_u32_f32 s7, s7
	s_mul_i32 s10, s10, s7
	s_delay_alu instid0(SALU_CYCLE_1) | instskip(NEXT) | instid1(SALU_CYCLE_1)
	s_mul_hi_u32 s10, s7, s10
	s_add_co_i32 s7, s7, s10
	s_cmp_eq_u32 s11, 0
	s_cselect_b32 s8, ttmp9, s8
	s_delay_alu instid0(SALU_CYCLE_1) | instskip(NEXT) | instid1(SALU_CYCLE_1)
	s_mul_hi_u32 s7, s8, s7
	s_mul_i32 s9, s7, s22
	s_add_co_i32 s10, s7, 1
	s_sub_co_i32 s9, s8, s9
	s_delay_alu instid0(SALU_CYCLE_1)
	s_sub_co_i32 s11, s9, s22
	s_cmp_ge_u32 s9, s22
	s_cselect_b32 s7, s10, s7
	s_cselect_b32 s9, s11, s9
	s_add_co_i32 s10, s7, 1
	s_cmp_ge_u32 s9, s22
	s_cselect_b32 s13, s10, s7
	s_delay_alu instid0(SALU_CYCLE_1) | instskip(SKIP_2) | instid1(SALU_CYCLE_1)
	s_mul_i32 s7, s13, s22
	v_lshl_or_b32 v2, s13, 10, v0
	s_sub_co_i32 s8, s8, s7
	s_ashr_i32 s9, s8, 31
	s_delay_alu instid0(VALU_DEP_1) | instskip(SKIP_1) | instid1(SALU_CYCLE_1)
	v_ashrrev_i32_e32 v3, 31, v2
	s_lshl_b64 s[8:9], s[8:9], 2
	s_add_nc_u64 s[2:3], s[2:3], s[8:9]
	s_load_b128 s[8:11], s[0:1], 0x30
	s_load_b32 s20, s[2:3], 0x0
	s_wait_kmcnt 0x0
	s_ashr_i32 s21, s20, 31
	s_delay_alu instid0(SALU_CYCLE_1) | instskip(NEXT) | instid1(SALU_CYCLE_1)
	s_lshl_b64 s[2:3], s[20:21], 3
	s_add_nc_u64 s[2:3], s[14:15], s[2:3]
	s_load_b64 s[14:15], s[0:1], 0x40
	s_load_b128 s[16:19], s[2:3], 0x0
	s_wait_xcnt 0x0
	v_cmp_gt_i32_e64 s2, s23, v2
	s_mul_u64 s[22:23], s[10:11], s[20:21]
	s_and_saveexec_b32 s3, s2
	s_cbranch_execz .LBB53_4
; %bb.3:
	v_add_nc_u64_e32 v[4:5], s[22:23], v[2:3]
	s_delay_alu instid0(VALU_DEP_1)
	v_lshl_add_u64 v[4:5], v[4:5], 2, s[8:9]
	global_load_b32 v1, v[4:5], off
	s_wait_loadcnt 0x0
	v_mul_f32_e32 v10, s12, v1
.LBB53_4:
	s_or_b32 exec_lo, exec_lo, s3
	s_wait_kmcnt 0x0
	v_cmp_ge_i64_e64 s3, s[16:17], s[18:19]
	v_lshl_add_u64 v[2:3], v[2:3], 2, s[8:9]
	v_mov_b32_e32 v13, 1.0
	s_and_b32 vcc_lo, exec_lo, s3
	v_cmp_eq_u32_e64 s3, 0, v0
	s_cbranch_vccnz .LBB53_41
; %bb.5:
	s_clause 0x1
	s_load_b128 s[24:27], s[0:1], 0x20
	s_load_b64 s[8:9], s[0:1], 0x50
	v_dual_mov_b32 v1, 0 :: v_dual_lshlrev_b32 v4, 2, v0
	s_cmp_lg_u32 s6, 0
	s_mov_b32 s31, 0
	s_mov_b32 s30, s4
	s_delay_alu instid0(VALU_DEP_1)
	v_mov_b32_e32 v5, v1
	s_wait_xcnt 0x0
	v_cmp_ne_u32_e64 s0, 0, v0
	s_cselect_b32 s21, -1, 0
	v_or_b32_e32 v11, 0x1000, v4
	s_add_co_i32 s28, s20, s4
	s_sub_nc_u64 s[12:13], s[16:17], s[30:31]
	s_cmp_eq_u32 s6, 0
	s_sub_nc_u64 s[16:17], s[18:19], s[30:31]
	s_cselect_b32 s1, -1, 0
	s_mov_b64 s[18:19], s[12:13]
	s_wait_kmcnt 0x0
	v_add_nc_u64_e32 v[6:7], s[24:25], v[4:5]
	v_add_nc_u64_e32 v[8:9], s[26:27], v[4:5]
	v_mov_b32_e32 v5, 1.0
	s_sub_co_i32 s13, s18, s12
	s_delay_alu instid0(SALU_CYCLE_1) | instskip(NEXT) | instid1(SALU_CYCLE_1)
	s_and_b32 s13, s13, 0x3ff
	s_cmp_lg_u32 s13, 0
	s_cbranch_scc1 .LBB53_9
.LBB53_6:
	s_sub_nc_u64 s[24:25], s[16:17], s[18:19]
	v_dual_mov_b32 v12, -1.0 :: v_dual_mov_b32 v13, -1
	v_cmp_gt_i64_e32 vcc_lo, s[24:25], v[0:1]
	s_and_saveexec_b32 s24, vcc_lo
	s_cbranch_execz .LBB53_8
; %bb.7:
	s_lshl_b64 s[26:27], s[18:19], 2
	s_delay_alu instid0(SALU_CYCLE_1)
	v_add_nc_u64_e32 v[14:15], s[26:27], v[6:7]
	v_add_nc_u64_e32 v[16:17], s[26:27], v[8:9]
	global_load_b32 v13, v[14:15], off
	global_load_b32 v12, v[16:17], off
	s_wait_loadcnt 0x1
	v_subrev_nc_u32_e32 v13, s4, v13
.LBB53_8:
	s_wait_xcnt 0x0
	s_or_b32 exec_lo, exec_lo, s24
	ds_store_b32 v4, v13
	s_wait_loadcnt 0x0
	ds_store_b32 v11, v12
.LBB53_9:                               ; =>This Loop Header: Depth=1
                                        ;     Child Loop BB53_33 Depth 2
	s_lshl_b32 s13, s13, 2
	s_wait_dscnt 0x0
	v_mov_b32_e32 v12, s13
	s_barrier_signal -1
	s_barrier_wait -1
	ds_load_2addr_stride64_b32 v[12:13], v12 offset1:16
	s_wait_dscnt 0x0
	v_readfirstlane_b32 s24, v12
	v_cmp_neq_f32_e32 vcc_lo, 0, v13
	s_cmp_lg_u32 s24, s20
	s_cselect_b32 s13, -1, 0
	s_delay_alu instid0(SALU_CYCLE_1) | instskip(NEXT) | instid1(SALU_CYCLE_1)
	s_or_b32 s13, s21, s13
	s_or_b32 vcc_lo, vcc_lo, s13
	v_cndmask_b32_e32 v12, 1.0, v13, vcc_lo
	s_nor_b32 s25, s0, vcc_lo
	s_delay_alu instid0(SALU_CYCLE_1)
	s_and_saveexec_b32 s13, s25
	s_cbranch_execz .LBB53_13
; %bb.10:                               ;   in Loop: Header=BB53_9 Depth=1
	v_mbcnt_lo_u32_b32 v12, exec_lo, 0
	s_mov_b32 s25, exec_lo
	s_delay_alu instid0(VALU_DEP_1)
	v_cmpx_eq_u32_e32 0, v12
	s_cbranch_execz .LBB53_12
; %bb.11:                               ;   in Loop: Header=BB53_9 Depth=1
	v_mov_b32_e32 v12, s28
	global_atomic_min_i32 v1, v12, s[8:9] scope:SCOPE_DEV
.LBB53_12:                              ;   in Loop: Header=BB53_9 Depth=1
	s_wait_xcnt 0x0
	s_or_b32 exec_lo, exec_lo, s25
	v_mov_b32_e32 v12, 1.0
.LBB53_13:                              ;   in Loop: Header=BB53_9 Depth=1
	s_or_b32 exec_lo, exec_lo, s13
	s_mov_b32 s26, -1
	s_mov_b32 s13, 0
	s_cmp_lt_i32 s5, 1
	s_mov_b32 s25, 0
                                        ; implicit-def: $vgpr13
	s_cbranch_scc0 .LBB53_20
; %bb.14:                               ;   in Loop: Header=BB53_9 Depth=1
	s_and_b32 vcc_lo, exec_lo, s26
	s_mov_b32 s26, 4
	s_cbranch_vccnz .LBB53_25
.LBB53_15:                              ;   in Loop: Header=BB53_9 Depth=1
	v_mov_b32_e32 v14, v10
	s_and_b32 vcc_lo, exec_lo, s25
	s_cbranch_vccnz .LBB53_30
.LBB53_16:                              ;   in Loop: Header=BB53_9 Depth=1
	s_and_b32 vcc_lo, exec_lo, s13
	s_cbranch_vccnz .LBB53_37
.LBB53_17:                              ;   in Loop: Header=BB53_9 Depth=1
	s_mov_b32 s13, -1
	s_cmp_gt_i32 s26, 3
	s_mov_b32 s24, -1
	s_cbranch_scc0 .LBB53_38
.LBB53_18:                              ;   in Loop: Header=BB53_9 Depth=1
	s_and_not1_b32 vcc_lo, exec_lo, s24
	s_cbranch_vccz .LBB53_39
.LBB53_19:                              ;   in Loop: Header=BB53_9 Depth=1
	s_and_not1_b32 vcc_lo, exec_lo, s13
	s_cbranch_vccnz .LBB53_40
	s_branch .LBB53_42
.LBB53_20:                              ;   in Loop: Header=BB53_9 Depth=1
	s_cmp_eq_u32 s5, 1
	s_mov_b32 s25, -1
                                        ; implicit-def: $vgpr13
	s_cbranch_scc0 .LBB53_24
; %bb.21:                               ;   in Loop: Header=BB53_9 Depth=1
	v_mov_b32_e32 v13, v5
	s_cmp_ge_i32 s24, s20
	s_mov_b32 s25, 0
	s_cbranch_scc0 .LBB53_24
; %bb.22:                               ;   in Loop: Header=BB53_9 Depth=1
	s_cmp_eq_u32 s24, s20
	s_mov_b32 s25, -1
                                        ; implicit-def: $vgpr13
	s_cbranch_scc0 .LBB53_24
; %bb.23:                               ;   in Loop: Header=BB53_9 Depth=1
	v_div_scale_f32 v13, null, v12, v12, 1.0
	s_mov_b32 s25, 0
	v_rcp_f32_e32 v14, v13
	v_nop
	s_delay_alu instid0(TRANS32_DEP_1) | instskip(NEXT) | instid1(VALU_DEP_1)
	v_fma_f32 v15, -v13, v14, 1.0
	v_fmac_f32_e32 v14, v15, v14
	v_div_scale_f32 v15, vcc_lo, 1.0, v12, 1.0
	s_delay_alu instid0(VALU_DEP_1) | instskip(NEXT) | instid1(VALU_DEP_1)
	v_mul_f32_e32 v16, v15, v14
	v_fma_f32 v17, -v13, v16, v15
	s_delay_alu instid0(VALU_DEP_1) | instskip(NEXT) | instid1(VALU_DEP_1)
	v_fmac_f32_e32 v16, v17, v14
	v_fma_f32 v13, -v13, v16, v15
	s_delay_alu instid0(VALU_DEP_1) | instskip(NEXT) | instid1(VALU_DEP_1)
	v_div_fmas_f32 v13, v13, v14, v16
	v_div_fixup_f32 v13, v13, v12, 1.0
	s_delay_alu instid0(VALU_DEP_1)
	v_cndmask_b32_e64 v13, v5, v13, s1
.LBB53_24:                              ;   in Loop: Header=BB53_9 Depth=1
	s_mov_b32 s26, 4
	s_branch .LBB53_15
.LBB53_25:                              ;   in Loop: Header=BB53_9 Depth=1
	s_cmp_eq_u32 s5, 0
	s_cbranch_scc1 .LBB53_27
; %bb.26:                               ;   in Loop: Header=BB53_9 Depth=1
	s_mov_b32 s25, -1
	s_branch .LBB53_29
.LBB53_27:                              ;   in Loop: Header=BB53_9 Depth=1
	s_cmp_le_i32 s24, s20
	s_mov_b32 s25, 0
	s_cbranch_scc0 .LBB53_29
; %bb.28:                               ;   in Loop: Header=BB53_9 Depth=1
	s_cmp_lg_u32 s24, s20
	s_mov_b32 s13, -1
	s_cselect_b32 s25, -1, 0
.LBB53_29:                              ;   in Loop: Header=BB53_9 Depth=1
	v_mov_b32_e32 v13, v5
	s_mov_b32 s26, 2
	v_mov_b32_e32 v14, v10
	s_and_b32 vcc_lo, exec_lo, s25
	s_cbranch_vccz .LBB53_16
.LBB53_30:                              ;   in Loop: Header=BB53_9 Depth=1
	s_and_saveexec_b32 s13, s3
	s_cbranch_execz .LBB53_34
; %bb.31:                               ;   in Loop: Header=BB53_9 Depth=1
	s_add_co_i32 s26, s24, s7
	s_delay_alu instid0(SALU_CYCLE_1)
	v_mov_b32_e32 v13, s26
	global_load_b32 v13, v13, s[14:15] scale_offset scope:SCOPE_DEV
	s_wait_loadcnt 0x0
	v_cmp_ne_u32_e32 vcc_lo, 0, v13
	s_cbranch_vccnz .LBB53_34
; %bb.32:                               ;   in Loop: Header=BB53_9 Depth=1
	s_ashr_i32 s27, s26, 31
	s_delay_alu instid0(SALU_CYCLE_1) | instskip(NEXT) | instid1(SALU_CYCLE_1)
	s_lshl_b64 s[26:27], s[26:27], 2
	s_add_nc_u64 s[26:27], s[14:15], s[26:27]
.LBB53_33:                              ;   Parent Loop BB53_9 Depth=1
                                        ; =>  This Inner Loop Header: Depth=2
	global_load_b32 v13, v1, s[26:27] scope:SCOPE_DEV
	s_wait_loadcnt 0x0
	v_cmp_eq_u32_e32 vcc_lo, 0, v13
	s_cbranch_vccnz .LBB53_33
.LBB53_34:                              ;   in Loop: Header=BB53_9 Depth=1
	s_wait_xcnt 0x0
	s_or_b32 exec_lo, exec_lo, s13
	v_mov_b32_e32 v14, 0
	s_wait_storecnt 0x0
	s_barrier_signal -1
	s_barrier_wait -1
	global_inv scope:SCOPE_DEV
	s_and_saveexec_b32 s13, s2
	s_cbranch_execz .LBB53_36
; %bb.35:                               ;   in Loop: Header=BB53_9 Depth=1
	s_ashr_i32 s25, s24, 31
	s_delay_alu instid0(SALU_CYCLE_1) | instskip(NEXT) | instid1(SALU_CYCLE_1)
	s_mul_u64 s[24:25], s[10:11], s[24:25]
	v_lshl_add_u64 v[14:15], s[24:25], 2, v[2:3]
	global_load_b32 v13, v[14:15], off
	s_wait_loadcnt 0x0
	v_fma_f32 v14, -v12, v13, v10
.LBB53_36:                              ;   in Loop: Header=BB53_9 Depth=1
	s_or_b32 exec_lo, exec_lo, s13
	v_mov_b32_e32 v13, v5
	s_mov_b32 s26, 0
	s_branch .LBB53_17
.LBB53_37:                              ;   in Loop: Header=BB53_9 Depth=1
	v_div_scale_f32 v13, null, v12, v12, 1.0
	v_div_scale_f32 v16, vcc_lo, 1.0, v12, 1.0
	s_mov_b32 s26, 2
	v_rcp_f32_e32 v14, v13
	v_nop
	s_delay_alu instid0(TRANS32_DEP_1) | instskip(NEXT) | instid1(VALU_DEP_1)
	v_fma_f32 v15, -v13, v14, 1.0
	v_fmac_f32_e32 v14, v15, v14
	s_delay_alu instid0(VALU_DEP_1) | instskip(NEXT) | instid1(VALU_DEP_1)
	v_mul_f32_e32 v15, v16, v14
	v_fma_f32 v17, -v13, v15, v16
	s_delay_alu instid0(VALU_DEP_1) | instskip(NEXT) | instid1(VALU_DEP_1)
	v_fmac_f32_e32 v15, v17, v14
	v_fma_f32 v13, -v13, v15, v16
	s_delay_alu instid0(VALU_DEP_1) | instskip(SKIP_1) | instid1(VALU_DEP_2)
	v_div_fmas_f32 v13, v13, v14, v15
	v_mov_b32_e32 v14, v10
	v_div_fixup_f32 v12, v13, v12, 1.0
	s_delay_alu instid0(VALU_DEP_1)
	v_cndmask_b32_e64 v13, v5, v12, s1
	s_mov_b32 s13, -1
	s_cmp_gt_i32 s26, 3
	s_mov_b32 s24, -1
	s_cbranch_scc1 .LBB53_18
.LBB53_38:                              ;   in Loop: Header=BB53_9 Depth=1
	s_cmp_eq_u32 s26, 0
	s_cselect_b32 s24, -1, 0
	s_delay_alu instid0(SALU_CYCLE_1)
	s_and_not1_b32 vcc_lo, exec_lo, s24
	s_cbranch_vccnz .LBB53_19
.LBB53_39:                              ;   in Loop: Header=BB53_9 Depth=1
	s_add_nc_u64 s[18:19], s[18:19], 1
	s_delay_alu instid0(SALU_CYCLE_1)
	v_cmp_ge_i64_e64 s13, s[18:19], s[16:17]
	s_and_not1_b32 vcc_lo, exec_lo, s13
	s_cbranch_vccz .LBB53_42
.LBB53_40:                              ;   in Loop: Header=BB53_9 Depth=1
	v_dual_mov_b32 v10, v14 :: v_dual_mov_b32 v5, v13
	s_sub_co_i32 s13, s18, s12
	s_delay_alu instid0(SALU_CYCLE_1) | instskip(NEXT) | instid1(SALU_CYCLE_1)
	s_and_b32 s13, s13, 0x3ff
	s_cmp_lg_u32 s13, 0
	s_cbranch_scc1 .LBB53_9
	s_branch .LBB53_6
.LBB53_41:
	v_mov_b32_e32 v14, v10
.LBB53_42:
	s_and_saveexec_b32 s0, s2
	s_cbranch_execz .LBB53_44
; %bb.43:
	s_delay_alu instid0(VALU_DEP_1) | instskip(SKIP_3) | instid1(VALU_DEP_2)
	v_mul_f32_e32 v1, v13, v14
	s_cmp_eq_u32 s6, 0
	v_lshl_add_u64 v[2:3], s[22:23], 2, v[2:3]
	s_cselect_b32 vcc_lo, -1, 0
	v_cndmask_b32_e32 v1, v14, v1, vcc_lo
	global_store_b32 v[2:3], v1, off
.LBB53_44:
	s_wait_xcnt 0x0
	s_or_b32 exec_lo, exec_lo, s0
	global_wb scope:SCOPE_DEV
	s_wait_loadcnt 0x0
	s_wait_storecnt 0x0
	global_inv scope:SCOPE_DEV
	s_wait_loadcnt 0x0
	s_barrier_signal -1
	s_barrier_wait -1
	s_mov_b32 s0, exec_lo
	v_cmpx_eq_u32_e32 0, v0
	s_cbranch_execz .LBB53_46
; %bb.45:
	s_add_co_i32 s0, s20, s7
	s_delay_alu instid0(SALU_CYCLE_1)
	v_dual_mov_b32 v0, 1 :: v_dual_mov_b32 v1, s0
	global_store_b32 v1, v0, s[14:15] scale_offset scope:SCOPE_DEV
.LBB53_46:
	s_endpgm
	.section	.rodata,"a",@progbits
	.p2align	6, 0x0
	.amdhsa_kernel _ZN9rocsparseL5csrsmILj1024ELj64ELb0ElifEEv20rocsparse_operation_T3_S2_NS_24const_host_device_scalarIT4_EEPKT2_PKS2_PKS4_PS4_lPiSA_PS2_21rocsparse_index_base_20rocsparse_fill_mode_20rocsparse_diag_type_b
		.amdhsa_group_segment_fixed_size 8192
		.amdhsa_private_segment_fixed_size 0
		.amdhsa_kernarg_size 104
		.amdhsa_user_sgpr_count 2
		.amdhsa_user_sgpr_dispatch_ptr 0
		.amdhsa_user_sgpr_queue_ptr 0
		.amdhsa_user_sgpr_kernarg_segment_ptr 1
		.amdhsa_user_sgpr_dispatch_id 0
		.amdhsa_user_sgpr_kernarg_preload_length 0
		.amdhsa_user_sgpr_kernarg_preload_offset 0
		.amdhsa_user_sgpr_private_segment_size 0
		.amdhsa_wavefront_size32 1
		.amdhsa_uses_dynamic_stack 0
		.amdhsa_enable_private_segment 0
		.amdhsa_system_sgpr_workgroup_id_x 1
		.amdhsa_system_sgpr_workgroup_id_y 0
		.amdhsa_system_sgpr_workgroup_id_z 0
		.amdhsa_system_sgpr_workgroup_info 0
		.amdhsa_system_vgpr_workitem_id 0
		.amdhsa_next_free_vgpr 18
		.amdhsa_next_free_sgpr 32
		.amdhsa_named_barrier_count 0
		.amdhsa_reserve_vcc 1
		.amdhsa_float_round_mode_32 0
		.amdhsa_float_round_mode_16_64 0
		.amdhsa_float_denorm_mode_32 3
		.amdhsa_float_denorm_mode_16_64 3
		.amdhsa_fp16_overflow 0
		.amdhsa_memory_ordered 1
		.amdhsa_forward_progress 1
		.amdhsa_inst_pref_size 13
		.amdhsa_round_robin_scheduling 0
		.amdhsa_exception_fp_ieee_invalid_op 0
		.amdhsa_exception_fp_denorm_src 0
		.amdhsa_exception_fp_ieee_div_zero 0
		.amdhsa_exception_fp_ieee_overflow 0
		.amdhsa_exception_fp_ieee_underflow 0
		.amdhsa_exception_fp_ieee_inexact 0
		.amdhsa_exception_int_div_zero 0
	.end_amdhsa_kernel
	.section	.text._ZN9rocsparseL5csrsmILj1024ELj64ELb0ElifEEv20rocsparse_operation_T3_S2_NS_24const_host_device_scalarIT4_EEPKT2_PKS2_PKS4_PS4_lPiSA_PS2_21rocsparse_index_base_20rocsparse_fill_mode_20rocsparse_diag_type_b,"axG",@progbits,_ZN9rocsparseL5csrsmILj1024ELj64ELb0ElifEEv20rocsparse_operation_T3_S2_NS_24const_host_device_scalarIT4_EEPKT2_PKS2_PKS4_PS4_lPiSA_PS2_21rocsparse_index_base_20rocsparse_fill_mode_20rocsparse_diag_type_b,comdat
.Lfunc_end53:
	.size	_ZN9rocsparseL5csrsmILj1024ELj64ELb0ElifEEv20rocsparse_operation_T3_S2_NS_24const_host_device_scalarIT4_EEPKT2_PKS2_PKS4_PS4_lPiSA_PS2_21rocsparse_index_base_20rocsparse_fill_mode_20rocsparse_diag_type_b, .Lfunc_end53-_ZN9rocsparseL5csrsmILj1024ELj64ELb0ElifEEv20rocsparse_operation_T3_S2_NS_24const_host_device_scalarIT4_EEPKT2_PKS2_PKS4_PS4_lPiSA_PS2_21rocsparse_index_base_20rocsparse_fill_mode_20rocsparse_diag_type_b
                                        ; -- End function
	.set _ZN9rocsparseL5csrsmILj1024ELj64ELb0ElifEEv20rocsparse_operation_T3_S2_NS_24const_host_device_scalarIT4_EEPKT2_PKS2_PKS4_PS4_lPiSA_PS2_21rocsparse_index_base_20rocsparse_fill_mode_20rocsparse_diag_type_b.num_vgpr, 18
	.set _ZN9rocsparseL5csrsmILj1024ELj64ELb0ElifEEv20rocsparse_operation_T3_S2_NS_24const_host_device_scalarIT4_EEPKT2_PKS2_PKS4_PS4_lPiSA_PS2_21rocsparse_index_base_20rocsparse_fill_mode_20rocsparse_diag_type_b.num_agpr, 0
	.set _ZN9rocsparseL5csrsmILj1024ELj64ELb0ElifEEv20rocsparse_operation_T3_S2_NS_24const_host_device_scalarIT4_EEPKT2_PKS2_PKS4_PS4_lPiSA_PS2_21rocsparse_index_base_20rocsparse_fill_mode_20rocsparse_diag_type_b.numbered_sgpr, 32
	.set _ZN9rocsparseL5csrsmILj1024ELj64ELb0ElifEEv20rocsparse_operation_T3_S2_NS_24const_host_device_scalarIT4_EEPKT2_PKS2_PKS4_PS4_lPiSA_PS2_21rocsparse_index_base_20rocsparse_fill_mode_20rocsparse_diag_type_b.num_named_barrier, 0
	.set _ZN9rocsparseL5csrsmILj1024ELj64ELb0ElifEEv20rocsparse_operation_T3_S2_NS_24const_host_device_scalarIT4_EEPKT2_PKS2_PKS4_PS4_lPiSA_PS2_21rocsparse_index_base_20rocsparse_fill_mode_20rocsparse_diag_type_b.private_seg_size, 0
	.set _ZN9rocsparseL5csrsmILj1024ELj64ELb0ElifEEv20rocsparse_operation_T3_S2_NS_24const_host_device_scalarIT4_EEPKT2_PKS2_PKS4_PS4_lPiSA_PS2_21rocsparse_index_base_20rocsparse_fill_mode_20rocsparse_diag_type_b.uses_vcc, 1
	.set _ZN9rocsparseL5csrsmILj1024ELj64ELb0ElifEEv20rocsparse_operation_T3_S2_NS_24const_host_device_scalarIT4_EEPKT2_PKS2_PKS4_PS4_lPiSA_PS2_21rocsparse_index_base_20rocsparse_fill_mode_20rocsparse_diag_type_b.uses_flat_scratch, 0
	.set _ZN9rocsparseL5csrsmILj1024ELj64ELb0ElifEEv20rocsparse_operation_T3_S2_NS_24const_host_device_scalarIT4_EEPKT2_PKS2_PKS4_PS4_lPiSA_PS2_21rocsparse_index_base_20rocsparse_fill_mode_20rocsparse_diag_type_b.has_dyn_sized_stack, 0
	.set _ZN9rocsparseL5csrsmILj1024ELj64ELb0ElifEEv20rocsparse_operation_T3_S2_NS_24const_host_device_scalarIT4_EEPKT2_PKS2_PKS4_PS4_lPiSA_PS2_21rocsparse_index_base_20rocsparse_fill_mode_20rocsparse_diag_type_b.has_recursion, 0
	.set _ZN9rocsparseL5csrsmILj1024ELj64ELb0ElifEEv20rocsparse_operation_T3_S2_NS_24const_host_device_scalarIT4_EEPKT2_PKS2_PKS4_PS4_lPiSA_PS2_21rocsparse_index_base_20rocsparse_fill_mode_20rocsparse_diag_type_b.has_indirect_call, 0
	.section	.AMDGPU.csdata,"",@progbits
; Kernel info:
; codeLenInByte = 1640
; TotalNumSgprs: 34
; NumVgprs: 18
; ScratchSize: 0
; MemoryBound: 0
; FloatMode: 240
; IeeeMode: 1
; LDSByteSize: 8192 bytes/workgroup (compile time only)
; SGPRBlocks: 0
; VGPRBlocks: 1
; NumSGPRsForWavesPerEU: 34
; NumVGPRsForWavesPerEU: 18
; NamedBarCnt: 0
; Occupancy: 16
; WaveLimiterHint : 1
; COMPUTE_PGM_RSRC2:SCRATCH_EN: 0
; COMPUTE_PGM_RSRC2:USER_SGPR: 2
; COMPUTE_PGM_RSRC2:TRAP_HANDLER: 0
; COMPUTE_PGM_RSRC2:TGID_X_EN: 1
; COMPUTE_PGM_RSRC2:TGID_Y_EN: 0
; COMPUTE_PGM_RSRC2:TGID_Z_EN: 0
; COMPUTE_PGM_RSRC2:TIDIG_COMP_CNT: 0
	.section	.text._ZN9rocsparseL5csrsmILj64ELj64ELb1ElidEEv20rocsparse_operation_T3_S2_NS_24const_host_device_scalarIT4_EEPKT2_PKS2_PKS4_PS4_lPiSA_PS2_21rocsparse_index_base_20rocsparse_fill_mode_20rocsparse_diag_type_b,"axG",@progbits,_ZN9rocsparseL5csrsmILj64ELj64ELb1ElidEEv20rocsparse_operation_T3_S2_NS_24const_host_device_scalarIT4_EEPKT2_PKS2_PKS4_PS4_lPiSA_PS2_21rocsparse_index_base_20rocsparse_fill_mode_20rocsparse_diag_type_b,comdat
	.globl	_ZN9rocsparseL5csrsmILj64ELj64ELb1ElidEEv20rocsparse_operation_T3_S2_NS_24const_host_device_scalarIT4_EEPKT2_PKS2_PKS4_PS4_lPiSA_PS2_21rocsparse_index_base_20rocsparse_fill_mode_20rocsparse_diag_type_b ; -- Begin function _ZN9rocsparseL5csrsmILj64ELj64ELb1ElidEEv20rocsparse_operation_T3_S2_NS_24const_host_device_scalarIT4_EEPKT2_PKS2_PKS4_PS4_lPiSA_PS2_21rocsparse_index_base_20rocsparse_fill_mode_20rocsparse_diag_type_b
	.p2align	8
	.type	_ZN9rocsparseL5csrsmILj64ELj64ELb1ElidEEv20rocsparse_operation_T3_S2_NS_24const_host_device_scalarIT4_EEPKT2_PKS2_PKS4_PS4_lPiSA_PS2_21rocsparse_index_base_20rocsparse_fill_mode_20rocsparse_diag_type_b,@function
_ZN9rocsparseL5csrsmILj64ELj64ELb1ElidEEv20rocsparse_operation_T3_S2_NS_24const_host_device_scalarIT4_EEPKT2_PKS2_PKS4_PS4_lPiSA_PS2_21rocsparse_index_base_20rocsparse_fill_mode_20rocsparse_diag_type_b: ; @_ZN9rocsparseL5csrsmILj64ELj64ELb1ElidEEv20rocsparse_operation_T3_S2_NS_24const_host_device_scalarIT4_EEPKT2_PKS2_PKS4_PS4_lPiSA_PS2_21rocsparse_index_base_20rocsparse_fill_mode_20rocsparse_diag_type_b
; %bb.0:
	s_clause 0x2
	s_load_b128 s[4:7], s[0:1], 0x58
	s_load_b128 s[12:15], s[0:1], 0x10
	s_load_b64 s[2:3], s[0:1], 0x48
	s_wait_kmcnt 0x0
	s_bitcmp1_b32 s7, 0
	v_mov_b64_e32 v[2:3], s[12:13]
	s_cselect_b32 s7, -1, 0
	s_delay_alu instid0(SALU_CYCLE_1)
	s_and_b32 vcc_lo, exec_lo, s7
	s_cbranch_vccnz .LBB54_2
; %bb.1:
	v_mov_b32_e32 v1, 0
	flat_load_b64 v[2:3], v1, s[12:13]
.LBB54_2:
	s_load_b64 s[20:21], s[0:1], 0x4
	s_bfe_u32 s9, ttmp6, 0x4000c
	s_and_b32 s8, ttmp6, 15
	s_add_co_i32 s9, s9, 1
	s_getreg_b32 s11, hwreg(HW_REG_IB_STS2, 6, 4)
	s_mul_i32 s9, ttmp9, s9
	v_mov_b64_e32 v[4:5], 0
	s_add_co_i32 s8, s8, s9
	s_wait_kmcnt 0x0
	s_cvt_f32_u32 s7, s20
	s_sub_co_i32 s10, 0, s20
	s_delay_alu instid0(SALU_CYCLE_2) | instskip(SKIP_1) | instid1(TRANS32_DEP_1)
	v_rcp_iflag_f32_e32 v1, s7
	v_nop
	v_readfirstlane_b32 s7, v1
	s_mul_f32 s7, s7, 0x4f7ffffe
	s_delay_alu instid0(SALU_CYCLE_3) | instskip(NEXT) | instid1(SALU_CYCLE_3)
	s_cvt_u32_f32 s7, s7
	s_mul_i32 s10, s10, s7
	s_delay_alu instid0(SALU_CYCLE_1) | instskip(NEXT) | instid1(SALU_CYCLE_1)
	s_mul_hi_u32 s10, s7, s10
	s_add_co_i32 s7, s7, s10
	s_cmp_eq_u32 s11, 0
	s_cselect_b32 s8, ttmp9, s8
	s_delay_alu instid0(SALU_CYCLE_1) | instskip(NEXT) | instid1(SALU_CYCLE_1)
	s_mul_hi_u32 s7, s8, s7
	s_mul_i32 s9, s7, s20
	s_add_co_i32 s10, s7, 1
	s_sub_co_i32 s9, s8, s9
	s_delay_alu instid0(SALU_CYCLE_1)
	s_sub_co_i32 s11, s9, s20
	s_cmp_ge_u32 s9, s20
	s_cselect_b32 s7, s10, s7
	s_cselect_b32 s9, s11, s9
	s_add_co_i32 s10, s7, 1
	s_cmp_ge_u32 s9, s20
	s_cselect_b32 s22, s10, s7
	s_delay_alu instid0(SALU_CYCLE_1) | instskip(SKIP_2) | instid1(SALU_CYCLE_1)
	s_mul_i32 s7, s22, s20
	v_lshl_or_b32 v6, s22, 6, v0
	s_sub_co_i32 s8, s8, s7
	s_ashr_i32 s9, s8, 31
	s_delay_alu instid0(VALU_DEP_1) | instskip(SKIP_1) | instid1(SALU_CYCLE_1)
	v_ashrrev_i32_e32 v7, 31, v6
	s_lshl_b64 s[8:9], s[8:9], 2
	s_add_nc_u64 s[2:3], s[2:3], s[8:9]
	s_load_b128 s[8:11], s[0:1], 0x30
	s_load_b32 s16, s[2:3], 0x0
	s_wait_kmcnt 0x0
	s_ashr_i32 s17, s16, 31
	s_delay_alu instid0(SALU_CYCLE_1) | instskip(NEXT) | instid1(SALU_CYCLE_1)
	s_lshl_b64 s[2:3], s[16:17], 3
	s_add_nc_u64 s[2:3], s[14:15], s[2:3]
	s_load_b64 s[18:19], s[0:1], 0x40
	s_load_b128 s[12:15], s[2:3], 0x0
	s_wait_xcnt 0x0
	v_cmp_gt_i32_e64 s2, s21, v6
	s_mul_u64 s[20:21], s[10:11], s[16:17]
	s_and_saveexec_b32 s3, s2
	s_cbranch_execz .LBB54_4
; %bb.3:
	v_add_nc_u64_e32 v[4:5], s[20:21], v[6:7]
	s_delay_alu instid0(VALU_DEP_1)
	v_lshl_add_u64 v[4:5], v[4:5], 3, s[8:9]
	global_load_b64 v[4:5], v[4:5], off
	s_wait_loadcnt_dscnt 0x0
	v_mul_f64_e32 v[4:5], v[2:3], v[4:5]
.LBB54_4:
	s_or_b32 exec_lo, exec_lo, s3
	s_wait_kmcnt 0x0
	v_cmp_ge_i64_e64 s3, s[12:13], s[14:15]
	v_mov_b64_e32 v[16:17], 1.0
	s_wait_loadcnt_dscnt 0x0
	v_lshl_add_u64 v[2:3], v[6:7], 3, s[8:9]
	s_and_b32 vcc_lo, exec_lo, s3
	v_cmp_eq_u32_e64 s3, 0, v0
	s_cbranch_vccnz .LBB54_43
; %bb.5:
	s_clause 0x1
	s_load_b128 s[24:27], s[0:1], 0x20
	s_load_b64 s[8:9], s[0:1], 0x50
	v_dual_mov_b32 v1, 0 :: v_dual_lshlrev_b32 v8, 2, v0
	v_lshlrev_b32_e32 v6, 3, v0
	s_cmp_lg_u32 s6, 0
	v_mov_b64_e32 v[12:13], 1.0
	s_delay_alu instid0(VALU_DEP_3)
	v_dual_mov_b32 v9, v1 :: v_dual_mov_b32 v7, v1
	v_or_b32_e32 v20, 0x200, v8
	s_mov_b32 s23, 0
	s_mov_b32 s22, s4
	s_wait_xcnt 0x0
	v_cmp_ne_u32_e64 s0, 0, v0
	s_cselect_b32 s17, -1, 0
	s_add_co_i32 s28, s16, s4
	s_sub_nc_u64 s[12:13], s[12:13], s[22:23]
	s_cmp_eq_u32 s6, 0
	s_sub_nc_u64 s[14:15], s[14:15], s[22:23]
	s_cselect_b32 s1, -1, 0
	s_mov_b64 s[22:23], s[12:13]
	s_wait_kmcnt 0x0
	v_add_nc_u64_e32 v[8:9], s[24:25], v[8:9]
	v_add_nc_u64_e32 v[10:11], s[26:27], v[6:7]
	s_sub_co_i32 s13, s22, s12
	s_delay_alu instid0(SALU_CYCLE_1) | instskip(NEXT) | instid1(SALU_CYCLE_1)
	s_and_b32 s13, s13, 63
	s_cmp_lg_u32 s13, 0
	s_cbranch_scc1 .LBB54_9
.LBB54_6:
	s_sub_nc_u64 s[24:25], s[14:15], s[22:23]
	v_mov_b64_e32 v[14:15], -1.0
	v_cmp_gt_i64_e32 vcc_lo, s[24:25], v[0:1]
	v_mov_b32_e32 v7, -1
	s_and_saveexec_b32 s24, vcc_lo
	s_cbranch_execz .LBB54_8
; %bb.7:
	v_lshl_add_u64 v[14:15], s[22:23], 2, v[8:9]
	global_load_b32 v7, v[14:15], off
	s_wait_xcnt 0x0
	v_lshl_add_u64 v[14:15], s[22:23], 3, v[10:11]
	global_load_b64 v[14:15], v[14:15], off
	s_wait_loadcnt 0x1
	v_subrev_nc_u32_e32 v7, s4, v7
.LBB54_8:
	s_wait_xcnt 0x0
	s_or_b32 exec_lo, exec_lo, s24
	ds_store_b32 v20, v7
	s_wait_loadcnt 0x0
	ds_store_b64 v6, v[14:15]
.LBB54_9:                               ; =>This Loop Header: Depth=1
                                        ;     Child Loop BB54_41 Depth 2
                                        ;       Child Loop BB54_42 Depth 3
	s_lshl_b32 s24, s13, 3
	s_wait_dscnt 0x0
	v_mov_b32_e32 v7, s24
	s_barrier_signal -1
	s_barrier_wait -1
	s_lshl_b32 s13, s13, 2
	ds_load_b64 v[14:15], v7
	v_mov_b32_e32 v7, s13
	ds_load_b32 v7, v7 offset:512
	s_wait_dscnt 0x1
	v_cmp_neq_f64_e32 vcc_lo, 0, v[14:15]
	s_wait_dscnt 0x0
	v_readfirstlane_b32 s24, v7
	s_cmp_lg_u32 s24, s16
	s_cselect_b32 s13, -1, 0
	s_delay_alu instid0(SALU_CYCLE_1) | instskip(NEXT) | instid1(SALU_CYCLE_1)
	s_or_b32 s13, s17, s13
	s_or_b32 vcc_lo, vcc_lo, s13
	v_cndmask_b32_e32 v15, 0x3ff00000, v15, vcc_lo
	v_cndmask_b32_e32 v14, 0, v14, vcc_lo
	s_nor_b32 s25, s0, vcc_lo
	s_delay_alu instid0(SALU_CYCLE_1)
	s_and_saveexec_b32 s13, s25
	s_cbranch_execz .LBB54_13
; %bb.10:                               ;   in Loop: Header=BB54_9 Depth=1
	v_mbcnt_lo_u32_b32 v7, exec_lo, 0
	s_mov_b32 s25, exec_lo
	s_delay_alu instid0(VALU_DEP_1)
	v_cmpx_eq_u32_e32 0, v7
	s_cbranch_execz .LBB54_12
; %bb.11:                               ;   in Loop: Header=BB54_9 Depth=1
	v_mov_b32_e32 v7, s28
	global_atomic_min_i32 v1, v7, s[8:9] scope:SCOPE_DEV
.LBB54_12:                              ;   in Loop: Header=BB54_9 Depth=1
	s_wait_xcnt 0x0
	s_or_b32 exec_lo, exec_lo, s25
	v_mov_b64_e32 v[14:15], 1.0
.LBB54_13:                              ;   in Loop: Header=BB54_9 Depth=1
	s_or_b32 exec_lo, exec_lo, s13
	s_mov_b32 s26, -1
	s_mov_b32 s13, 0
	s_cmp_lt_i32 s5, 1
	s_mov_b32 s25, 0
                                        ; implicit-def: $vgpr16_vgpr17
	s_cbranch_scc0 .LBB54_20
; %bb.14:                               ;   in Loop: Header=BB54_9 Depth=1
	s_and_b32 vcc_lo, exec_lo, s26
	s_mov_b32 s26, 4
	s_cbranch_vccnz .LBB54_25
.LBB54_15:                              ;   in Loop: Header=BB54_9 Depth=1
	v_mov_b64_e32 v[18:19], v[4:5]
	s_and_b32 vcc_lo, exec_lo, s25
	s_cbranch_vccnz .LBB54_30
.LBB54_16:                              ;   in Loop: Header=BB54_9 Depth=1
	s_and_b32 vcc_lo, exec_lo, s13
	s_cbranch_vccnz .LBB54_35
.LBB54_17:                              ;   in Loop: Header=BB54_9 Depth=1
	s_mov_b32 s13, -1
	s_cmp_gt_i32 s26, 3
	s_mov_b32 s24, -1
	s_cbranch_scc0 .LBB54_36
.LBB54_18:                              ;   in Loop: Header=BB54_9 Depth=1
	s_and_not1_b32 vcc_lo, exec_lo, s24
	s_cbranch_vccz .LBB54_37
.LBB54_19:                              ;   in Loop: Header=BB54_9 Depth=1
	s_and_not1_b32 vcc_lo, exec_lo, s13
	s_cbranch_vccnz .LBB54_38
	s_branch .LBB54_44
.LBB54_20:                              ;   in Loop: Header=BB54_9 Depth=1
	s_cmp_eq_u32 s5, 1
	s_mov_b32 s25, -1
                                        ; implicit-def: $vgpr16_vgpr17
	s_cbranch_scc0 .LBB54_24
; %bb.21:                               ;   in Loop: Header=BB54_9 Depth=1
	v_mov_b64_e32 v[16:17], v[12:13]
	s_cmp_ge_i32 s24, s16
	s_mov_b32 s25, 0
	s_cbranch_scc0 .LBB54_24
; %bb.22:                               ;   in Loop: Header=BB54_9 Depth=1
	s_cmp_eq_u32 s24, s16
	s_mov_b32 s25, -1
                                        ; implicit-def: $vgpr16_vgpr17
	s_cbranch_scc0 .LBB54_24
; %bb.23:                               ;   in Loop: Header=BB54_9 Depth=1
	v_div_scale_f64 v[16:17], null, v[14:15], v[14:15], 1.0
	v_div_scale_f64 v[24:25], vcc_lo, 1.0, v[14:15], 1.0
	s_mov_b32 s25, 0
	v_rcp_f64_e32 v[18:19], v[16:17]
	v_nop
	s_delay_alu instid0(TRANS32_DEP_1) | instskip(NEXT) | instid1(VALU_DEP_1)
	v_fma_f64 v[22:23], -v[16:17], v[18:19], 1.0
	v_fmac_f64_e32 v[18:19], v[18:19], v[22:23]
	s_delay_alu instid0(VALU_DEP_1) | instskip(NEXT) | instid1(VALU_DEP_1)
	v_fma_f64 v[22:23], -v[16:17], v[18:19], 1.0
	v_fmac_f64_e32 v[18:19], v[18:19], v[22:23]
	s_delay_alu instid0(VALU_DEP_1) | instskip(NEXT) | instid1(VALU_DEP_1)
	v_mul_f64_e32 v[22:23], v[24:25], v[18:19]
	v_fma_f64 v[16:17], -v[16:17], v[22:23], v[24:25]
	s_delay_alu instid0(VALU_DEP_1) | instskip(NEXT) | instid1(VALU_DEP_1)
	v_div_fmas_f64 v[16:17], v[16:17], v[18:19], v[22:23]
	v_div_fixup_f64 v[16:17], v[16:17], v[14:15], 1.0
	s_delay_alu instid0(VALU_DEP_1)
	v_dual_cndmask_b32 v17, v13, v17, s1 :: v_dual_cndmask_b32 v16, v12, v16, s1
.LBB54_24:                              ;   in Loop: Header=BB54_9 Depth=1
	s_mov_b32 s26, 4
	s_branch .LBB54_15
.LBB54_25:                              ;   in Loop: Header=BB54_9 Depth=1
	s_cmp_eq_u32 s5, 0
	s_cbranch_scc1 .LBB54_27
; %bb.26:                               ;   in Loop: Header=BB54_9 Depth=1
	s_mov_b32 s25, -1
	s_branch .LBB54_29
.LBB54_27:                              ;   in Loop: Header=BB54_9 Depth=1
	s_cmp_le_i32 s24, s16
	s_mov_b32 s25, 0
	s_cbranch_scc0 .LBB54_29
; %bb.28:                               ;   in Loop: Header=BB54_9 Depth=1
	s_cmp_lg_u32 s24, s16
	s_mov_b32 s13, -1
	s_cselect_b32 s25, -1, 0
.LBB54_29:                              ;   in Loop: Header=BB54_9 Depth=1
	v_mov_b64_e32 v[16:17], v[12:13]
	s_mov_b32 s26, 2
	v_mov_b64_e32 v[18:19], v[4:5]
	s_and_b32 vcc_lo, exec_lo, s25
	s_cbranch_vccz .LBB54_16
.LBB54_30:                              ;   in Loop: Header=BB54_9 Depth=1
	s_and_saveexec_b32 s13, s3
	s_cbranch_execz .LBB54_32
; %bb.31:                               ;   in Loop: Header=BB54_9 Depth=1
	s_add_co_i32 s26, s24, s7
	s_delay_alu instid0(SALU_CYCLE_1)
	v_mov_b32_e32 v7, s26
	global_load_b32 v7, v7, s[18:19] scale_offset scope:SCOPE_DEV
	s_wait_loadcnt 0x0
	v_cmp_ne_u32_e32 vcc_lo, 0, v7
	s_cbranch_vccz .LBB54_39
.LBB54_32:                              ;   in Loop: Header=BB54_9 Depth=1
	s_wait_xcnt 0x0
	s_or_b32 exec_lo, exec_lo, s13
	v_mov_b64_e32 v[18:19], 0
	s_wait_storecnt 0x0
	s_barrier_signal -1
	s_barrier_wait -1
	global_inv scope:SCOPE_DEV
	s_and_saveexec_b32 s13, s2
	s_cbranch_execz .LBB54_34
; %bb.33:                               ;   in Loop: Header=BB54_9 Depth=1
	s_ashr_i32 s25, s24, 31
	s_delay_alu instid0(SALU_CYCLE_1) | instskip(NEXT) | instid1(SALU_CYCLE_1)
	s_mul_u64 s[24:25], s[10:11], s[24:25]
	v_lshl_add_u64 v[16:17], s[24:25], 3, v[2:3]
	global_load_b64 v[16:17], v[16:17], off
	s_wait_loadcnt 0x0
	v_fma_f64 v[18:19], -v[14:15], v[16:17], v[4:5]
.LBB54_34:                              ;   in Loop: Header=BB54_9 Depth=1
	s_or_b32 exec_lo, exec_lo, s13
	v_mov_b64_e32 v[16:17], v[12:13]
	s_mov_b32 s26, 0
	s_branch .LBB54_17
.LBB54_35:                              ;   in Loop: Header=BB54_9 Depth=1
	v_div_scale_f64 v[16:17], null, v[14:15], v[14:15], 1.0
	v_div_scale_f64 v[24:25], vcc_lo, 1.0, v[14:15], 1.0
	s_mov_b32 s26, 2
	v_rcp_f64_e32 v[18:19], v[16:17]
	v_nop
	s_delay_alu instid0(TRANS32_DEP_1) | instskip(NEXT) | instid1(VALU_DEP_1)
	v_fma_f64 v[22:23], -v[16:17], v[18:19], 1.0
	v_fmac_f64_e32 v[18:19], v[18:19], v[22:23]
	s_delay_alu instid0(VALU_DEP_1) | instskip(NEXT) | instid1(VALU_DEP_1)
	v_fma_f64 v[22:23], -v[16:17], v[18:19], 1.0
	v_fmac_f64_e32 v[18:19], v[18:19], v[22:23]
	s_delay_alu instid0(VALU_DEP_1) | instskip(NEXT) | instid1(VALU_DEP_1)
	v_mul_f64_e32 v[22:23], v[24:25], v[18:19]
	v_fma_f64 v[16:17], -v[16:17], v[22:23], v[24:25]
	s_delay_alu instid0(VALU_DEP_1) | instskip(SKIP_1) | instid1(VALU_DEP_2)
	v_div_fmas_f64 v[16:17], v[16:17], v[18:19], v[22:23]
	v_mov_b64_e32 v[18:19], v[4:5]
	v_div_fixup_f64 v[14:15], v[16:17], v[14:15], 1.0
	s_delay_alu instid0(VALU_DEP_1)
	v_dual_cndmask_b32 v17, v13, v15, s1 :: v_dual_cndmask_b32 v16, v12, v14, s1
	s_mov_b32 s13, -1
	s_cmp_gt_i32 s26, 3
	s_mov_b32 s24, -1
	s_cbranch_scc1 .LBB54_18
.LBB54_36:                              ;   in Loop: Header=BB54_9 Depth=1
	s_cmp_eq_u32 s26, 0
	s_cselect_b32 s24, -1, 0
	s_delay_alu instid0(SALU_CYCLE_1)
	s_and_not1_b32 vcc_lo, exec_lo, s24
	s_cbranch_vccnz .LBB54_19
.LBB54_37:                              ;   in Loop: Header=BB54_9 Depth=1
	s_add_nc_u64 s[22:23], s[22:23], 1
	s_delay_alu instid0(SALU_CYCLE_1)
	v_cmp_ge_i64_e64 s13, s[22:23], s[14:15]
	s_and_not1_b32 vcc_lo, exec_lo, s13
	s_cbranch_vccz .LBB54_44
.LBB54_38:                              ;   in Loop: Header=BB54_9 Depth=1
	s_delay_alu instid0(VALU_DEP_1) | instskip(SKIP_2) | instid1(SALU_CYCLE_1)
	v_mov_b64_e32 v[4:5], v[18:19]
	v_mov_b64_e32 v[12:13], v[16:17]
	s_sub_co_i32 s13, s22, s12
	s_and_b32 s13, s13, 63
	s_delay_alu instid0(SALU_CYCLE_1)
	s_cmp_lg_u32 s13, 0
	s_cbranch_scc1 .LBB54_9
	s_branch .LBB54_6
.LBB54_39:                              ;   in Loop: Header=BB54_9 Depth=1
	s_ashr_i32 s27, s26, 31
	s_mov_b32 s25, 0
	s_lshl_b64 s[26:27], s[26:27], 2
	s_delay_alu instid0(SALU_CYCLE_1)
	s_add_nc_u64 s[26:27], s[18:19], s[26:27]
	s_branch .LBB54_41
.LBB54_40:                              ;   in Loop: Header=BB54_41 Depth=2
	global_load_b32 v7, v1, s[26:27] scope:SCOPE_DEV
	s_cmp_lt_u32 s25, 0xf43
	s_cselect_b32 s29, -1, 0
	s_delay_alu instid0(SALU_CYCLE_1)
	s_cmp_lg_u32 s29, 0
	s_add_co_ci_u32 s25, s25, 0
	s_wait_loadcnt 0x0
	v_cmp_ne_u32_e32 vcc_lo, 0, v7
	s_cbranch_vccnz .LBB54_32
.LBB54_41:                              ;   Parent Loop BB54_9 Depth=1
                                        ; =>  This Loop Header: Depth=2
                                        ;       Child Loop BB54_42 Depth 3
	s_cmp_eq_u32 s25, 0
	s_mov_b32 s29, s25
	s_cbranch_scc1 .LBB54_40
.LBB54_42:                              ;   Parent Loop BB54_9 Depth=1
                                        ;     Parent Loop BB54_41 Depth=2
                                        ; =>    This Inner Loop Header: Depth=3
	s_add_co_i32 s29, s29, -1
	s_sleep 1
	s_cmp_eq_u32 s29, 0
	s_cbranch_scc0 .LBB54_42
	s_branch .LBB54_40
.LBB54_43:
	v_mov_b64_e32 v[18:19], v[4:5]
.LBB54_44:
	s_and_saveexec_b32 s0, s2
	s_cbranch_execz .LBB54_46
; %bb.45:
	s_delay_alu instid0(VALU_DEP_1) | instskip(SKIP_3) | instid1(VALU_DEP_2)
	v_mul_f64_e32 v[4:5], v[16:17], v[18:19]
	s_cmp_eq_u32 s6, 0
	v_lshl_add_u64 v[2:3], s[20:21], 3, v[2:3]
	s_cselect_b32 vcc_lo, -1, 0
	v_dual_cndmask_b32 v5, v19, v5 :: v_dual_cndmask_b32 v4, v18, v4
	global_store_b64 v[2:3], v[4:5], off
.LBB54_46:
	s_wait_xcnt 0x0
	s_or_b32 exec_lo, exec_lo, s0
	global_wb scope:SCOPE_DEV
	s_wait_loadcnt 0x0
	s_wait_storecnt 0x0
	global_inv scope:SCOPE_DEV
	s_wait_loadcnt 0x0
	s_barrier_signal -1
	s_barrier_wait -1
	s_mov_b32 s0, exec_lo
	v_cmpx_eq_u32_e32 0, v0
	s_cbranch_execz .LBB54_48
; %bb.47:
	s_add_co_i32 s0, s16, s7
	s_delay_alu instid0(SALU_CYCLE_1)
	v_dual_mov_b32 v0, 1 :: v_dual_mov_b32 v1, s0
	global_store_b32 v1, v0, s[18:19] scale_offset scope:SCOPE_DEV
.LBB54_48:
	s_endpgm
	.section	.rodata,"a",@progbits
	.p2align	6, 0x0
	.amdhsa_kernel _ZN9rocsparseL5csrsmILj64ELj64ELb1ElidEEv20rocsparse_operation_T3_S2_NS_24const_host_device_scalarIT4_EEPKT2_PKS2_PKS4_PS4_lPiSA_PS2_21rocsparse_index_base_20rocsparse_fill_mode_20rocsparse_diag_type_b
		.amdhsa_group_segment_fixed_size 768
		.amdhsa_private_segment_fixed_size 0
		.amdhsa_kernarg_size 104
		.amdhsa_user_sgpr_count 2
		.amdhsa_user_sgpr_dispatch_ptr 0
		.amdhsa_user_sgpr_queue_ptr 0
		.amdhsa_user_sgpr_kernarg_segment_ptr 1
		.amdhsa_user_sgpr_dispatch_id 0
		.amdhsa_user_sgpr_kernarg_preload_length 0
		.amdhsa_user_sgpr_kernarg_preload_offset 0
		.amdhsa_user_sgpr_private_segment_size 0
		.amdhsa_wavefront_size32 1
		.amdhsa_uses_dynamic_stack 0
		.amdhsa_enable_private_segment 0
		.amdhsa_system_sgpr_workgroup_id_x 1
		.amdhsa_system_sgpr_workgroup_id_y 0
		.amdhsa_system_sgpr_workgroup_id_z 0
		.amdhsa_system_sgpr_workgroup_info 0
		.amdhsa_system_vgpr_workitem_id 0
		.amdhsa_next_free_vgpr 26
		.amdhsa_next_free_sgpr 30
		.amdhsa_named_barrier_count 0
		.amdhsa_reserve_vcc 1
		.amdhsa_float_round_mode_32 0
		.amdhsa_float_round_mode_16_64 0
		.amdhsa_float_denorm_mode_32 3
		.amdhsa_float_denorm_mode_16_64 3
		.amdhsa_fp16_overflow 0
		.amdhsa_memory_ordered 1
		.amdhsa_forward_progress 1
		.amdhsa_inst_pref_size 14
		.amdhsa_round_robin_scheduling 0
		.amdhsa_exception_fp_ieee_invalid_op 0
		.amdhsa_exception_fp_denorm_src 0
		.amdhsa_exception_fp_ieee_div_zero 0
		.amdhsa_exception_fp_ieee_overflow 0
		.amdhsa_exception_fp_ieee_underflow 0
		.amdhsa_exception_fp_ieee_inexact 0
		.amdhsa_exception_int_div_zero 0
	.end_amdhsa_kernel
	.section	.text._ZN9rocsparseL5csrsmILj64ELj64ELb1ElidEEv20rocsparse_operation_T3_S2_NS_24const_host_device_scalarIT4_EEPKT2_PKS2_PKS4_PS4_lPiSA_PS2_21rocsparse_index_base_20rocsparse_fill_mode_20rocsparse_diag_type_b,"axG",@progbits,_ZN9rocsparseL5csrsmILj64ELj64ELb1ElidEEv20rocsparse_operation_T3_S2_NS_24const_host_device_scalarIT4_EEPKT2_PKS2_PKS4_PS4_lPiSA_PS2_21rocsparse_index_base_20rocsparse_fill_mode_20rocsparse_diag_type_b,comdat
.Lfunc_end54:
	.size	_ZN9rocsparseL5csrsmILj64ELj64ELb1ElidEEv20rocsparse_operation_T3_S2_NS_24const_host_device_scalarIT4_EEPKT2_PKS2_PKS4_PS4_lPiSA_PS2_21rocsparse_index_base_20rocsparse_fill_mode_20rocsparse_diag_type_b, .Lfunc_end54-_ZN9rocsparseL5csrsmILj64ELj64ELb1ElidEEv20rocsparse_operation_T3_S2_NS_24const_host_device_scalarIT4_EEPKT2_PKS2_PKS4_PS4_lPiSA_PS2_21rocsparse_index_base_20rocsparse_fill_mode_20rocsparse_diag_type_b
                                        ; -- End function
	.set _ZN9rocsparseL5csrsmILj64ELj64ELb1ElidEEv20rocsparse_operation_T3_S2_NS_24const_host_device_scalarIT4_EEPKT2_PKS2_PKS4_PS4_lPiSA_PS2_21rocsparse_index_base_20rocsparse_fill_mode_20rocsparse_diag_type_b.num_vgpr, 26
	.set _ZN9rocsparseL5csrsmILj64ELj64ELb1ElidEEv20rocsparse_operation_T3_S2_NS_24const_host_device_scalarIT4_EEPKT2_PKS2_PKS4_PS4_lPiSA_PS2_21rocsparse_index_base_20rocsparse_fill_mode_20rocsparse_diag_type_b.num_agpr, 0
	.set _ZN9rocsparseL5csrsmILj64ELj64ELb1ElidEEv20rocsparse_operation_T3_S2_NS_24const_host_device_scalarIT4_EEPKT2_PKS2_PKS4_PS4_lPiSA_PS2_21rocsparse_index_base_20rocsparse_fill_mode_20rocsparse_diag_type_b.numbered_sgpr, 30
	.set _ZN9rocsparseL5csrsmILj64ELj64ELb1ElidEEv20rocsparse_operation_T3_S2_NS_24const_host_device_scalarIT4_EEPKT2_PKS2_PKS4_PS4_lPiSA_PS2_21rocsparse_index_base_20rocsparse_fill_mode_20rocsparse_diag_type_b.num_named_barrier, 0
	.set _ZN9rocsparseL5csrsmILj64ELj64ELb1ElidEEv20rocsparse_operation_T3_S2_NS_24const_host_device_scalarIT4_EEPKT2_PKS2_PKS4_PS4_lPiSA_PS2_21rocsparse_index_base_20rocsparse_fill_mode_20rocsparse_diag_type_b.private_seg_size, 0
	.set _ZN9rocsparseL5csrsmILj64ELj64ELb1ElidEEv20rocsparse_operation_T3_S2_NS_24const_host_device_scalarIT4_EEPKT2_PKS2_PKS4_PS4_lPiSA_PS2_21rocsparse_index_base_20rocsparse_fill_mode_20rocsparse_diag_type_b.uses_vcc, 1
	.set _ZN9rocsparseL5csrsmILj64ELj64ELb1ElidEEv20rocsparse_operation_T3_S2_NS_24const_host_device_scalarIT4_EEPKT2_PKS2_PKS4_PS4_lPiSA_PS2_21rocsparse_index_base_20rocsparse_fill_mode_20rocsparse_diag_type_b.uses_flat_scratch, 0
	.set _ZN9rocsparseL5csrsmILj64ELj64ELb1ElidEEv20rocsparse_operation_T3_S2_NS_24const_host_device_scalarIT4_EEPKT2_PKS2_PKS4_PS4_lPiSA_PS2_21rocsparse_index_base_20rocsparse_fill_mode_20rocsparse_diag_type_b.has_dyn_sized_stack, 0
	.set _ZN9rocsparseL5csrsmILj64ELj64ELb1ElidEEv20rocsparse_operation_T3_S2_NS_24const_host_device_scalarIT4_EEPKT2_PKS2_PKS4_PS4_lPiSA_PS2_21rocsparse_index_base_20rocsparse_fill_mode_20rocsparse_diag_type_b.has_recursion, 0
	.set _ZN9rocsparseL5csrsmILj64ELj64ELb1ElidEEv20rocsparse_operation_T3_S2_NS_24const_host_device_scalarIT4_EEPKT2_PKS2_PKS4_PS4_lPiSA_PS2_21rocsparse_index_base_20rocsparse_fill_mode_20rocsparse_diag_type_b.has_indirect_call, 0
	.section	.AMDGPU.csdata,"",@progbits
; Kernel info:
; codeLenInByte = 1768
; TotalNumSgprs: 32
; NumVgprs: 26
; ScratchSize: 0
; MemoryBound: 0
; FloatMode: 240
; IeeeMode: 1
; LDSByteSize: 768 bytes/workgroup (compile time only)
; SGPRBlocks: 0
; VGPRBlocks: 1
; NumSGPRsForWavesPerEU: 32
; NumVGPRsForWavesPerEU: 26
; NamedBarCnt: 0
; Occupancy: 16
; WaveLimiterHint : 1
; COMPUTE_PGM_RSRC2:SCRATCH_EN: 0
; COMPUTE_PGM_RSRC2:USER_SGPR: 2
; COMPUTE_PGM_RSRC2:TRAP_HANDLER: 0
; COMPUTE_PGM_RSRC2:TGID_X_EN: 1
; COMPUTE_PGM_RSRC2:TGID_Y_EN: 0
; COMPUTE_PGM_RSRC2:TGID_Z_EN: 0
; COMPUTE_PGM_RSRC2:TIDIG_COMP_CNT: 0
	.section	.text._ZN9rocsparseL5csrsmILj64ELj64ELb0ElidEEv20rocsparse_operation_T3_S2_NS_24const_host_device_scalarIT4_EEPKT2_PKS2_PKS4_PS4_lPiSA_PS2_21rocsparse_index_base_20rocsparse_fill_mode_20rocsparse_diag_type_b,"axG",@progbits,_ZN9rocsparseL5csrsmILj64ELj64ELb0ElidEEv20rocsparse_operation_T3_S2_NS_24const_host_device_scalarIT4_EEPKT2_PKS2_PKS4_PS4_lPiSA_PS2_21rocsparse_index_base_20rocsparse_fill_mode_20rocsparse_diag_type_b,comdat
	.globl	_ZN9rocsparseL5csrsmILj64ELj64ELb0ElidEEv20rocsparse_operation_T3_S2_NS_24const_host_device_scalarIT4_EEPKT2_PKS2_PKS4_PS4_lPiSA_PS2_21rocsparse_index_base_20rocsparse_fill_mode_20rocsparse_diag_type_b ; -- Begin function _ZN9rocsparseL5csrsmILj64ELj64ELb0ElidEEv20rocsparse_operation_T3_S2_NS_24const_host_device_scalarIT4_EEPKT2_PKS2_PKS4_PS4_lPiSA_PS2_21rocsparse_index_base_20rocsparse_fill_mode_20rocsparse_diag_type_b
	.p2align	8
	.type	_ZN9rocsparseL5csrsmILj64ELj64ELb0ElidEEv20rocsparse_operation_T3_S2_NS_24const_host_device_scalarIT4_EEPKT2_PKS2_PKS4_PS4_lPiSA_PS2_21rocsparse_index_base_20rocsparse_fill_mode_20rocsparse_diag_type_b,@function
_ZN9rocsparseL5csrsmILj64ELj64ELb0ElidEEv20rocsparse_operation_T3_S2_NS_24const_host_device_scalarIT4_EEPKT2_PKS2_PKS4_PS4_lPiSA_PS2_21rocsparse_index_base_20rocsparse_fill_mode_20rocsparse_diag_type_b: ; @_ZN9rocsparseL5csrsmILj64ELj64ELb0ElidEEv20rocsparse_operation_T3_S2_NS_24const_host_device_scalarIT4_EEPKT2_PKS2_PKS4_PS4_lPiSA_PS2_21rocsparse_index_base_20rocsparse_fill_mode_20rocsparse_diag_type_b
; %bb.0:
	s_clause 0x2
	s_load_b128 s[4:7], s[0:1], 0x58
	s_load_b128 s[12:15], s[0:1], 0x10
	s_load_b64 s[2:3], s[0:1], 0x48
	s_wait_kmcnt 0x0
	s_bitcmp1_b32 s7, 0
	v_mov_b64_e32 v[2:3], s[12:13]
	s_cselect_b32 s7, -1, 0
	s_delay_alu instid0(SALU_CYCLE_1)
	s_and_b32 vcc_lo, exec_lo, s7
	s_cbranch_vccnz .LBB55_2
; %bb.1:
	v_mov_b32_e32 v1, 0
	flat_load_b64 v[2:3], v1, s[12:13]
.LBB55_2:
	s_load_b64 s[20:21], s[0:1], 0x4
	s_bfe_u32 s9, ttmp6, 0x4000c
	s_and_b32 s8, ttmp6, 15
	s_add_co_i32 s9, s9, 1
	s_getreg_b32 s11, hwreg(HW_REG_IB_STS2, 6, 4)
	s_mul_i32 s9, ttmp9, s9
	v_mov_b64_e32 v[4:5], 0
	s_add_co_i32 s8, s8, s9
	s_wait_kmcnt 0x0
	s_cvt_f32_u32 s7, s20
	s_sub_co_i32 s10, 0, s20
	s_delay_alu instid0(SALU_CYCLE_2) | instskip(SKIP_1) | instid1(TRANS32_DEP_1)
	v_rcp_iflag_f32_e32 v1, s7
	v_nop
	v_readfirstlane_b32 s7, v1
	s_mul_f32 s7, s7, 0x4f7ffffe
	s_delay_alu instid0(SALU_CYCLE_3) | instskip(NEXT) | instid1(SALU_CYCLE_3)
	s_cvt_u32_f32 s7, s7
	s_mul_i32 s10, s10, s7
	s_delay_alu instid0(SALU_CYCLE_1) | instskip(NEXT) | instid1(SALU_CYCLE_1)
	s_mul_hi_u32 s10, s7, s10
	s_add_co_i32 s7, s7, s10
	s_cmp_eq_u32 s11, 0
	s_cselect_b32 s8, ttmp9, s8
	s_delay_alu instid0(SALU_CYCLE_1) | instskip(NEXT) | instid1(SALU_CYCLE_1)
	s_mul_hi_u32 s7, s8, s7
	s_mul_i32 s9, s7, s20
	s_add_co_i32 s10, s7, 1
	s_sub_co_i32 s9, s8, s9
	s_delay_alu instid0(SALU_CYCLE_1)
	s_sub_co_i32 s11, s9, s20
	s_cmp_ge_u32 s9, s20
	s_cselect_b32 s7, s10, s7
	s_cselect_b32 s9, s11, s9
	s_add_co_i32 s10, s7, 1
	s_cmp_ge_u32 s9, s20
	s_cselect_b32 s22, s10, s7
	s_delay_alu instid0(SALU_CYCLE_1) | instskip(SKIP_2) | instid1(SALU_CYCLE_1)
	s_mul_i32 s7, s22, s20
	v_lshl_or_b32 v6, s22, 6, v0
	s_sub_co_i32 s8, s8, s7
	s_ashr_i32 s9, s8, 31
	s_delay_alu instid0(VALU_DEP_1) | instskip(SKIP_1) | instid1(SALU_CYCLE_1)
	v_ashrrev_i32_e32 v7, 31, v6
	s_lshl_b64 s[8:9], s[8:9], 2
	s_add_nc_u64 s[2:3], s[2:3], s[8:9]
	s_load_b128 s[8:11], s[0:1], 0x30
	s_load_b32 s16, s[2:3], 0x0
	s_wait_kmcnt 0x0
	s_ashr_i32 s17, s16, 31
	s_delay_alu instid0(SALU_CYCLE_1) | instskip(NEXT) | instid1(SALU_CYCLE_1)
	s_lshl_b64 s[2:3], s[16:17], 3
	s_add_nc_u64 s[2:3], s[14:15], s[2:3]
	s_load_b64 s[18:19], s[0:1], 0x40
	s_load_b128 s[12:15], s[2:3], 0x0
	s_wait_xcnt 0x0
	v_cmp_gt_i32_e64 s2, s21, v6
	s_mul_u64 s[20:21], s[10:11], s[16:17]
	s_and_saveexec_b32 s3, s2
	s_cbranch_execz .LBB55_4
; %bb.3:
	v_add_nc_u64_e32 v[4:5], s[20:21], v[6:7]
	s_delay_alu instid0(VALU_DEP_1)
	v_lshl_add_u64 v[4:5], v[4:5], 3, s[8:9]
	global_load_b64 v[4:5], v[4:5], off
	s_wait_loadcnt_dscnt 0x0
	v_mul_f64_e32 v[4:5], v[2:3], v[4:5]
.LBB55_4:
	s_or_b32 exec_lo, exec_lo, s3
	s_wait_kmcnt 0x0
	v_cmp_ge_i64_e64 s3, s[12:13], s[14:15]
	v_mov_b64_e32 v[16:17], 1.0
	s_wait_loadcnt_dscnt 0x0
	v_lshl_add_u64 v[2:3], v[6:7], 3, s[8:9]
	s_and_b32 vcc_lo, exec_lo, s3
	v_cmp_eq_u32_e64 s3, 0, v0
	s_cbranch_vccnz .LBB55_41
; %bb.5:
	s_clause 0x1
	s_load_b128 s[24:27], s[0:1], 0x20
	s_load_b64 s[8:9], s[0:1], 0x50
	v_dual_mov_b32 v1, 0 :: v_dual_lshlrev_b32 v8, 2, v0
	v_lshlrev_b32_e32 v6, 3, v0
	s_cmp_lg_u32 s6, 0
	v_mov_b64_e32 v[12:13], 1.0
	s_delay_alu instid0(VALU_DEP_3)
	v_dual_mov_b32 v9, v1 :: v_dual_mov_b32 v7, v1
	v_or_b32_e32 v20, 0x200, v8
	s_mov_b32 s23, 0
	s_mov_b32 s22, s4
	s_wait_xcnt 0x0
	v_cmp_ne_u32_e64 s0, 0, v0
	s_cselect_b32 s17, -1, 0
	s_add_co_i32 s28, s16, s4
	s_sub_nc_u64 s[12:13], s[12:13], s[22:23]
	s_cmp_eq_u32 s6, 0
	s_sub_nc_u64 s[14:15], s[14:15], s[22:23]
	s_cselect_b32 s1, -1, 0
	s_mov_b64 s[22:23], s[12:13]
	s_wait_kmcnt 0x0
	v_add_nc_u64_e32 v[8:9], s[24:25], v[8:9]
	v_add_nc_u64_e32 v[10:11], s[26:27], v[6:7]
	s_sub_co_i32 s13, s22, s12
	s_delay_alu instid0(SALU_CYCLE_1) | instskip(NEXT) | instid1(SALU_CYCLE_1)
	s_and_b32 s13, s13, 63
	s_cmp_lg_u32 s13, 0
	s_cbranch_scc1 .LBB55_9
.LBB55_6:
	s_sub_nc_u64 s[24:25], s[14:15], s[22:23]
	v_mov_b64_e32 v[14:15], -1.0
	v_cmp_gt_i64_e32 vcc_lo, s[24:25], v[0:1]
	v_mov_b32_e32 v7, -1
	s_and_saveexec_b32 s24, vcc_lo
	s_cbranch_execz .LBB55_8
; %bb.7:
	v_lshl_add_u64 v[14:15], s[22:23], 2, v[8:9]
	global_load_b32 v7, v[14:15], off
	s_wait_xcnt 0x0
	v_lshl_add_u64 v[14:15], s[22:23], 3, v[10:11]
	global_load_b64 v[14:15], v[14:15], off
	s_wait_loadcnt 0x1
	v_subrev_nc_u32_e32 v7, s4, v7
.LBB55_8:
	s_wait_xcnt 0x0
	s_or_b32 exec_lo, exec_lo, s24
	ds_store_b32 v20, v7
	s_wait_loadcnt 0x0
	ds_store_b64 v6, v[14:15]
.LBB55_9:                               ; =>This Loop Header: Depth=1
                                        ;     Child Loop BB55_33 Depth 2
	s_lshl_b32 s24, s13, 3
	s_wait_dscnt 0x0
	v_mov_b32_e32 v7, s24
	s_barrier_signal -1
	s_barrier_wait -1
	s_lshl_b32 s13, s13, 2
	ds_load_b64 v[14:15], v7
	v_mov_b32_e32 v7, s13
	ds_load_b32 v7, v7 offset:512
	s_wait_dscnt 0x1
	v_cmp_neq_f64_e32 vcc_lo, 0, v[14:15]
	s_wait_dscnt 0x0
	v_readfirstlane_b32 s24, v7
	s_cmp_lg_u32 s24, s16
	s_cselect_b32 s13, -1, 0
	s_delay_alu instid0(SALU_CYCLE_1) | instskip(NEXT) | instid1(SALU_CYCLE_1)
	s_or_b32 s13, s17, s13
	s_or_b32 vcc_lo, vcc_lo, s13
	v_cndmask_b32_e32 v15, 0x3ff00000, v15, vcc_lo
	v_cndmask_b32_e32 v14, 0, v14, vcc_lo
	s_nor_b32 s25, s0, vcc_lo
	s_delay_alu instid0(SALU_CYCLE_1)
	s_and_saveexec_b32 s13, s25
	s_cbranch_execz .LBB55_13
; %bb.10:                               ;   in Loop: Header=BB55_9 Depth=1
	v_mbcnt_lo_u32_b32 v7, exec_lo, 0
	s_mov_b32 s25, exec_lo
	s_delay_alu instid0(VALU_DEP_1)
	v_cmpx_eq_u32_e32 0, v7
	s_cbranch_execz .LBB55_12
; %bb.11:                               ;   in Loop: Header=BB55_9 Depth=1
	v_mov_b32_e32 v7, s28
	global_atomic_min_i32 v1, v7, s[8:9] scope:SCOPE_DEV
.LBB55_12:                              ;   in Loop: Header=BB55_9 Depth=1
	s_wait_xcnt 0x0
	s_or_b32 exec_lo, exec_lo, s25
	v_mov_b64_e32 v[14:15], 1.0
.LBB55_13:                              ;   in Loop: Header=BB55_9 Depth=1
	s_or_b32 exec_lo, exec_lo, s13
	s_mov_b32 s26, -1
	s_mov_b32 s13, 0
	s_cmp_lt_i32 s5, 1
	s_mov_b32 s25, 0
                                        ; implicit-def: $vgpr16_vgpr17
	s_cbranch_scc0 .LBB55_20
; %bb.14:                               ;   in Loop: Header=BB55_9 Depth=1
	s_and_b32 vcc_lo, exec_lo, s26
	s_mov_b32 s26, 4
	s_cbranch_vccnz .LBB55_25
.LBB55_15:                              ;   in Loop: Header=BB55_9 Depth=1
	v_mov_b64_e32 v[18:19], v[4:5]
	s_and_b32 vcc_lo, exec_lo, s25
	s_cbranch_vccnz .LBB55_30
.LBB55_16:                              ;   in Loop: Header=BB55_9 Depth=1
	s_and_b32 vcc_lo, exec_lo, s13
	s_cbranch_vccnz .LBB55_37
.LBB55_17:                              ;   in Loop: Header=BB55_9 Depth=1
	s_mov_b32 s13, -1
	s_cmp_gt_i32 s26, 3
	s_mov_b32 s24, -1
	s_cbranch_scc0 .LBB55_38
.LBB55_18:                              ;   in Loop: Header=BB55_9 Depth=1
	s_and_not1_b32 vcc_lo, exec_lo, s24
	s_cbranch_vccz .LBB55_39
.LBB55_19:                              ;   in Loop: Header=BB55_9 Depth=1
	s_and_not1_b32 vcc_lo, exec_lo, s13
	s_cbranch_vccnz .LBB55_40
	s_branch .LBB55_42
.LBB55_20:                              ;   in Loop: Header=BB55_9 Depth=1
	s_cmp_eq_u32 s5, 1
	s_mov_b32 s25, -1
                                        ; implicit-def: $vgpr16_vgpr17
	s_cbranch_scc0 .LBB55_24
; %bb.21:                               ;   in Loop: Header=BB55_9 Depth=1
	v_mov_b64_e32 v[16:17], v[12:13]
	s_cmp_ge_i32 s24, s16
	s_mov_b32 s25, 0
	s_cbranch_scc0 .LBB55_24
; %bb.22:                               ;   in Loop: Header=BB55_9 Depth=1
	s_cmp_eq_u32 s24, s16
	s_mov_b32 s25, -1
                                        ; implicit-def: $vgpr16_vgpr17
	s_cbranch_scc0 .LBB55_24
; %bb.23:                               ;   in Loop: Header=BB55_9 Depth=1
	v_div_scale_f64 v[16:17], null, v[14:15], v[14:15], 1.0
	v_div_scale_f64 v[24:25], vcc_lo, 1.0, v[14:15], 1.0
	s_mov_b32 s25, 0
	v_rcp_f64_e32 v[18:19], v[16:17]
	v_nop
	s_delay_alu instid0(TRANS32_DEP_1) | instskip(NEXT) | instid1(VALU_DEP_1)
	v_fma_f64 v[22:23], -v[16:17], v[18:19], 1.0
	v_fmac_f64_e32 v[18:19], v[18:19], v[22:23]
	s_delay_alu instid0(VALU_DEP_1) | instskip(NEXT) | instid1(VALU_DEP_1)
	v_fma_f64 v[22:23], -v[16:17], v[18:19], 1.0
	v_fmac_f64_e32 v[18:19], v[18:19], v[22:23]
	s_delay_alu instid0(VALU_DEP_1) | instskip(NEXT) | instid1(VALU_DEP_1)
	v_mul_f64_e32 v[22:23], v[24:25], v[18:19]
	v_fma_f64 v[16:17], -v[16:17], v[22:23], v[24:25]
	s_delay_alu instid0(VALU_DEP_1) | instskip(NEXT) | instid1(VALU_DEP_1)
	v_div_fmas_f64 v[16:17], v[16:17], v[18:19], v[22:23]
	v_div_fixup_f64 v[16:17], v[16:17], v[14:15], 1.0
	s_delay_alu instid0(VALU_DEP_1)
	v_dual_cndmask_b32 v17, v13, v17, s1 :: v_dual_cndmask_b32 v16, v12, v16, s1
.LBB55_24:                              ;   in Loop: Header=BB55_9 Depth=1
	s_mov_b32 s26, 4
	s_branch .LBB55_15
.LBB55_25:                              ;   in Loop: Header=BB55_9 Depth=1
	s_cmp_eq_u32 s5, 0
	s_cbranch_scc1 .LBB55_27
; %bb.26:                               ;   in Loop: Header=BB55_9 Depth=1
	s_mov_b32 s25, -1
	s_branch .LBB55_29
.LBB55_27:                              ;   in Loop: Header=BB55_9 Depth=1
	s_cmp_le_i32 s24, s16
	s_mov_b32 s25, 0
	s_cbranch_scc0 .LBB55_29
; %bb.28:                               ;   in Loop: Header=BB55_9 Depth=1
	s_cmp_lg_u32 s24, s16
	s_mov_b32 s13, -1
	s_cselect_b32 s25, -1, 0
.LBB55_29:                              ;   in Loop: Header=BB55_9 Depth=1
	v_mov_b64_e32 v[16:17], v[12:13]
	s_mov_b32 s26, 2
	v_mov_b64_e32 v[18:19], v[4:5]
	s_and_b32 vcc_lo, exec_lo, s25
	s_cbranch_vccz .LBB55_16
.LBB55_30:                              ;   in Loop: Header=BB55_9 Depth=1
	s_and_saveexec_b32 s13, s3
	s_cbranch_execz .LBB55_34
; %bb.31:                               ;   in Loop: Header=BB55_9 Depth=1
	s_add_co_i32 s26, s24, s7
	s_delay_alu instid0(SALU_CYCLE_1)
	v_mov_b32_e32 v7, s26
	global_load_b32 v7, v7, s[18:19] scale_offset scope:SCOPE_DEV
	s_wait_loadcnt 0x0
	v_cmp_ne_u32_e32 vcc_lo, 0, v7
	s_cbranch_vccnz .LBB55_34
; %bb.32:                               ;   in Loop: Header=BB55_9 Depth=1
	s_ashr_i32 s27, s26, 31
	s_delay_alu instid0(SALU_CYCLE_1) | instskip(NEXT) | instid1(SALU_CYCLE_1)
	s_lshl_b64 s[26:27], s[26:27], 2
	s_add_nc_u64 s[26:27], s[18:19], s[26:27]
.LBB55_33:                              ;   Parent Loop BB55_9 Depth=1
                                        ; =>  This Inner Loop Header: Depth=2
	global_load_b32 v7, v1, s[26:27] scope:SCOPE_DEV
	s_wait_loadcnt 0x0
	v_cmp_eq_u32_e32 vcc_lo, 0, v7
	s_cbranch_vccnz .LBB55_33
.LBB55_34:                              ;   in Loop: Header=BB55_9 Depth=1
	s_wait_xcnt 0x0
	s_or_b32 exec_lo, exec_lo, s13
	v_mov_b64_e32 v[18:19], 0
	s_wait_storecnt 0x0
	s_barrier_signal -1
	s_barrier_wait -1
	global_inv scope:SCOPE_DEV
	s_and_saveexec_b32 s13, s2
	s_cbranch_execz .LBB55_36
; %bb.35:                               ;   in Loop: Header=BB55_9 Depth=1
	s_ashr_i32 s25, s24, 31
	s_delay_alu instid0(SALU_CYCLE_1) | instskip(NEXT) | instid1(SALU_CYCLE_1)
	s_mul_u64 s[24:25], s[10:11], s[24:25]
	v_lshl_add_u64 v[16:17], s[24:25], 3, v[2:3]
	global_load_b64 v[16:17], v[16:17], off
	s_wait_loadcnt 0x0
	v_fma_f64 v[18:19], -v[14:15], v[16:17], v[4:5]
.LBB55_36:                              ;   in Loop: Header=BB55_9 Depth=1
	s_or_b32 exec_lo, exec_lo, s13
	v_mov_b64_e32 v[16:17], v[12:13]
	s_mov_b32 s26, 0
	s_branch .LBB55_17
.LBB55_37:                              ;   in Loop: Header=BB55_9 Depth=1
	v_div_scale_f64 v[16:17], null, v[14:15], v[14:15], 1.0
	v_div_scale_f64 v[24:25], vcc_lo, 1.0, v[14:15], 1.0
	s_mov_b32 s26, 2
	v_rcp_f64_e32 v[18:19], v[16:17]
	v_nop
	s_delay_alu instid0(TRANS32_DEP_1) | instskip(NEXT) | instid1(VALU_DEP_1)
	v_fma_f64 v[22:23], -v[16:17], v[18:19], 1.0
	v_fmac_f64_e32 v[18:19], v[18:19], v[22:23]
	s_delay_alu instid0(VALU_DEP_1) | instskip(NEXT) | instid1(VALU_DEP_1)
	v_fma_f64 v[22:23], -v[16:17], v[18:19], 1.0
	v_fmac_f64_e32 v[18:19], v[18:19], v[22:23]
	s_delay_alu instid0(VALU_DEP_1) | instskip(NEXT) | instid1(VALU_DEP_1)
	v_mul_f64_e32 v[22:23], v[24:25], v[18:19]
	v_fma_f64 v[16:17], -v[16:17], v[22:23], v[24:25]
	s_delay_alu instid0(VALU_DEP_1) | instskip(SKIP_1) | instid1(VALU_DEP_2)
	v_div_fmas_f64 v[16:17], v[16:17], v[18:19], v[22:23]
	v_mov_b64_e32 v[18:19], v[4:5]
	v_div_fixup_f64 v[14:15], v[16:17], v[14:15], 1.0
	s_delay_alu instid0(VALU_DEP_1)
	v_dual_cndmask_b32 v17, v13, v15, s1 :: v_dual_cndmask_b32 v16, v12, v14, s1
	s_mov_b32 s13, -1
	s_cmp_gt_i32 s26, 3
	s_mov_b32 s24, -1
	s_cbranch_scc1 .LBB55_18
.LBB55_38:                              ;   in Loop: Header=BB55_9 Depth=1
	s_cmp_eq_u32 s26, 0
	s_cselect_b32 s24, -1, 0
	s_delay_alu instid0(SALU_CYCLE_1)
	s_and_not1_b32 vcc_lo, exec_lo, s24
	s_cbranch_vccnz .LBB55_19
.LBB55_39:                              ;   in Loop: Header=BB55_9 Depth=1
	s_add_nc_u64 s[22:23], s[22:23], 1
	s_delay_alu instid0(SALU_CYCLE_1)
	v_cmp_ge_i64_e64 s13, s[22:23], s[14:15]
	s_and_not1_b32 vcc_lo, exec_lo, s13
	s_cbranch_vccz .LBB55_42
.LBB55_40:                              ;   in Loop: Header=BB55_9 Depth=1
	s_delay_alu instid0(VALU_DEP_1) | instskip(SKIP_2) | instid1(SALU_CYCLE_1)
	v_mov_b64_e32 v[4:5], v[18:19]
	v_mov_b64_e32 v[12:13], v[16:17]
	s_sub_co_i32 s13, s22, s12
	s_and_b32 s13, s13, 63
	s_delay_alu instid0(SALU_CYCLE_1)
	s_cmp_lg_u32 s13, 0
	s_cbranch_scc1 .LBB55_9
	s_branch .LBB55_6
.LBB55_41:
	v_mov_b64_e32 v[18:19], v[4:5]
.LBB55_42:
	s_and_saveexec_b32 s0, s2
	s_cbranch_execz .LBB55_44
; %bb.43:
	s_delay_alu instid0(VALU_DEP_1) | instskip(SKIP_3) | instid1(VALU_DEP_2)
	v_mul_f64_e32 v[4:5], v[16:17], v[18:19]
	s_cmp_eq_u32 s6, 0
	v_lshl_add_u64 v[2:3], s[20:21], 3, v[2:3]
	s_cselect_b32 vcc_lo, -1, 0
	v_dual_cndmask_b32 v5, v19, v5 :: v_dual_cndmask_b32 v4, v18, v4
	global_store_b64 v[2:3], v[4:5], off
.LBB55_44:
	s_wait_xcnt 0x0
	s_or_b32 exec_lo, exec_lo, s0
	global_wb scope:SCOPE_DEV
	s_wait_loadcnt 0x0
	s_wait_storecnt 0x0
	global_inv scope:SCOPE_DEV
	s_wait_loadcnt 0x0
	s_barrier_signal -1
	s_barrier_wait -1
	s_mov_b32 s0, exec_lo
	v_cmpx_eq_u32_e32 0, v0
	s_cbranch_execz .LBB55_46
; %bb.45:
	s_add_co_i32 s0, s16, s7
	s_delay_alu instid0(SALU_CYCLE_1)
	v_dual_mov_b32 v0, 1 :: v_dual_mov_b32 v1, s0
	global_store_b32 v1, v0, s[18:19] scale_offset scope:SCOPE_DEV
.LBB55_46:
	s_endpgm
	.section	.rodata,"a",@progbits
	.p2align	6, 0x0
	.amdhsa_kernel _ZN9rocsparseL5csrsmILj64ELj64ELb0ElidEEv20rocsparse_operation_T3_S2_NS_24const_host_device_scalarIT4_EEPKT2_PKS2_PKS4_PS4_lPiSA_PS2_21rocsparse_index_base_20rocsparse_fill_mode_20rocsparse_diag_type_b
		.amdhsa_group_segment_fixed_size 768
		.amdhsa_private_segment_fixed_size 0
		.amdhsa_kernarg_size 104
		.amdhsa_user_sgpr_count 2
		.amdhsa_user_sgpr_dispatch_ptr 0
		.amdhsa_user_sgpr_queue_ptr 0
		.amdhsa_user_sgpr_kernarg_segment_ptr 1
		.amdhsa_user_sgpr_dispatch_id 0
		.amdhsa_user_sgpr_kernarg_preload_length 0
		.amdhsa_user_sgpr_kernarg_preload_offset 0
		.amdhsa_user_sgpr_private_segment_size 0
		.amdhsa_wavefront_size32 1
		.amdhsa_uses_dynamic_stack 0
		.amdhsa_enable_private_segment 0
		.amdhsa_system_sgpr_workgroup_id_x 1
		.amdhsa_system_sgpr_workgroup_id_y 0
		.amdhsa_system_sgpr_workgroup_id_z 0
		.amdhsa_system_sgpr_workgroup_info 0
		.amdhsa_system_vgpr_workitem_id 0
		.amdhsa_next_free_vgpr 26
		.amdhsa_next_free_sgpr 29
		.amdhsa_named_barrier_count 0
		.amdhsa_reserve_vcc 1
		.amdhsa_float_round_mode_32 0
		.amdhsa_float_round_mode_16_64 0
		.amdhsa_float_denorm_mode_32 3
		.amdhsa_float_denorm_mode_16_64 3
		.amdhsa_fp16_overflow 0
		.amdhsa_memory_ordered 1
		.amdhsa_forward_progress 1
		.amdhsa_inst_pref_size 14
		.amdhsa_round_robin_scheduling 0
		.amdhsa_exception_fp_ieee_invalid_op 0
		.amdhsa_exception_fp_denorm_src 0
		.amdhsa_exception_fp_ieee_div_zero 0
		.amdhsa_exception_fp_ieee_overflow 0
		.amdhsa_exception_fp_ieee_underflow 0
		.amdhsa_exception_fp_ieee_inexact 0
		.amdhsa_exception_int_div_zero 0
	.end_amdhsa_kernel
	.section	.text._ZN9rocsparseL5csrsmILj64ELj64ELb0ElidEEv20rocsparse_operation_T3_S2_NS_24const_host_device_scalarIT4_EEPKT2_PKS2_PKS4_PS4_lPiSA_PS2_21rocsparse_index_base_20rocsparse_fill_mode_20rocsparse_diag_type_b,"axG",@progbits,_ZN9rocsparseL5csrsmILj64ELj64ELb0ElidEEv20rocsparse_operation_T3_S2_NS_24const_host_device_scalarIT4_EEPKT2_PKS2_PKS4_PS4_lPiSA_PS2_21rocsparse_index_base_20rocsparse_fill_mode_20rocsparse_diag_type_b,comdat
.Lfunc_end55:
	.size	_ZN9rocsparseL5csrsmILj64ELj64ELb0ElidEEv20rocsparse_operation_T3_S2_NS_24const_host_device_scalarIT4_EEPKT2_PKS2_PKS4_PS4_lPiSA_PS2_21rocsparse_index_base_20rocsparse_fill_mode_20rocsparse_diag_type_b, .Lfunc_end55-_ZN9rocsparseL5csrsmILj64ELj64ELb0ElidEEv20rocsparse_operation_T3_S2_NS_24const_host_device_scalarIT4_EEPKT2_PKS2_PKS4_PS4_lPiSA_PS2_21rocsparse_index_base_20rocsparse_fill_mode_20rocsparse_diag_type_b
                                        ; -- End function
	.set _ZN9rocsparseL5csrsmILj64ELj64ELb0ElidEEv20rocsparse_operation_T3_S2_NS_24const_host_device_scalarIT4_EEPKT2_PKS2_PKS4_PS4_lPiSA_PS2_21rocsparse_index_base_20rocsparse_fill_mode_20rocsparse_diag_type_b.num_vgpr, 26
	.set _ZN9rocsparseL5csrsmILj64ELj64ELb0ElidEEv20rocsparse_operation_T3_S2_NS_24const_host_device_scalarIT4_EEPKT2_PKS2_PKS4_PS4_lPiSA_PS2_21rocsparse_index_base_20rocsparse_fill_mode_20rocsparse_diag_type_b.num_agpr, 0
	.set _ZN9rocsparseL5csrsmILj64ELj64ELb0ElidEEv20rocsparse_operation_T3_S2_NS_24const_host_device_scalarIT4_EEPKT2_PKS2_PKS4_PS4_lPiSA_PS2_21rocsparse_index_base_20rocsparse_fill_mode_20rocsparse_diag_type_b.numbered_sgpr, 29
	.set _ZN9rocsparseL5csrsmILj64ELj64ELb0ElidEEv20rocsparse_operation_T3_S2_NS_24const_host_device_scalarIT4_EEPKT2_PKS2_PKS4_PS4_lPiSA_PS2_21rocsparse_index_base_20rocsparse_fill_mode_20rocsparse_diag_type_b.num_named_barrier, 0
	.set _ZN9rocsparseL5csrsmILj64ELj64ELb0ElidEEv20rocsparse_operation_T3_S2_NS_24const_host_device_scalarIT4_EEPKT2_PKS2_PKS4_PS4_lPiSA_PS2_21rocsparse_index_base_20rocsparse_fill_mode_20rocsparse_diag_type_b.private_seg_size, 0
	.set _ZN9rocsparseL5csrsmILj64ELj64ELb0ElidEEv20rocsparse_operation_T3_S2_NS_24const_host_device_scalarIT4_EEPKT2_PKS2_PKS4_PS4_lPiSA_PS2_21rocsparse_index_base_20rocsparse_fill_mode_20rocsparse_diag_type_b.uses_vcc, 1
	.set _ZN9rocsparseL5csrsmILj64ELj64ELb0ElidEEv20rocsparse_operation_T3_S2_NS_24const_host_device_scalarIT4_EEPKT2_PKS2_PKS4_PS4_lPiSA_PS2_21rocsparse_index_base_20rocsparse_fill_mode_20rocsparse_diag_type_b.uses_flat_scratch, 0
	.set _ZN9rocsparseL5csrsmILj64ELj64ELb0ElidEEv20rocsparse_operation_T3_S2_NS_24const_host_device_scalarIT4_EEPKT2_PKS2_PKS4_PS4_lPiSA_PS2_21rocsparse_index_base_20rocsparse_fill_mode_20rocsparse_diag_type_b.has_dyn_sized_stack, 0
	.set _ZN9rocsparseL5csrsmILj64ELj64ELb0ElidEEv20rocsparse_operation_T3_S2_NS_24const_host_device_scalarIT4_EEPKT2_PKS2_PKS4_PS4_lPiSA_PS2_21rocsparse_index_base_20rocsparse_fill_mode_20rocsparse_diag_type_b.has_recursion, 0
	.set _ZN9rocsparseL5csrsmILj64ELj64ELb0ElidEEv20rocsparse_operation_T3_S2_NS_24const_host_device_scalarIT4_EEPKT2_PKS2_PKS4_PS4_lPiSA_PS2_21rocsparse_index_base_20rocsparse_fill_mode_20rocsparse_diag_type_b.has_indirect_call, 0
	.section	.AMDGPU.csdata,"",@progbits
; Kernel info:
; codeLenInByte = 1704
; TotalNumSgprs: 31
; NumVgprs: 26
; ScratchSize: 0
; MemoryBound: 0
; FloatMode: 240
; IeeeMode: 1
; LDSByteSize: 768 bytes/workgroup (compile time only)
; SGPRBlocks: 0
; VGPRBlocks: 1
; NumSGPRsForWavesPerEU: 31
; NumVGPRsForWavesPerEU: 26
; NamedBarCnt: 0
; Occupancy: 16
; WaveLimiterHint : 1
; COMPUTE_PGM_RSRC2:SCRATCH_EN: 0
; COMPUTE_PGM_RSRC2:USER_SGPR: 2
; COMPUTE_PGM_RSRC2:TRAP_HANDLER: 0
; COMPUTE_PGM_RSRC2:TGID_X_EN: 1
; COMPUTE_PGM_RSRC2:TGID_Y_EN: 0
; COMPUTE_PGM_RSRC2:TGID_Z_EN: 0
; COMPUTE_PGM_RSRC2:TIDIG_COMP_CNT: 0
	.section	.text._ZN9rocsparseL5csrsmILj128ELj64ELb1ElidEEv20rocsparse_operation_T3_S2_NS_24const_host_device_scalarIT4_EEPKT2_PKS2_PKS4_PS4_lPiSA_PS2_21rocsparse_index_base_20rocsparse_fill_mode_20rocsparse_diag_type_b,"axG",@progbits,_ZN9rocsparseL5csrsmILj128ELj64ELb1ElidEEv20rocsparse_operation_T3_S2_NS_24const_host_device_scalarIT4_EEPKT2_PKS2_PKS4_PS4_lPiSA_PS2_21rocsparse_index_base_20rocsparse_fill_mode_20rocsparse_diag_type_b,comdat
	.globl	_ZN9rocsparseL5csrsmILj128ELj64ELb1ElidEEv20rocsparse_operation_T3_S2_NS_24const_host_device_scalarIT4_EEPKT2_PKS2_PKS4_PS4_lPiSA_PS2_21rocsparse_index_base_20rocsparse_fill_mode_20rocsparse_diag_type_b ; -- Begin function _ZN9rocsparseL5csrsmILj128ELj64ELb1ElidEEv20rocsparse_operation_T3_S2_NS_24const_host_device_scalarIT4_EEPKT2_PKS2_PKS4_PS4_lPiSA_PS2_21rocsparse_index_base_20rocsparse_fill_mode_20rocsparse_diag_type_b
	.p2align	8
	.type	_ZN9rocsparseL5csrsmILj128ELj64ELb1ElidEEv20rocsparse_operation_T3_S2_NS_24const_host_device_scalarIT4_EEPKT2_PKS2_PKS4_PS4_lPiSA_PS2_21rocsparse_index_base_20rocsparse_fill_mode_20rocsparse_diag_type_b,@function
_ZN9rocsparseL5csrsmILj128ELj64ELb1ElidEEv20rocsparse_operation_T3_S2_NS_24const_host_device_scalarIT4_EEPKT2_PKS2_PKS4_PS4_lPiSA_PS2_21rocsparse_index_base_20rocsparse_fill_mode_20rocsparse_diag_type_b: ; @_ZN9rocsparseL5csrsmILj128ELj64ELb1ElidEEv20rocsparse_operation_T3_S2_NS_24const_host_device_scalarIT4_EEPKT2_PKS2_PKS4_PS4_lPiSA_PS2_21rocsparse_index_base_20rocsparse_fill_mode_20rocsparse_diag_type_b
; %bb.0:
	s_clause 0x2
	s_load_b128 s[4:7], s[0:1], 0x58
	s_load_b128 s[12:15], s[0:1], 0x10
	s_load_b64 s[2:3], s[0:1], 0x48
	s_wait_kmcnt 0x0
	s_bitcmp1_b32 s7, 0
	v_mov_b64_e32 v[2:3], s[12:13]
	s_cselect_b32 s7, -1, 0
	s_delay_alu instid0(SALU_CYCLE_1)
	s_and_b32 vcc_lo, exec_lo, s7
	s_cbranch_vccnz .LBB56_2
; %bb.1:
	v_mov_b32_e32 v1, 0
	flat_load_b64 v[2:3], v1, s[12:13]
.LBB56_2:
	s_load_b64 s[20:21], s[0:1], 0x4
	s_bfe_u32 s9, ttmp6, 0x4000c
	s_and_b32 s8, ttmp6, 15
	s_add_co_i32 s9, s9, 1
	s_getreg_b32 s11, hwreg(HW_REG_IB_STS2, 6, 4)
	s_mul_i32 s9, ttmp9, s9
	v_mov_b64_e32 v[4:5], 0
	s_add_co_i32 s8, s8, s9
	s_wait_kmcnt 0x0
	s_cvt_f32_u32 s7, s20
	s_sub_co_i32 s10, 0, s20
	s_delay_alu instid0(SALU_CYCLE_2) | instskip(SKIP_1) | instid1(TRANS32_DEP_1)
	v_rcp_iflag_f32_e32 v1, s7
	v_nop
	v_readfirstlane_b32 s7, v1
	s_mul_f32 s7, s7, 0x4f7ffffe
	s_delay_alu instid0(SALU_CYCLE_3) | instskip(NEXT) | instid1(SALU_CYCLE_3)
	s_cvt_u32_f32 s7, s7
	s_mul_i32 s10, s10, s7
	s_delay_alu instid0(SALU_CYCLE_1) | instskip(NEXT) | instid1(SALU_CYCLE_1)
	s_mul_hi_u32 s10, s7, s10
	s_add_co_i32 s7, s7, s10
	s_cmp_eq_u32 s11, 0
	s_cselect_b32 s8, ttmp9, s8
	s_delay_alu instid0(SALU_CYCLE_1) | instskip(NEXT) | instid1(SALU_CYCLE_1)
	s_mul_hi_u32 s7, s8, s7
	s_mul_i32 s9, s7, s20
	s_add_co_i32 s10, s7, 1
	s_sub_co_i32 s9, s8, s9
	s_delay_alu instid0(SALU_CYCLE_1)
	s_sub_co_i32 s11, s9, s20
	s_cmp_ge_u32 s9, s20
	s_cselect_b32 s7, s10, s7
	s_cselect_b32 s9, s11, s9
	s_add_co_i32 s10, s7, 1
	s_cmp_ge_u32 s9, s20
	s_cselect_b32 s22, s10, s7
	s_delay_alu instid0(SALU_CYCLE_1) | instskip(SKIP_2) | instid1(SALU_CYCLE_1)
	s_mul_i32 s7, s22, s20
	v_lshl_or_b32 v6, s22, 7, v0
	s_sub_co_i32 s8, s8, s7
	s_ashr_i32 s9, s8, 31
	s_delay_alu instid0(VALU_DEP_1) | instskip(SKIP_1) | instid1(SALU_CYCLE_1)
	v_ashrrev_i32_e32 v7, 31, v6
	s_lshl_b64 s[8:9], s[8:9], 2
	s_add_nc_u64 s[2:3], s[2:3], s[8:9]
	s_load_b128 s[8:11], s[0:1], 0x30
	s_load_b32 s16, s[2:3], 0x0
	s_wait_kmcnt 0x0
	s_ashr_i32 s17, s16, 31
	s_delay_alu instid0(SALU_CYCLE_1) | instskip(NEXT) | instid1(SALU_CYCLE_1)
	s_lshl_b64 s[2:3], s[16:17], 3
	s_add_nc_u64 s[2:3], s[14:15], s[2:3]
	s_load_b64 s[18:19], s[0:1], 0x40
	s_load_b128 s[12:15], s[2:3], 0x0
	s_wait_xcnt 0x0
	v_cmp_gt_i32_e64 s2, s21, v6
	s_mul_u64 s[20:21], s[10:11], s[16:17]
	s_and_saveexec_b32 s3, s2
	s_cbranch_execz .LBB56_4
; %bb.3:
	v_add_nc_u64_e32 v[4:5], s[20:21], v[6:7]
	s_delay_alu instid0(VALU_DEP_1)
	v_lshl_add_u64 v[4:5], v[4:5], 3, s[8:9]
	global_load_b64 v[4:5], v[4:5], off
	s_wait_loadcnt_dscnt 0x0
	v_mul_f64_e32 v[4:5], v[2:3], v[4:5]
.LBB56_4:
	s_or_b32 exec_lo, exec_lo, s3
	s_wait_kmcnt 0x0
	v_cmp_ge_i64_e64 s3, s[12:13], s[14:15]
	v_mov_b64_e32 v[16:17], 1.0
	s_wait_loadcnt_dscnt 0x0
	v_lshl_add_u64 v[2:3], v[6:7], 3, s[8:9]
	s_and_b32 vcc_lo, exec_lo, s3
	v_cmp_eq_u32_e64 s3, 0, v0
	s_cbranch_vccnz .LBB56_43
; %bb.5:
	s_clause 0x1
	s_load_b128 s[24:27], s[0:1], 0x20
	s_load_b64 s[8:9], s[0:1], 0x50
	v_dual_mov_b32 v1, 0 :: v_dual_lshlrev_b32 v8, 2, v0
	v_lshlrev_b32_e32 v6, 3, v0
	s_cmp_lg_u32 s6, 0
	v_mov_b64_e32 v[12:13], 1.0
	s_delay_alu instid0(VALU_DEP_3)
	v_dual_mov_b32 v9, v1 :: v_dual_mov_b32 v7, v1
	v_or_b32_e32 v20, 0x400, v8
	s_mov_b32 s23, 0
	s_mov_b32 s22, s4
	s_wait_xcnt 0x0
	v_cmp_ne_u32_e64 s0, 0, v0
	s_cselect_b32 s17, -1, 0
	s_add_co_i32 s28, s16, s4
	s_sub_nc_u64 s[12:13], s[12:13], s[22:23]
	s_cmp_eq_u32 s6, 0
	s_sub_nc_u64 s[14:15], s[14:15], s[22:23]
	s_cselect_b32 s1, -1, 0
	s_mov_b64 s[22:23], s[12:13]
	s_wait_kmcnt 0x0
	v_add_nc_u64_e32 v[8:9], s[24:25], v[8:9]
	v_add_nc_u64_e32 v[10:11], s[26:27], v[6:7]
	s_sub_co_i32 s13, s22, s12
	s_delay_alu instid0(SALU_CYCLE_1) | instskip(NEXT) | instid1(SALU_CYCLE_1)
	s_and_b32 s13, s13, 0x7f
	s_cmp_lg_u32 s13, 0
	s_cbranch_scc1 .LBB56_9
.LBB56_6:
	s_sub_nc_u64 s[24:25], s[14:15], s[22:23]
	v_mov_b64_e32 v[14:15], -1.0
	v_cmp_gt_i64_e32 vcc_lo, s[24:25], v[0:1]
	v_mov_b32_e32 v7, -1
	s_and_saveexec_b32 s24, vcc_lo
	s_cbranch_execz .LBB56_8
; %bb.7:
	v_lshl_add_u64 v[14:15], s[22:23], 2, v[8:9]
	global_load_b32 v7, v[14:15], off
	s_wait_xcnt 0x0
	v_lshl_add_u64 v[14:15], s[22:23], 3, v[10:11]
	global_load_b64 v[14:15], v[14:15], off
	s_wait_loadcnt 0x1
	v_subrev_nc_u32_e32 v7, s4, v7
.LBB56_8:
	s_wait_xcnt 0x0
	s_or_b32 exec_lo, exec_lo, s24
	ds_store_b32 v20, v7
	s_wait_loadcnt 0x0
	ds_store_b64 v6, v[14:15]
.LBB56_9:                               ; =>This Loop Header: Depth=1
                                        ;     Child Loop BB56_41 Depth 2
                                        ;       Child Loop BB56_42 Depth 3
	s_lshl_b32 s24, s13, 3
	s_wait_dscnt 0x0
	v_mov_b32_e32 v7, s24
	s_barrier_signal -1
	s_barrier_wait -1
	s_lshl_b32 s13, s13, 2
	ds_load_b64 v[14:15], v7
	v_mov_b32_e32 v7, s13
	ds_load_b32 v7, v7 offset:1024
	s_wait_dscnt 0x1
	v_cmp_neq_f64_e32 vcc_lo, 0, v[14:15]
	s_wait_dscnt 0x0
	v_readfirstlane_b32 s24, v7
	s_cmp_lg_u32 s24, s16
	s_cselect_b32 s13, -1, 0
	s_delay_alu instid0(SALU_CYCLE_1) | instskip(NEXT) | instid1(SALU_CYCLE_1)
	s_or_b32 s13, s17, s13
	s_or_b32 vcc_lo, vcc_lo, s13
	v_cndmask_b32_e32 v15, 0x3ff00000, v15, vcc_lo
	v_cndmask_b32_e32 v14, 0, v14, vcc_lo
	s_nor_b32 s25, s0, vcc_lo
	s_delay_alu instid0(SALU_CYCLE_1)
	s_and_saveexec_b32 s13, s25
	s_cbranch_execz .LBB56_13
; %bb.10:                               ;   in Loop: Header=BB56_9 Depth=1
	v_mbcnt_lo_u32_b32 v7, exec_lo, 0
	s_mov_b32 s25, exec_lo
	s_delay_alu instid0(VALU_DEP_1)
	v_cmpx_eq_u32_e32 0, v7
	s_cbranch_execz .LBB56_12
; %bb.11:                               ;   in Loop: Header=BB56_9 Depth=1
	v_mov_b32_e32 v7, s28
	global_atomic_min_i32 v1, v7, s[8:9] scope:SCOPE_DEV
.LBB56_12:                              ;   in Loop: Header=BB56_9 Depth=1
	s_wait_xcnt 0x0
	s_or_b32 exec_lo, exec_lo, s25
	v_mov_b64_e32 v[14:15], 1.0
.LBB56_13:                              ;   in Loop: Header=BB56_9 Depth=1
	s_or_b32 exec_lo, exec_lo, s13
	s_mov_b32 s26, -1
	s_mov_b32 s13, 0
	s_cmp_lt_i32 s5, 1
	s_mov_b32 s25, 0
                                        ; implicit-def: $vgpr16_vgpr17
	s_cbranch_scc0 .LBB56_20
; %bb.14:                               ;   in Loop: Header=BB56_9 Depth=1
	s_and_b32 vcc_lo, exec_lo, s26
	s_mov_b32 s26, 4
	s_cbranch_vccnz .LBB56_25
.LBB56_15:                              ;   in Loop: Header=BB56_9 Depth=1
	v_mov_b64_e32 v[18:19], v[4:5]
	s_and_b32 vcc_lo, exec_lo, s25
	s_cbranch_vccnz .LBB56_30
.LBB56_16:                              ;   in Loop: Header=BB56_9 Depth=1
	s_and_b32 vcc_lo, exec_lo, s13
	s_cbranch_vccnz .LBB56_35
.LBB56_17:                              ;   in Loop: Header=BB56_9 Depth=1
	s_mov_b32 s13, -1
	s_cmp_gt_i32 s26, 3
	s_mov_b32 s24, -1
	s_cbranch_scc0 .LBB56_36
.LBB56_18:                              ;   in Loop: Header=BB56_9 Depth=1
	s_and_not1_b32 vcc_lo, exec_lo, s24
	s_cbranch_vccz .LBB56_37
.LBB56_19:                              ;   in Loop: Header=BB56_9 Depth=1
	s_and_not1_b32 vcc_lo, exec_lo, s13
	s_cbranch_vccnz .LBB56_38
	s_branch .LBB56_44
.LBB56_20:                              ;   in Loop: Header=BB56_9 Depth=1
	s_cmp_eq_u32 s5, 1
	s_mov_b32 s25, -1
                                        ; implicit-def: $vgpr16_vgpr17
	s_cbranch_scc0 .LBB56_24
; %bb.21:                               ;   in Loop: Header=BB56_9 Depth=1
	v_mov_b64_e32 v[16:17], v[12:13]
	s_cmp_ge_i32 s24, s16
	s_mov_b32 s25, 0
	s_cbranch_scc0 .LBB56_24
; %bb.22:                               ;   in Loop: Header=BB56_9 Depth=1
	s_cmp_eq_u32 s24, s16
	s_mov_b32 s25, -1
                                        ; implicit-def: $vgpr16_vgpr17
	s_cbranch_scc0 .LBB56_24
; %bb.23:                               ;   in Loop: Header=BB56_9 Depth=1
	v_div_scale_f64 v[16:17], null, v[14:15], v[14:15], 1.0
	v_div_scale_f64 v[24:25], vcc_lo, 1.0, v[14:15], 1.0
	s_mov_b32 s25, 0
	v_rcp_f64_e32 v[18:19], v[16:17]
	v_nop
	s_delay_alu instid0(TRANS32_DEP_1) | instskip(NEXT) | instid1(VALU_DEP_1)
	v_fma_f64 v[22:23], -v[16:17], v[18:19], 1.0
	v_fmac_f64_e32 v[18:19], v[18:19], v[22:23]
	s_delay_alu instid0(VALU_DEP_1) | instskip(NEXT) | instid1(VALU_DEP_1)
	v_fma_f64 v[22:23], -v[16:17], v[18:19], 1.0
	v_fmac_f64_e32 v[18:19], v[18:19], v[22:23]
	s_delay_alu instid0(VALU_DEP_1) | instskip(NEXT) | instid1(VALU_DEP_1)
	v_mul_f64_e32 v[22:23], v[24:25], v[18:19]
	v_fma_f64 v[16:17], -v[16:17], v[22:23], v[24:25]
	s_delay_alu instid0(VALU_DEP_1) | instskip(NEXT) | instid1(VALU_DEP_1)
	v_div_fmas_f64 v[16:17], v[16:17], v[18:19], v[22:23]
	v_div_fixup_f64 v[16:17], v[16:17], v[14:15], 1.0
	s_delay_alu instid0(VALU_DEP_1)
	v_dual_cndmask_b32 v17, v13, v17, s1 :: v_dual_cndmask_b32 v16, v12, v16, s1
.LBB56_24:                              ;   in Loop: Header=BB56_9 Depth=1
	s_mov_b32 s26, 4
	s_branch .LBB56_15
.LBB56_25:                              ;   in Loop: Header=BB56_9 Depth=1
	s_cmp_eq_u32 s5, 0
	s_cbranch_scc1 .LBB56_27
; %bb.26:                               ;   in Loop: Header=BB56_9 Depth=1
	s_mov_b32 s25, -1
	s_branch .LBB56_29
.LBB56_27:                              ;   in Loop: Header=BB56_9 Depth=1
	s_cmp_le_i32 s24, s16
	s_mov_b32 s25, 0
	s_cbranch_scc0 .LBB56_29
; %bb.28:                               ;   in Loop: Header=BB56_9 Depth=1
	s_cmp_lg_u32 s24, s16
	s_mov_b32 s13, -1
	s_cselect_b32 s25, -1, 0
.LBB56_29:                              ;   in Loop: Header=BB56_9 Depth=1
	v_mov_b64_e32 v[16:17], v[12:13]
	s_mov_b32 s26, 2
	v_mov_b64_e32 v[18:19], v[4:5]
	s_and_b32 vcc_lo, exec_lo, s25
	s_cbranch_vccz .LBB56_16
.LBB56_30:                              ;   in Loop: Header=BB56_9 Depth=1
	s_and_saveexec_b32 s13, s3
	s_cbranch_execz .LBB56_32
; %bb.31:                               ;   in Loop: Header=BB56_9 Depth=1
	s_add_co_i32 s26, s24, s7
	s_delay_alu instid0(SALU_CYCLE_1)
	v_mov_b32_e32 v7, s26
	global_load_b32 v7, v7, s[18:19] scale_offset scope:SCOPE_DEV
	s_wait_loadcnt 0x0
	v_cmp_ne_u32_e32 vcc_lo, 0, v7
	s_cbranch_vccz .LBB56_39
.LBB56_32:                              ;   in Loop: Header=BB56_9 Depth=1
	s_wait_xcnt 0x0
	s_or_b32 exec_lo, exec_lo, s13
	v_mov_b64_e32 v[18:19], 0
	s_wait_storecnt 0x0
	s_barrier_signal -1
	s_barrier_wait -1
	global_inv scope:SCOPE_DEV
	s_and_saveexec_b32 s13, s2
	s_cbranch_execz .LBB56_34
; %bb.33:                               ;   in Loop: Header=BB56_9 Depth=1
	s_ashr_i32 s25, s24, 31
	s_delay_alu instid0(SALU_CYCLE_1) | instskip(NEXT) | instid1(SALU_CYCLE_1)
	s_mul_u64 s[24:25], s[10:11], s[24:25]
	v_lshl_add_u64 v[16:17], s[24:25], 3, v[2:3]
	global_load_b64 v[16:17], v[16:17], off
	s_wait_loadcnt 0x0
	v_fma_f64 v[18:19], -v[14:15], v[16:17], v[4:5]
.LBB56_34:                              ;   in Loop: Header=BB56_9 Depth=1
	s_or_b32 exec_lo, exec_lo, s13
	v_mov_b64_e32 v[16:17], v[12:13]
	s_mov_b32 s26, 0
	s_branch .LBB56_17
.LBB56_35:                              ;   in Loop: Header=BB56_9 Depth=1
	v_div_scale_f64 v[16:17], null, v[14:15], v[14:15], 1.0
	v_div_scale_f64 v[24:25], vcc_lo, 1.0, v[14:15], 1.0
	s_mov_b32 s26, 2
	v_rcp_f64_e32 v[18:19], v[16:17]
	v_nop
	s_delay_alu instid0(TRANS32_DEP_1) | instskip(NEXT) | instid1(VALU_DEP_1)
	v_fma_f64 v[22:23], -v[16:17], v[18:19], 1.0
	v_fmac_f64_e32 v[18:19], v[18:19], v[22:23]
	s_delay_alu instid0(VALU_DEP_1) | instskip(NEXT) | instid1(VALU_DEP_1)
	v_fma_f64 v[22:23], -v[16:17], v[18:19], 1.0
	v_fmac_f64_e32 v[18:19], v[18:19], v[22:23]
	s_delay_alu instid0(VALU_DEP_1) | instskip(NEXT) | instid1(VALU_DEP_1)
	v_mul_f64_e32 v[22:23], v[24:25], v[18:19]
	v_fma_f64 v[16:17], -v[16:17], v[22:23], v[24:25]
	s_delay_alu instid0(VALU_DEP_1) | instskip(SKIP_1) | instid1(VALU_DEP_2)
	v_div_fmas_f64 v[16:17], v[16:17], v[18:19], v[22:23]
	v_mov_b64_e32 v[18:19], v[4:5]
	v_div_fixup_f64 v[14:15], v[16:17], v[14:15], 1.0
	s_delay_alu instid0(VALU_DEP_1)
	v_dual_cndmask_b32 v17, v13, v15, s1 :: v_dual_cndmask_b32 v16, v12, v14, s1
	s_mov_b32 s13, -1
	s_cmp_gt_i32 s26, 3
	s_mov_b32 s24, -1
	s_cbranch_scc1 .LBB56_18
.LBB56_36:                              ;   in Loop: Header=BB56_9 Depth=1
	s_cmp_eq_u32 s26, 0
	s_cselect_b32 s24, -1, 0
	s_delay_alu instid0(SALU_CYCLE_1)
	s_and_not1_b32 vcc_lo, exec_lo, s24
	s_cbranch_vccnz .LBB56_19
.LBB56_37:                              ;   in Loop: Header=BB56_9 Depth=1
	s_add_nc_u64 s[22:23], s[22:23], 1
	s_delay_alu instid0(SALU_CYCLE_1)
	v_cmp_ge_i64_e64 s13, s[22:23], s[14:15]
	s_and_not1_b32 vcc_lo, exec_lo, s13
	s_cbranch_vccz .LBB56_44
.LBB56_38:                              ;   in Loop: Header=BB56_9 Depth=1
	s_delay_alu instid0(VALU_DEP_1) | instskip(SKIP_2) | instid1(SALU_CYCLE_1)
	v_mov_b64_e32 v[4:5], v[18:19]
	v_mov_b64_e32 v[12:13], v[16:17]
	s_sub_co_i32 s13, s22, s12
	s_and_b32 s13, s13, 0x7f
	s_delay_alu instid0(SALU_CYCLE_1)
	s_cmp_lg_u32 s13, 0
	s_cbranch_scc1 .LBB56_9
	s_branch .LBB56_6
.LBB56_39:                              ;   in Loop: Header=BB56_9 Depth=1
	s_ashr_i32 s27, s26, 31
	s_mov_b32 s25, 0
	s_lshl_b64 s[26:27], s[26:27], 2
	s_delay_alu instid0(SALU_CYCLE_1)
	s_add_nc_u64 s[26:27], s[18:19], s[26:27]
	s_branch .LBB56_41
.LBB56_40:                              ;   in Loop: Header=BB56_41 Depth=2
	global_load_b32 v7, v1, s[26:27] scope:SCOPE_DEV
	s_cmp_lt_u32 s25, 0xf43
	s_cselect_b32 s29, -1, 0
	s_delay_alu instid0(SALU_CYCLE_1)
	s_cmp_lg_u32 s29, 0
	s_add_co_ci_u32 s25, s25, 0
	s_wait_loadcnt 0x0
	v_cmp_ne_u32_e32 vcc_lo, 0, v7
	s_cbranch_vccnz .LBB56_32
.LBB56_41:                              ;   Parent Loop BB56_9 Depth=1
                                        ; =>  This Loop Header: Depth=2
                                        ;       Child Loop BB56_42 Depth 3
	s_cmp_eq_u32 s25, 0
	s_mov_b32 s29, s25
	s_cbranch_scc1 .LBB56_40
.LBB56_42:                              ;   Parent Loop BB56_9 Depth=1
                                        ;     Parent Loop BB56_41 Depth=2
                                        ; =>    This Inner Loop Header: Depth=3
	s_add_co_i32 s29, s29, -1
	s_sleep 1
	s_cmp_eq_u32 s29, 0
	s_cbranch_scc0 .LBB56_42
	s_branch .LBB56_40
.LBB56_43:
	v_mov_b64_e32 v[18:19], v[4:5]
.LBB56_44:
	s_and_saveexec_b32 s0, s2
	s_cbranch_execz .LBB56_46
; %bb.45:
	s_delay_alu instid0(VALU_DEP_1) | instskip(SKIP_3) | instid1(VALU_DEP_2)
	v_mul_f64_e32 v[4:5], v[16:17], v[18:19]
	s_cmp_eq_u32 s6, 0
	v_lshl_add_u64 v[2:3], s[20:21], 3, v[2:3]
	s_cselect_b32 vcc_lo, -1, 0
	v_dual_cndmask_b32 v5, v19, v5 :: v_dual_cndmask_b32 v4, v18, v4
	global_store_b64 v[2:3], v[4:5], off
.LBB56_46:
	s_wait_xcnt 0x0
	s_or_b32 exec_lo, exec_lo, s0
	global_wb scope:SCOPE_DEV
	s_wait_loadcnt 0x0
	s_wait_storecnt 0x0
	global_inv scope:SCOPE_DEV
	s_wait_loadcnt 0x0
	s_barrier_signal -1
	s_barrier_wait -1
	s_mov_b32 s0, exec_lo
	v_cmpx_eq_u32_e32 0, v0
	s_cbranch_execz .LBB56_48
; %bb.47:
	s_add_co_i32 s0, s16, s7
	s_delay_alu instid0(SALU_CYCLE_1)
	v_dual_mov_b32 v0, 1 :: v_dual_mov_b32 v1, s0
	global_store_b32 v1, v0, s[18:19] scale_offset scope:SCOPE_DEV
.LBB56_48:
	s_endpgm
	.section	.rodata,"a",@progbits
	.p2align	6, 0x0
	.amdhsa_kernel _ZN9rocsparseL5csrsmILj128ELj64ELb1ElidEEv20rocsparse_operation_T3_S2_NS_24const_host_device_scalarIT4_EEPKT2_PKS2_PKS4_PS4_lPiSA_PS2_21rocsparse_index_base_20rocsparse_fill_mode_20rocsparse_diag_type_b
		.amdhsa_group_segment_fixed_size 1536
		.amdhsa_private_segment_fixed_size 0
		.amdhsa_kernarg_size 104
		.amdhsa_user_sgpr_count 2
		.amdhsa_user_sgpr_dispatch_ptr 0
		.amdhsa_user_sgpr_queue_ptr 0
		.amdhsa_user_sgpr_kernarg_segment_ptr 1
		.amdhsa_user_sgpr_dispatch_id 0
		.amdhsa_user_sgpr_kernarg_preload_length 0
		.amdhsa_user_sgpr_kernarg_preload_offset 0
		.amdhsa_user_sgpr_private_segment_size 0
		.amdhsa_wavefront_size32 1
		.amdhsa_uses_dynamic_stack 0
		.amdhsa_enable_private_segment 0
		.amdhsa_system_sgpr_workgroup_id_x 1
		.amdhsa_system_sgpr_workgroup_id_y 0
		.amdhsa_system_sgpr_workgroup_id_z 0
		.amdhsa_system_sgpr_workgroup_info 0
		.amdhsa_system_vgpr_workitem_id 0
		.amdhsa_next_free_vgpr 26
		.amdhsa_next_free_sgpr 30
		.amdhsa_named_barrier_count 0
		.amdhsa_reserve_vcc 1
		.amdhsa_float_round_mode_32 0
		.amdhsa_float_round_mode_16_64 0
		.amdhsa_float_denorm_mode_32 3
		.amdhsa_float_denorm_mode_16_64 3
		.amdhsa_fp16_overflow 0
		.amdhsa_memory_ordered 1
		.amdhsa_forward_progress 1
		.amdhsa_inst_pref_size 14
		.amdhsa_round_robin_scheduling 0
		.amdhsa_exception_fp_ieee_invalid_op 0
		.amdhsa_exception_fp_denorm_src 0
		.amdhsa_exception_fp_ieee_div_zero 0
		.amdhsa_exception_fp_ieee_overflow 0
		.amdhsa_exception_fp_ieee_underflow 0
		.amdhsa_exception_fp_ieee_inexact 0
		.amdhsa_exception_int_div_zero 0
	.end_amdhsa_kernel
	.section	.text._ZN9rocsparseL5csrsmILj128ELj64ELb1ElidEEv20rocsparse_operation_T3_S2_NS_24const_host_device_scalarIT4_EEPKT2_PKS2_PKS4_PS4_lPiSA_PS2_21rocsparse_index_base_20rocsparse_fill_mode_20rocsparse_diag_type_b,"axG",@progbits,_ZN9rocsparseL5csrsmILj128ELj64ELb1ElidEEv20rocsparse_operation_T3_S2_NS_24const_host_device_scalarIT4_EEPKT2_PKS2_PKS4_PS4_lPiSA_PS2_21rocsparse_index_base_20rocsparse_fill_mode_20rocsparse_diag_type_b,comdat
.Lfunc_end56:
	.size	_ZN9rocsparseL5csrsmILj128ELj64ELb1ElidEEv20rocsparse_operation_T3_S2_NS_24const_host_device_scalarIT4_EEPKT2_PKS2_PKS4_PS4_lPiSA_PS2_21rocsparse_index_base_20rocsparse_fill_mode_20rocsparse_diag_type_b, .Lfunc_end56-_ZN9rocsparseL5csrsmILj128ELj64ELb1ElidEEv20rocsparse_operation_T3_S2_NS_24const_host_device_scalarIT4_EEPKT2_PKS2_PKS4_PS4_lPiSA_PS2_21rocsparse_index_base_20rocsparse_fill_mode_20rocsparse_diag_type_b
                                        ; -- End function
	.set _ZN9rocsparseL5csrsmILj128ELj64ELb1ElidEEv20rocsparse_operation_T3_S2_NS_24const_host_device_scalarIT4_EEPKT2_PKS2_PKS4_PS4_lPiSA_PS2_21rocsparse_index_base_20rocsparse_fill_mode_20rocsparse_diag_type_b.num_vgpr, 26
	.set _ZN9rocsparseL5csrsmILj128ELj64ELb1ElidEEv20rocsparse_operation_T3_S2_NS_24const_host_device_scalarIT4_EEPKT2_PKS2_PKS4_PS4_lPiSA_PS2_21rocsparse_index_base_20rocsparse_fill_mode_20rocsparse_diag_type_b.num_agpr, 0
	.set _ZN9rocsparseL5csrsmILj128ELj64ELb1ElidEEv20rocsparse_operation_T3_S2_NS_24const_host_device_scalarIT4_EEPKT2_PKS2_PKS4_PS4_lPiSA_PS2_21rocsparse_index_base_20rocsparse_fill_mode_20rocsparse_diag_type_b.numbered_sgpr, 30
	.set _ZN9rocsparseL5csrsmILj128ELj64ELb1ElidEEv20rocsparse_operation_T3_S2_NS_24const_host_device_scalarIT4_EEPKT2_PKS2_PKS4_PS4_lPiSA_PS2_21rocsparse_index_base_20rocsparse_fill_mode_20rocsparse_diag_type_b.num_named_barrier, 0
	.set _ZN9rocsparseL5csrsmILj128ELj64ELb1ElidEEv20rocsparse_operation_T3_S2_NS_24const_host_device_scalarIT4_EEPKT2_PKS2_PKS4_PS4_lPiSA_PS2_21rocsparse_index_base_20rocsparse_fill_mode_20rocsparse_diag_type_b.private_seg_size, 0
	.set _ZN9rocsparseL5csrsmILj128ELj64ELb1ElidEEv20rocsparse_operation_T3_S2_NS_24const_host_device_scalarIT4_EEPKT2_PKS2_PKS4_PS4_lPiSA_PS2_21rocsparse_index_base_20rocsparse_fill_mode_20rocsparse_diag_type_b.uses_vcc, 1
	.set _ZN9rocsparseL5csrsmILj128ELj64ELb1ElidEEv20rocsparse_operation_T3_S2_NS_24const_host_device_scalarIT4_EEPKT2_PKS2_PKS4_PS4_lPiSA_PS2_21rocsparse_index_base_20rocsparse_fill_mode_20rocsparse_diag_type_b.uses_flat_scratch, 0
	.set _ZN9rocsparseL5csrsmILj128ELj64ELb1ElidEEv20rocsparse_operation_T3_S2_NS_24const_host_device_scalarIT4_EEPKT2_PKS2_PKS4_PS4_lPiSA_PS2_21rocsparse_index_base_20rocsparse_fill_mode_20rocsparse_diag_type_b.has_dyn_sized_stack, 0
	.set _ZN9rocsparseL5csrsmILj128ELj64ELb1ElidEEv20rocsparse_operation_T3_S2_NS_24const_host_device_scalarIT4_EEPKT2_PKS2_PKS4_PS4_lPiSA_PS2_21rocsparse_index_base_20rocsparse_fill_mode_20rocsparse_diag_type_b.has_recursion, 0
	.set _ZN9rocsparseL5csrsmILj128ELj64ELb1ElidEEv20rocsparse_operation_T3_S2_NS_24const_host_device_scalarIT4_EEPKT2_PKS2_PKS4_PS4_lPiSA_PS2_21rocsparse_index_base_20rocsparse_fill_mode_20rocsparse_diag_type_b.has_indirect_call, 0
	.section	.AMDGPU.csdata,"",@progbits
; Kernel info:
; codeLenInByte = 1776
; TotalNumSgprs: 32
; NumVgprs: 26
; ScratchSize: 0
; MemoryBound: 0
; FloatMode: 240
; IeeeMode: 1
; LDSByteSize: 1536 bytes/workgroup (compile time only)
; SGPRBlocks: 0
; VGPRBlocks: 1
; NumSGPRsForWavesPerEU: 32
; NumVGPRsForWavesPerEU: 26
; NamedBarCnt: 0
; Occupancy: 16
; WaveLimiterHint : 1
; COMPUTE_PGM_RSRC2:SCRATCH_EN: 0
; COMPUTE_PGM_RSRC2:USER_SGPR: 2
; COMPUTE_PGM_RSRC2:TRAP_HANDLER: 0
; COMPUTE_PGM_RSRC2:TGID_X_EN: 1
; COMPUTE_PGM_RSRC2:TGID_Y_EN: 0
; COMPUTE_PGM_RSRC2:TGID_Z_EN: 0
; COMPUTE_PGM_RSRC2:TIDIG_COMP_CNT: 0
	.section	.text._ZN9rocsparseL5csrsmILj128ELj64ELb0ElidEEv20rocsparse_operation_T3_S2_NS_24const_host_device_scalarIT4_EEPKT2_PKS2_PKS4_PS4_lPiSA_PS2_21rocsparse_index_base_20rocsparse_fill_mode_20rocsparse_diag_type_b,"axG",@progbits,_ZN9rocsparseL5csrsmILj128ELj64ELb0ElidEEv20rocsparse_operation_T3_S2_NS_24const_host_device_scalarIT4_EEPKT2_PKS2_PKS4_PS4_lPiSA_PS2_21rocsparse_index_base_20rocsparse_fill_mode_20rocsparse_diag_type_b,comdat
	.globl	_ZN9rocsparseL5csrsmILj128ELj64ELb0ElidEEv20rocsparse_operation_T3_S2_NS_24const_host_device_scalarIT4_EEPKT2_PKS2_PKS4_PS4_lPiSA_PS2_21rocsparse_index_base_20rocsparse_fill_mode_20rocsparse_diag_type_b ; -- Begin function _ZN9rocsparseL5csrsmILj128ELj64ELb0ElidEEv20rocsparse_operation_T3_S2_NS_24const_host_device_scalarIT4_EEPKT2_PKS2_PKS4_PS4_lPiSA_PS2_21rocsparse_index_base_20rocsparse_fill_mode_20rocsparse_diag_type_b
	.p2align	8
	.type	_ZN9rocsparseL5csrsmILj128ELj64ELb0ElidEEv20rocsparse_operation_T3_S2_NS_24const_host_device_scalarIT4_EEPKT2_PKS2_PKS4_PS4_lPiSA_PS2_21rocsparse_index_base_20rocsparse_fill_mode_20rocsparse_diag_type_b,@function
_ZN9rocsparseL5csrsmILj128ELj64ELb0ElidEEv20rocsparse_operation_T3_S2_NS_24const_host_device_scalarIT4_EEPKT2_PKS2_PKS4_PS4_lPiSA_PS2_21rocsparse_index_base_20rocsparse_fill_mode_20rocsparse_diag_type_b: ; @_ZN9rocsparseL5csrsmILj128ELj64ELb0ElidEEv20rocsparse_operation_T3_S2_NS_24const_host_device_scalarIT4_EEPKT2_PKS2_PKS4_PS4_lPiSA_PS2_21rocsparse_index_base_20rocsparse_fill_mode_20rocsparse_diag_type_b
; %bb.0:
	s_clause 0x2
	s_load_b128 s[4:7], s[0:1], 0x58
	s_load_b128 s[12:15], s[0:1], 0x10
	s_load_b64 s[2:3], s[0:1], 0x48
	s_wait_kmcnt 0x0
	s_bitcmp1_b32 s7, 0
	v_mov_b64_e32 v[2:3], s[12:13]
	s_cselect_b32 s7, -1, 0
	s_delay_alu instid0(SALU_CYCLE_1)
	s_and_b32 vcc_lo, exec_lo, s7
	s_cbranch_vccnz .LBB57_2
; %bb.1:
	v_mov_b32_e32 v1, 0
	flat_load_b64 v[2:3], v1, s[12:13]
.LBB57_2:
	s_load_b64 s[20:21], s[0:1], 0x4
	s_bfe_u32 s9, ttmp6, 0x4000c
	s_and_b32 s8, ttmp6, 15
	s_add_co_i32 s9, s9, 1
	s_getreg_b32 s11, hwreg(HW_REG_IB_STS2, 6, 4)
	s_mul_i32 s9, ttmp9, s9
	v_mov_b64_e32 v[4:5], 0
	s_add_co_i32 s8, s8, s9
	s_wait_kmcnt 0x0
	s_cvt_f32_u32 s7, s20
	s_sub_co_i32 s10, 0, s20
	s_delay_alu instid0(SALU_CYCLE_2) | instskip(SKIP_1) | instid1(TRANS32_DEP_1)
	v_rcp_iflag_f32_e32 v1, s7
	v_nop
	v_readfirstlane_b32 s7, v1
	s_mul_f32 s7, s7, 0x4f7ffffe
	s_delay_alu instid0(SALU_CYCLE_3) | instskip(NEXT) | instid1(SALU_CYCLE_3)
	s_cvt_u32_f32 s7, s7
	s_mul_i32 s10, s10, s7
	s_delay_alu instid0(SALU_CYCLE_1) | instskip(NEXT) | instid1(SALU_CYCLE_1)
	s_mul_hi_u32 s10, s7, s10
	s_add_co_i32 s7, s7, s10
	s_cmp_eq_u32 s11, 0
	s_cselect_b32 s8, ttmp9, s8
	s_delay_alu instid0(SALU_CYCLE_1) | instskip(NEXT) | instid1(SALU_CYCLE_1)
	s_mul_hi_u32 s7, s8, s7
	s_mul_i32 s9, s7, s20
	s_add_co_i32 s10, s7, 1
	s_sub_co_i32 s9, s8, s9
	s_delay_alu instid0(SALU_CYCLE_1)
	s_sub_co_i32 s11, s9, s20
	s_cmp_ge_u32 s9, s20
	s_cselect_b32 s7, s10, s7
	s_cselect_b32 s9, s11, s9
	s_add_co_i32 s10, s7, 1
	s_cmp_ge_u32 s9, s20
	s_cselect_b32 s22, s10, s7
	s_delay_alu instid0(SALU_CYCLE_1) | instskip(SKIP_2) | instid1(SALU_CYCLE_1)
	s_mul_i32 s7, s22, s20
	v_lshl_or_b32 v6, s22, 7, v0
	s_sub_co_i32 s8, s8, s7
	s_ashr_i32 s9, s8, 31
	s_delay_alu instid0(VALU_DEP_1) | instskip(SKIP_1) | instid1(SALU_CYCLE_1)
	v_ashrrev_i32_e32 v7, 31, v6
	s_lshl_b64 s[8:9], s[8:9], 2
	s_add_nc_u64 s[2:3], s[2:3], s[8:9]
	s_load_b128 s[8:11], s[0:1], 0x30
	s_load_b32 s16, s[2:3], 0x0
	s_wait_kmcnt 0x0
	s_ashr_i32 s17, s16, 31
	s_delay_alu instid0(SALU_CYCLE_1) | instskip(NEXT) | instid1(SALU_CYCLE_1)
	s_lshl_b64 s[2:3], s[16:17], 3
	s_add_nc_u64 s[2:3], s[14:15], s[2:3]
	s_load_b64 s[18:19], s[0:1], 0x40
	s_load_b128 s[12:15], s[2:3], 0x0
	s_wait_xcnt 0x0
	v_cmp_gt_i32_e64 s2, s21, v6
	s_mul_u64 s[20:21], s[10:11], s[16:17]
	s_and_saveexec_b32 s3, s2
	s_cbranch_execz .LBB57_4
; %bb.3:
	v_add_nc_u64_e32 v[4:5], s[20:21], v[6:7]
	s_delay_alu instid0(VALU_DEP_1)
	v_lshl_add_u64 v[4:5], v[4:5], 3, s[8:9]
	global_load_b64 v[4:5], v[4:5], off
	s_wait_loadcnt_dscnt 0x0
	v_mul_f64_e32 v[4:5], v[2:3], v[4:5]
.LBB57_4:
	s_or_b32 exec_lo, exec_lo, s3
	s_wait_kmcnt 0x0
	v_cmp_ge_i64_e64 s3, s[12:13], s[14:15]
	v_mov_b64_e32 v[16:17], 1.0
	s_wait_loadcnt_dscnt 0x0
	v_lshl_add_u64 v[2:3], v[6:7], 3, s[8:9]
	s_and_b32 vcc_lo, exec_lo, s3
	v_cmp_eq_u32_e64 s3, 0, v0
	s_cbranch_vccnz .LBB57_41
; %bb.5:
	s_clause 0x1
	s_load_b128 s[24:27], s[0:1], 0x20
	s_load_b64 s[8:9], s[0:1], 0x50
	v_dual_mov_b32 v1, 0 :: v_dual_lshlrev_b32 v8, 2, v0
	v_lshlrev_b32_e32 v6, 3, v0
	s_cmp_lg_u32 s6, 0
	v_mov_b64_e32 v[12:13], 1.0
	s_delay_alu instid0(VALU_DEP_3)
	v_dual_mov_b32 v9, v1 :: v_dual_mov_b32 v7, v1
	v_or_b32_e32 v20, 0x400, v8
	s_mov_b32 s23, 0
	s_mov_b32 s22, s4
	s_wait_xcnt 0x0
	v_cmp_ne_u32_e64 s0, 0, v0
	s_cselect_b32 s17, -1, 0
	s_add_co_i32 s28, s16, s4
	s_sub_nc_u64 s[12:13], s[12:13], s[22:23]
	s_cmp_eq_u32 s6, 0
	s_sub_nc_u64 s[14:15], s[14:15], s[22:23]
	s_cselect_b32 s1, -1, 0
	s_mov_b64 s[22:23], s[12:13]
	s_wait_kmcnt 0x0
	v_add_nc_u64_e32 v[8:9], s[24:25], v[8:9]
	v_add_nc_u64_e32 v[10:11], s[26:27], v[6:7]
	s_sub_co_i32 s13, s22, s12
	s_delay_alu instid0(SALU_CYCLE_1) | instskip(NEXT) | instid1(SALU_CYCLE_1)
	s_and_b32 s13, s13, 0x7f
	s_cmp_lg_u32 s13, 0
	s_cbranch_scc1 .LBB57_9
.LBB57_6:
	s_sub_nc_u64 s[24:25], s[14:15], s[22:23]
	v_mov_b64_e32 v[14:15], -1.0
	v_cmp_gt_i64_e32 vcc_lo, s[24:25], v[0:1]
	v_mov_b32_e32 v7, -1
	s_and_saveexec_b32 s24, vcc_lo
	s_cbranch_execz .LBB57_8
; %bb.7:
	v_lshl_add_u64 v[14:15], s[22:23], 2, v[8:9]
	global_load_b32 v7, v[14:15], off
	s_wait_xcnt 0x0
	v_lshl_add_u64 v[14:15], s[22:23], 3, v[10:11]
	global_load_b64 v[14:15], v[14:15], off
	s_wait_loadcnt 0x1
	v_subrev_nc_u32_e32 v7, s4, v7
.LBB57_8:
	s_wait_xcnt 0x0
	s_or_b32 exec_lo, exec_lo, s24
	ds_store_b32 v20, v7
	s_wait_loadcnt 0x0
	ds_store_b64 v6, v[14:15]
.LBB57_9:                               ; =>This Loop Header: Depth=1
                                        ;     Child Loop BB57_33 Depth 2
	s_lshl_b32 s24, s13, 3
	s_wait_dscnt 0x0
	v_mov_b32_e32 v7, s24
	s_barrier_signal -1
	s_barrier_wait -1
	s_lshl_b32 s13, s13, 2
	ds_load_b64 v[14:15], v7
	v_mov_b32_e32 v7, s13
	ds_load_b32 v7, v7 offset:1024
	s_wait_dscnt 0x1
	v_cmp_neq_f64_e32 vcc_lo, 0, v[14:15]
	s_wait_dscnt 0x0
	v_readfirstlane_b32 s24, v7
	s_cmp_lg_u32 s24, s16
	s_cselect_b32 s13, -1, 0
	s_delay_alu instid0(SALU_CYCLE_1) | instskip(NEXT) | instid1(SALU_CYCLE_1)
	s_or_b32 s13, s17, s13
	s_or_b32 vcc_lo, vcc_lo, s13
	v_cndmask_b32_e32 v15, 0x3ff00000, v15, vcc_lo
	v_cndmask_b32_e32 v14, 0, v14, vcc_lo
	s_nor_b32 s25, s0, vcc_lo
	s_delay_alu instid0(SALU_CYCLE_1)
	s_and_saveexec_b32 s13, s25
	s_cbranch_execz .LBB57_13
; %bb.10:                               ;   in Loop: Header=BB57_9 Depth=1
	v_mbcnt_lo_u32_b32 v7, exec_lo, 0
	s_mov_b32 s25, exec_lo
	s_delay_alu instid0(VALU_DEP_1)
	v_cmpx_eq_u32_e32 0, v7
	s_cbranch_execz .LBB57_12
; %bb.11:                               ;   in Loop: Header=BB57_9 Depth=1
	v_mov_b32_e32 v7, s28
	global_atomic_min_i32 v1, v7, s[8:9] scope:SCOPE_DEV
.LBB57_12:                              ;   in Loop: Header=BB57_9 Depth=1
	s_wait_xcnt 0x0
	s_or_b32 exec_lo, exec_lo, s25
	v_mov_b64_e32 v[14:15], 1.0
.LBB57_13:                              ;   in Loop: Header=BB57_9 Depth=1
	s_or_b32 exec_lo, exec_lo, s13
	s_mov_b32 s26, -1
	s_mov_b32 s13, 0
	s_cmp_lt_i32 s5, 1
	s_mov_b32 s25, 0
                                        ; implicit-def: $vgpr16_vgpr17
	s_cbranch_scc0 .LBB57_20
; %bb.14:                               ;   in Loop: Header=BB57_9 Depth=1
	s_and_b32 vcc_lo, exec_lo, s26
	s_mov_b32 s26, 4
	s_cbranch_vccnz .LBB57_25
.LBB57_15:                              ;   in Loop: Header=BB57_9 Depth=1
	v_mov_b64_e32 v[18:19], v[4:5]
	s_and_b32 vcc_lo, exec_lo, s25
	s_cbranch_vccnz .LBB57_30
.LBB57_16:                              ;   in Loop: Header=BB57_9 Depth=1
	s_and_b32 vcc_lo, exec_lo, s13
	s_cbranch_vccnz .LBB57_37
.LBB57_17:                              ;   in Loop: Header=BB57_9 Depth=1
	s_mov_b32 s13, -1
	s_cmp_gt_i32 s26, 3
	s_mov_b32 s24, -1
	s_cbranch_scc0 .LBB57_38
.LBB57_18:                              ;   in Loop: Header=BB57_9 Depth=1
	s_and_not1_b32 vcc_lo, exec_lo, s24
	s_cbranch_vccz .LBB57_39
.LBB57_19:                              ;   in Loop: Header=BB57_9 Depth=1
	s_and_not1_b32 vcc_lo, exec_lo, s13
	s_cbranch_vccnz .LBB57_40
	s_branch .LBB57_42
.LBB57_20:                              ;   in Loop: Header=BB57_9 Depth=1
	s_cmp_eq_u32 s5, 1
	s_mov_b32 s25, -1
                                        ; implicit-def: $vgpr16_vgpr17
	s_cbranch_scc0 .LBB57_24
; %bb.21:                               ;   in Loop: Header=BB57_9 Depth=1
	v_mov_b64_e32 v[16:17], v[12:13]
	s_cmp_ge_i32 s24, s16
	s_mov_b32 s25, 0
	s_cbranch_scc0 .LBB57_24
; %bb.22:                               ;   in Loop: Header=BB57_9 Depth=1
	s_cmp_eq_u32 s24, s16
	s_mov_b32 s25, -1
                                        ; implicit-def: $vgpr16_vgpr17
	s_cbranch_scc0 .LBB57_24
; %bb.23:                               ;   in Loop: Header=BB57_9 Depth=1
	v_div_scale_f64 v[16:17], null, v[14:15], v[14:15], 1.0
	v_div_scale_f64 v[24:25], vcc_lo, 1.0, v[14:15], 1.0
	s_mov_b32 s25, 0
	v_rcp_f64_e32 v[18:19], v[16:17]
	v_nop
	s_delay_alu instid0(TRANS32_DEP_1) | instskip(NEXT) | instid1(VALU_DEP_1)
	v_fma_f64 v[22:23], -v[16:17], v[18:19], 1.0
	v_fmac_f64_e32 v[18:19], v[18:19], v[22:23]
	s_delay_alu instid0(VALU_DEP_1) | instskip(NEXT) | instid1(VALU_DEP_1)
	v_fma_f64 v[22:23], -v[16:17], v[18:19], 1.0
	v_fmac_f64_e32 v[18:19], v[18:19], v[22:23]
	s_delay_alu instid0(VALU_DEP_1) | instskip(NEXT) | instid1(VALU_DEP_1)
	v_mul_f64_e32 v[22:23], v[24:25], v[18:19]
	v_fma_f64 v[16:17], -v[16:17], v[22:23], v[24:25]
	s_delay_alu instid0(VALU_DEP_1) | instskip(NEXT) | instid1(VALU_DEP_1)
	v_div_fmas_f64 v[16:17], v[16:17], v[18:19], v[22:23]
	v_div_fixup_f64 v[16:17], v[16:17], v[14:15], 1.0
	s_delay_alu instid0(VALU_DEP_1)
	v_dual_cndmask_b32 v17, v13, v17, s1 :: v_dual_cndmask_b32 v16, v12, v16, s1
.LBB57_24:                              ;   in Loop: Header=BB57_9 Depth=1
	s_mov_b32 s26, 4
	s_branch .LBB57_15
.LBB57_25:                              ;   in Loop: Header=BB57_9 Depth=1
	s_cmp_eq_u32 s5, 0
	s_cbranch_scc1 .LBB57_27
; %bb.26:                               ;   in Loop: Header=BB57_9 Depth=1
	s_mov_b32 s25, -1
	s_branch .LBB57_29
.LBB57_27:                              ;   in Loop: Header=BB57_9 Depth=1
	s_cmp_le_i32 s24, s16
	s_mov_b32 s25, 0
	s_cbranch_scc0 .LBB57_29
; %bb.28:                               ;   in Loop: Header=BB57_9 Depth=1
	s_cmp_lg_u32 s24, s16
	s_mov_b32 s13, -1
	s_cselect_b32 s25, -1, 0
.LBB57_29:                              ;   in Loop: Header=BB57_9 Depth=1
	v_mov_b64_e32 v[16:17], v[12:13]
	s_mov_b32 s26, 2
	v_mov_b64_e32 v[18:19], v[4:5]
	s_and_b32 vcc_lo, exec_lo, s25
	s_cbranch_vccz .LBB57_16
.LBB57_30:                              ;   in Loop: Header=BB57_9 Depth=1
	s_and_saveexec_b32 s13, s3
	s_cbranch_execz .LBB57_34
; %bb.31:                               ;   in Loop: Header=BB57_9 Depth=1
	s_add_co_i32 s26, s24, s7
	s_delay_alu instid0(SALU_CYCLE_1)
	v_mov_b32_e32 v7, s26
	global_load_b32 v7, v7, s[18:19] scale_offset scope:SCOPE_DEV
	s_wait_loadcnt 0x0
	v_cmp_ne_u32_e32 vcc_lo, 0, v7
	s_cbranch_vccnz .LBB57_34
; %bb.32:                               ;   in Loop: Header=BB57_9 Depth=1
	s_ashr_i32 s27, s26, 31
	s_delay_alu instid0(SALU_CYCLE_1) | instskip(NEXT) | instid1(SALU_CYCLE_1)
	s_lshl_b64 s[26:27], s[26:27], 2
	s_add_nc_u64 s[26:27], s[18:19], s[26:27]
.LBB57_33:                              ;   Parent Loop BB57_9 Depth=1
                                        ; =>  This Inner Loop Header: Depth=2
	global_load_b32 v7, v1, s[26:27] scope:SCOPE_DEV
	s_wait_loadcnt 0x0
	v_cmp_eq_u32_e32 vcc_lo, 0, v7
	s_cbranch_vccnz .LBB57_33
.LBB57_34:                              ;   in Loop: Header=BB57_9 Depth=1
	s_wait_xcnt 0x0
	s_or_b32 exec_lo, exec_lo, s13
	v_mov_b64_e32 v[18:19], 0
	s_wait_storecnt 0x0
	s_barrier_signal -1
	s_barrier_wait -1
	global_inv scope:SCOPE_DEV
	s_and_saveexec_b32 s13, s2
	s_cbranch_execz .LBB57_36
; %bb.35:                               ;   in Loop: Header=BB57_9 Depth=1
	s_ashr_i32 s25, s24, 31
	s_delay_alu instid0(SALU_CYCLE_1) | instskip(NEXT) | instid1(SALU_CYCLE_1)
	s_mul_u64 s[24:25], s[10:11], s[24:25]
	v_lshl_add_u64 v[16:17], s[24:25], 3, v[2:3]
	global_load_b64 v[16:17], v[16:17], off
	s_wait_loadcnt 0x0
	v_fma_f64 v[18:19], -v[14:15], v[16:17], v[4:5]
.LBB57_36:                              ;   in Loop: Header=BB57_9 Depth=1
	s_or_b32 exec_lo, exec_lo, s13
	v_mov_b64_e32 v[16:17], v[12:13]
	s_mov_b32 s26, 0
	s_branch .LBB57_17
.LBB57_37:                              ;   in Loop: Header=BB57_9 Depth=1
	v_div_scale_f64 v[16:17], null, v[14:15], v[14:15], 1.0
	v_div_scale_f64 v[24:25], vcc_lo, 1.0, v[14:15], 1.0
	s_mov_b32 s26, 2
	v_rcp_f64_e32 v[18:19], v[16:17]
	v_nop
	s_delay_alu instid0(TRANS32_DEP_1) | instskip(NEXT) | instid1(VALU_DEP_1)
	v_fma_f64 v[22:23], -v[16:17], v[18:19], 1.0
	v_fmac_f64_e32 v[18:19], v[18:19], v[22:23]
	s_delay_alu instid0(VALU_DEP_1) | instskip(NEXT) | instid1(VALU_DEP_1)
	v_fma_f64 v[22:23], -v[16:17], v[18:19], 1.0
	v_fmac_f64_e32 v[18:19], v[18:19], v[22:23]
	s_delay_alu instid0(VALU_DEP_1) | instskip(NEXT) | instid1(VALU_DEP_1)
	v_mul_f64_e32 v[22:23], v[24:25], v[18:19]
	v_fma_f64 v[16:17], -v[16:17], v[22:23], v[24:25]
	s_delay_alu instid0(VALU_DEP_1) | instskip(SKIP_1) | instid1(VALU_DEP_2)
	v_div_fmas_f64 v[16:17], v[16:17], v[18:19], v[22:23]
	v_mov_b64_e32 v[18:19], v[4:5]
	v_div_fixup_f64 v[14:15], v[16:17], v[14:15], 1.0
	s_delay_alu instid0(VALU_DEP_1)
	v_dual_cndmask_b32 v17, v13, v15, s1 :: v_dual_cndmask_b32 v16, v12, v14, s1
	s_mov_b32 s13, -1
	s_cmp_gt_i32 s26, 3
	s_mov_b32 s24, -1
	s_cbranch_scc1 .LBB57_18
.LBB57_38:                              ;   in Loop: Header=BB57_9 Depth=1
	s_cmp_eq_u32 s26, 0
	s_cselect_b32 s24, -1, 0
	s_delay_alu instid0(SALU_CYCLE_1)
	s_and_not1_b32 vcc_lo, exec_lo, s24
	s_cbranch_vccnz .LBB57_19
.LBB57_39:                              ;   in Loop: Header=BB57_9 Depth=1
	s_add_nc_u64 s[22:23], s[22:23], 1
	s_delay_alu instid0(SALU_CYCLE_1)
	v_cmp_ge_i64_e64 s13, s[22:23], s[14:15]
	s_and_not1_b32 vcc_lo, exec_lo, s13
	s_cbranch_vccz .LBB57_42
.LBB57_40:                              ;   in Loop: Header=BB57_9 Depth=1
	s_delay_alu instid0(VALU_DEP_1) | instskip(SKIP_2) | instid1(SALU_CYCLE_1)
	v_mov_b64_e32 v[4:5], v[18:19]
	v_mov_b64_e32 v[12:13], v[16:17]
	s_sub_co_i32 s13, s22, s12
	s_and_b32 s13, s13, 0x7f
	s_delay_alu instid0(SALU_CYCLE_1)
	s_cmp_lg_u32 s13, 0
	s_cbranch_scc1 .LBB57_9
	s_branch .LBB57_6
.LBB57_41:
	v_mov_b64_e32 v[18:19], v[4:5]
.LBB57_42:
	s_and_saveexec_b32 s0, s2
	s_cbranch_execz .LBB57_44
; %bb.43:
	s_delay_alu instid0(VALU_DEP_1) | instskip(SKIP_3) | instid1(VALU_DEP_2)
	v_mul_f64_e32 v[4:5], v[16:17], v[18:19]
	s_cmp_eq_u32 s6, 0
	v_lshl_add_u64 v[2:3], s[20:21], 3, v[2:3]
	s_cselect_b32 vcc_lo, -1, 0
	v_dual_cndmask_b32 v5, v19, v5 :: v_dual_cndmask_b32 v4, v18, v4
	global_store_b64 v[2:3], v[4:5], off
.LBB57_44:
	s_wait_xcnt 0x0
	s_or_b32 exec_lo, exec_lo, s0
	global_wb scope:SCOPE_DEV
	s_wait_loadcnt 0x0
	s_wait_storecnt 0x0
	global_inv scope:SCOPE_DEV
	s_wait_loadcnt 0x0
	s_barrier_signal -1
	s_barrier_wait -1
	s_mov_b32 s0, exec_lo
	v_cmpx_eq_u32_e32 0, v0
	s_cbranch_execz .LBB57_46
; %bb.45:
	s_add_co_i32 s0, s16, s7
	s_delay_alu instid0(SALU_CYCLE_1)
	v_dual_mov_b32 v0, 1 :: v_dual_mov_b32 v1, s0
	global_store_b32 v1, v0, s[18:19] scale_offset scope:SCOPE_DEV
.LBB57_46:
	s_endpgm
	.section	.rodata,"a",@progbits
	.p2align	6, 0x0
	.amdhsa_kernel _ZN9rocsparseL5csrsmILj128ELj64ELb0ElidEEv20rocsparse_operation_T3_S2_NS_24const_host_device_scalarIT4_EEPKT2_PKS2_PKS4_PS4_lPiSA_PS2_21rocsparse_index_base_20rocsparse_fill_mode_20rocsparse_diag_type_b
		.amdhsa_group_segment_fixed_size 1536
		.amdhsa_private_segment_fixed_size 0
		.amdhsa_kernarg_size 104
		.amdhsa_user_sgpr_count 2
		.amdhsa_user_sgpr_dispatch_ptr 0
		.amdhsa_user_sgpr_queue_ptr 0
		.amdhsa_user_sgpr_kernarg_segment_ptr 1
		.amdhsa_user_sgpr_dispatch_id 0
		.amdhsa_user_sgpr_kernarg_preload_length 0
		.amdhsa_user_sgpr_kernarg_preload_offset 0
		.amdhsa_user_sgpr_private_segment_size 0
		.amdhsa_wavefront_size32 1
		.amdhsa_uses_dynamic_stack 0
		.amdhsa_enable_private_segment 0
		.amdhsa_system_sgpr_workgroup_id_x 1
		.amdhsa_system_sgpr_workgroup_id_y 0
		.amdhsa_system_sgpr_workgroup_id_z 0
		.amdhsa_system_sgpr_workgroup_info 0
		.amdhsa_system_vgpr_workitem_id 0
		.amdhsa_next_free_vgpr 26
		.amdhsa_next_free_sgpr 29
		.amdhsa_named_barrier_count 0
		.amdhsa_reserve_vcc 1
		.amdhsa_float_round_mode_32 0
		.amdhsa_float_round_mode_16_64 0
		.amdhsa_float_denorm_mode_32 3
		.amdhsa_float_denorm_mode_16_64 3
		.amdhsa_fp16_overflow 0
		.amdhsa_memory_ordered 1
		.amdhsa_forward_progress 1
		.amdhsa_inst_pref_size 14
		.amdhsa_round_robin_scheduling 0
		.amdhsa_exception_fp_ieee_invalid_op 0
		.amdhsa_exception_fp_denorm_src 0
		.amdhsa_exception_fp_ieee_div_zero 0
		.amdhsa_exception_fp_ieee_overflow 0
		.amdhsa_exception_fp_ieee_underflow 0
		.amdhsa_exception_fp_ieee_inexact 0
		.amdhsa_exception_int_div_zero 0
	.end_amdhsa_kernel
	.section	.text._ZN9rocsparseL5csrsmILj128ELj64ELb0ElidEEv20rocsparse_operation_T3_S2_NS_24const_host_device_scalarIT4_EEPKT2_PKS2_PKS4_PS4_lPiSA_PS2_21rocsparse_index_base_20rocsparse_fill_mode_20rocsparse_diag_type_b,"axG",@progbits,_ZN9rocsparseL5csrsmILj128ELj64ELb0ElidEEv20rocsparse_operation_T3_S2_NS_24const_host_device_scalarIT4_EEPKT2_PKS2_PKS4_PS4_lPiSA_PS2_21rocsparse_index_base_20rocsparse_fill_mode_20rocsparse_diag_type_b,comdat
.Lfunc_end57:
	.size	_ZN9rocsparseL5csrsmILj128ELj64ELb0ElidEEv20rocsparse_operation_T3_S2_NS_24const_host_device_scalarIT4_EEPKT2_PKS2_PKS4_PS4_lPiSA_PS2_21rocsparse_index_base_20rocsparse_fill_mode_20rocsparse_diag_type_b, .Lfunc_end57-_ZN9rocsparseL5csrsmILj128ELj64ELb0ElidEEv20rocsparse_operation_T3_S2_NS_24const_host_device_scalarIT4_EEPKT2_PKS2_PKS4_PS4_lPiSA_PS2_21rocsparse_index_base_20rocsparse_fill_mode_20rocsparse_diag_type_b
                                        ; -- End function
	.set _ZN9rocsparseL5csrsmILj128ELj64ELb0ElidEEv20rocsparse_operation_T3_S2_NS_24const_host_device_scalarIT4_EEPKT2_PKS2_PKS4_PS4_lPiSA_PS2_21rocsparse_index_base_20rocsparse_fill_mode_20rocsparse_diag_type_b.num_vgpr, 26
	.set _ZN9rocsparseL5csrsmILj128ELj64ELb0ElidEEv20rocsparse_operation_T3_S2_NS_24const_host_device_scalarIT4_EEPKT2_PKS2_PKS4_PS4_lPiSA_PS2_21rocsparse_index_base_20rocsparse_fill_mode_20rocsparse_diag_type_b.num_agpr, 0
	.set _ZN9rocsparseL5csrsmILj128ELj64ELb0ElidEEv20rocsparse_operation_T3_S2_NS_24const_host_device_scalarIT4_EEPKT2_PKS2_PKS4_PS4_lPiSA_PS2_21rocsparse_index_base_20rocsparse_fill_mode_20rocsparse_diag_type_b.numbered_sgpr, 29
	.set _ZN9rocsparseL5csrsmILj128ELj64ELb0ElidEEv20rocsparse_operation_T3_S2_NS_24const_host_device_scalarIT4_EEPKT2_PKS2_PKS4_PS4_lPiSA_PS2_21rocsparse_index_base_20rocsparse_fill_mode_20rocsparse_diag_type_b.num_named_barrier, 0
	.set _ZN9rocsparseL5csrsmILj128ELj64ELb0ElidEEv20rocsparse_operation_T3_S2_NS_24const_host_device_scalarIT4_EEPKT2_PKS2_PKS4_PS4_lPiSA_PS2_21rocsparse_index_base_20rocsparse_fill_mode_20rocsparse_diag_type_b.private_seg_size, 0
	.set _ZN9rocsparseL5csrsmILj128ELj64ELb0ElidEEv20rocsparse_operation_T3_S2_NS_24const_host_device_scalarIT4_EEPKT2_PKS2_PKS4_PS4_lPiSA_PS2_21rocsparse_index_base_20rocsparse_fill_mode_20rocsparse_diag_type_b.uses_vcc, 1
	.set _ZN9rocsparseL5csrsmILj128ELj64ELb0ElidEEv20rocsparse_operation_T3_S2_NS_24const_host_device_scalarIT4_EEPKT2_PKS2_PKS4_PS4_lPiSA_PS2_21rocsparse_index_base_20rocsparse_fill_mode_20rocsparse_diag_type_b.uses_flat_scratch, 0
	.set _ZN9rocsparseL5csrsmILj128ELj64ELb0ElidEEv20rocsparse_operation_T3_S2_NS_24const_host_device_scalarIT4_EEPKT2_PKS2_PKS4_PS4_lPiSA_PS2_21rocsparse_index_base_20rocsparse_fill_mode_20rocsparse_diag_type_b.has_dyn_sized_stack, 0
	.set _ZN9rocsparseL5csrsmILj128ELj64ELb0ElidEEv20rocsparse_operation_T3_S2_NS_24const_host_device_scalarIT4_EEPKT2_PKS2_PKS4_PS4_lPiSA_PS2_21rocsparse_index_base_20rocsparse_fill_mode_20rocsparse_diag_type_b.has_recursion, 0
	.set _ZN9rocsparseL5csrsmILj128ELj64ELb0ElidEEv20rocsparse_operation_T3_S2_NS_24const_host_device_scalarIT4_EEPKT2_PKS2_PKS4_PS4_lPiSA_PS2_21rocsparse_index_base_20rocsparse_fill_mode_20rocsparse_diag_type_b.has_indirect_call, 0
	.section	.AMDGPU.csdata,"",@progbits
; Kernel info:
; codeLenInByte = 1712
; TotalNumSgprs: 31
; NumVgprs: 26
; ScratchSize: 0
; MemoryBound: 0
; FloatMode: 240
; IeeeMode: 1
; LDSByteSize: 1536 bytes/workgroup (compile time only)
; SGPRBlocks: 0
; VGPRBlocks: 1
; NumSGPRsForWavesPerEU: 31
; NumVGPRsForWavesPerEU: 26
; NamedBarCnt: 0
; Occupancy: 16
; WaveLimiterHint : 1
; COMPUTE_PGM_RSRC2:SCRATCH_EN: 0
; COMPUTE_PGM_RSRC2:USER_SGPR: 2
; COMPUTE_PGM_RSRC2:TRAP_HANDLER: 0
; COMPUTE_PGM_RSRC2:TGID_X_EN: 1
; COMPUTE_PGM_RSRC2:TGID_Y_EN: 0
; COMPUTE_PGM_RSRC2:TGID_Z_EN: 0
; COMPUTE_PGM_RSRC2:TIDIG_COMP_CNT: 0
	.section	.text._ZN9rocsparseL5csrsmILj256ELj64ELb1ElidEEv20rocsparse_operation_T3_S2_NS_24const_host_device_scalarIT4_EEPKT2_PKS2_PKS4_PS4_lPiSA_PS2_21rocsparse_index_base_20rocsparse_fill_mode_20rocsparse_diag_type_b,"axG",@progbits,_ZN9rocsparseL5csrsmILj256ELj64ELb1ElidEEv20rocsparse_operation_T3_S2_NS_24const_host_device_scalarIT4_EEPKT2_PKS2_PKS4_PS4_lPiSA_PS2_21rocsparse_index_base_20rocsparse_fill_mode_20rocsparse_diag_type_b,comdat
	.globl	_ZN9rocsparseL5csrsmILj256ELj64ELb1ElidEEv20rocsparse_operation_T3_S2_NS_24const_host_device_scalarIT4_EEPKT2_PKS2_PKS4_PS4_lPiSA_PS2_21rocsparse_index_base_20rocsparse_fill_mode_20rocsparse_diag_type_b ; -- Begin function _ZN9rocsparseL5csrsmILj256ELj64ELb1ElidEEv20rocsparse_operation_T3_S2_NS_24const_host_device_scalarIT4_EEPKT2_PKS2_PKS4_PS4_lPiSA_PS2_21rocsparse_index_base_20rocsparse_fill_mode_20rocsparse_diag_type_b
	.p2align	8
	.type	_ZN9rocsparseL5csrsmILj256ELj64ELb1ElidEEv20rocsparse_operation_T3_S2_NS_24const_host_device_scalarIT4_EEPKT2_PKS2_PKS4_PS4_lPiSA_PS2_21rocsparse_index_base_20rocsparse_fill_mode_20rocsparse_diag_type_b,@function
_ZN9rocsparseL5csrsmILj256ELj64ELb1ElidEEv20rocsparse_operation_T3_S2_NS_24const_host_device_scalarIT4_EEPKT2_PKS2_PKS4_PS4_lPiSA_PS2_21rocsparse_index_base_20rocsparse_fill_mode_20rocsparse_diag_type_b: ; @_ZN9rocsparseL5csrsmILj256ELj64ELb1ElidEEv20rocsparse_operation_T3_S2_NS_24const_host_device_scalarIT4_EEPKT2_PKS2_PKS4_PS4_lPiSA_PS2_21rocsparse_index_base_20rocsparse_fill_mode_20rocsparse_diag_type_b
; %bb.0:
	s_clause 0x2
	s_load_b128 s[4:7], s[0:1], 0x58
	s_load_b128 s[12:15], s[0:1], 0x10
	s_load_b64 s[2:3], s[0:1], 0x48
	s_wait_kmcnt 0x0
	s_bitcmp1_b32 s7, 0
	v_mov_b64_e32 v[2:3], s[12:13]
	s_cselect_b32 s7, -1, 0
	s_delay_alu instid0(SALU_CYCLE_1)
	s_and_b32 vcc_lo, exec_lo, s7
	s_cbranch_vccnz .LBB58_2
; %bb.1:
	v_mov_b32_e32 v1, 0
	flat_load_b64 v[2:3], v1, s[12:13]
.LBB58_2:
	s_load_b64 s[20:21], s[0:1], 0x4
	s_bfe_u32 s9, ttmp6, 0x4000c
	s_and_b32 s8, ttmp6, 15
	s_add_co_i32 s9, s9, 1
	s_getreg_b32 s11, hwreg(HW_REG_IB_STS2, 6, 4)
	s_mul_i32 s9, ttmp9, s9
	v_mov_b64_e32 v[4:5], 0
	s_add_co_i32 s8, s8, s9
	s_wait_kmcnt 0x0
	s_cvt_f32_u32 s7, s20
	s_sub_co_i32 s10, 0, s20
	s_delay_alu instid0(SALU_CYCLE_2) | instskip(SKIP_1) | instid1(TRANS32_DEP_1)
	v_rcp_iflag_f32_e32 v1, s7
	v_nop
	v_readfirstlane_b32 s7, v1
	s_mul_f32 s7, s7, 0x4f7ffffe
	s_delay_alu instid0(SALU_CYCLE_3) | instskip(NEXT) | instid1(SALU_CYCLE_3)
	s_cvt_u32_f32 s7, s7
	s_mul_i32 s10, s10, s7
	s_delay_alu instid0(SALU_CYCLE_1) | instskip(NEXT) | instid1(SALU_CYCLE_1)
	s_mul_hi_u32 s10, s7, s10
	s_add_co_i32 s7, s7, s10
	s_cmp_eq_u32 s11, 0
	s_cselect_b32 s8, ttmp9, s8
	s_delay_alu instid0(SALU_CYCLE_1) | instskip(NEXT) | instid1(SALU_CYCLE_1)
	s_mul_hi_u32 s7, s8, s7
	s_mul_i32 s9, s7, s20
	s_add_co_i32 s10, s7, 1
	s_sub_co_i32 s9, s8, s9
	s_delay_alu instid0(SALU_CYCLE_1)
	s_sub_co_i32 s11, s9, s20
	s_cmp_ge_u32 s9, s20
	s_cselect_b32 s7, s10, s7
	s_cselect_b32 s9, s11, s9
	s_add_co_i32 s10, s7, 1
	s_cmp_ge_u32 s9, s20
	s_cselect_b32 s22, s10, s7
	s_delay_alu instid0(SALU_CYCLE_1) | instskip(SKIP_2) | instid1(SALU_CYCLE_1)
	s_mul_i32 s7, s22, s20
	v_lshl_or_b32 v6, s22, 8, v0
	s_sub_co_i32 s8, s8, s7
	s_ashr_i32 s9, s8, 31
	s_delay_alu instid0(VALU_DEP_1) | instskip(SKIP_1) | instid1(SALU_CYCLE_1)
	v_ashrrev_i32_e32 v7, 31, v6
	s_lshl_b64 s[8:9], s[8:9], 2
	s_add_nc_u64 s[2:3], s[2:3], s[8:9]
	s_load_b128 s[8:11], s[0:1], 0x30
	s_load_b32 s16, s[2:3], 0x0
	s_wait_kmcnt 0x0
	s_ashr_i32 s17, s16, 31
	s_delay_alu instid0(SALU_CYCLE_1) | instskip(NEXT) | instid1(SALU_CYCLE_1)
	s_lshl_b64 s[2:3], s[16:17], 3
	s_add_nc_u64 s[2:3], s[14:15], s[2:3]
	s_load_b64 s[18:19], s[0:1], 0x40
	s_load_b128 s[12:15], s[2:3], 0x0
	s_wait_xcnt 0x0
	v_cmp_gt_i32_e64 s2, s21, v6
	s_mul_u64 s[20:21], s[10:11], s[16:17]
	s_and_saveexec_b32 s3, s2
	s_cbranch_execz .LBB58_4
; %bb.3:
	v_add_nc_u64_e32 v[4:5], s[20:21], v[6:7]
	s_delay_alu instid0(VALU_DEP_1)
	v_lshl_add_u64 v[4:5], v[4:5], 3, s[8:9]
	global_load_b64 v[4:5], v[4:5], off
	s_wait_loadcnt_dscnt 0x0
	v_mul_f64_e32 v[4:5], v[2:3], v[4:5]
.LBB58_4:
	s_or_b32 exec_lo, exec_lo, s3
	s_wait_kmcnt 0x0
	v_cmp_ge_i64_e64 s3, s[12:13], s[14:15]
	v_mov_b64_e32 v[16:17], 1.0
	s_wait_loadcnt_dscnt 0x0
	v_lshl_add_u64 v[2:3], v[6:7], 3, s[8:9]
	s_and_b32 vcc_lo, exec_lo, s3
	v_cmp_eq_u32_e64 s3, 0, v0
	s_cbranch_vccnz .LBB58_43
; %bb.5:
	s_clause 0x1
	s_load_b128 s[24:27], s[0:1], 0x20
	s_load_b64 s[8:9], s[0:1], 0x50
	v_dual_mov_b32 v1, 0 :: v_dual_lshlrev_b32 v8, 2, v0
	v_lshlrev_b32_e32 v6, 3, v0
	s_cmp_lg_u32 s6, 0
	v_mov_b64_e32 v[12:13], 1.0
	s_delay_alu instid0(VALU_DEP_3)
	v_dual_mov_b32 v9, v1 :: v_dual_mov_b32 v7, v1
	v_or_b32_e32 v20, 0x800, v8
	s_mov_b32 s23, 0
	s_mov_b32 s22, s4
	s_wait_xcnt 0x0
	v_cmp_ne_u32_e64 s0, 0, v0
	s_cselect_b32 s17, -1, 0
	s_add_co_i32 s28, s16, s4
	s_sub_nc_u64 s[12:13], s[12:13], s[22:23]
	s_cmp_eq_u32 s6, 0
	s_sub_nc_u64 s[14:15], s[14:15], s[22:23]
	s_cselect_b32 s1, -1, 0
	s_mov_b64 s[22:23], s[12:13]
	s_wait_kmcnt 0x0
	v_add_nc_u64_e32 v[8:9], s[24:25], v[8:9]
	v_add_nc_u64_e32 v[10:11], s[26:27], v[6:7]
	s_sub_co_i32 s13, s22, s12
	s_delay_alu instid0(SALU_CYCLE_1) | instskip(NEXT) | instid1(SALU_CYCLE_1)
	s_and_b32 s13, s13, 0xff
	s_cmp_lg_u32 s13, 0
	s_cbranch_scc1 .LBB58_9
.LBB58_6:
	s_sub_nc_u64 s[24:25], s[14:15], s[22:23]
	v_mov_b64_e32 v[14:15], -1.0
	v_cmp_gt_i64_e32 vcc_lo, s[24:25], v[0:1]
	v_mov_b32_e32 v7, -1
	s_and_saveexec_b32 s24, vcc_lo
	s_cbranch_execz .LBB58_8
; %bb.7:
	v_lshl_add_u64 v[14:15], s[22:23], 2, v[8:9]
	global_load_b32 v7, v[14:15], off
	s_wait_xcnt 0x0
	v_lshl_add_u64 v[14:15], s[22:23], 3, v[10:11]
	global_load_b64 v[14:15], v[14:15], off
	s_wait_loadcnt 0x1
	v_subrev_nc_u32_e32 v7, s4, v7
.LBB58_8:
	s_wait_xcnt 0x0
	s_or_b32 exec_lo, exec_lo, s24
	ds_store_b32 v20, v7
	s_wait_loadcnt 0x0
	ds_store_b64 v6, v[14:15]
.LBB58_9:                               ; =>This Loop Header: Depth=1
                                        ;     Child Loop BB58_41 Depth 2
                                        ;       Child Loop BB58_42 Depth 3
	s_lshl_b32 s24, s13, 3
	s_wait_dscnt 0x0
	v_mov_b32_e32 v7, s24
	s_barrier_signal -1
	s_barrier_wait -1
	s_lshl_b32 s13, s13, 2
	ds_load_b64 v[14:15], v7
	v_mov_b32_e32 v7, s13
	ds_load_b32 v7, v7 offset:2048
	s_wait_dscnt 0x1
	v_cmp_neq_f64_e32 vcc_lo, 0, v[14:15]
	s_wait_dscnt 0x0
	v_readfirstlane_b32 s24, v7
	s_cmp_lg_u32 s24, s16
	s_cselect_b32 s13, -1, 0
	s_delay_alu instid0(SALU_CYCLE_1) | instskip(NEXT) | instid1(SALU_CYCLE_1)
	s_or_b32 s13, s17, s13
	s_or_b32 vcc_lo, vcc_lo, s13
	v_cndmask_b32_e32 v15, 0x3ff00000, v15, vcc_lo
	v_cndmask_b32_e32 v14, 0, v14, vcc_lo
	s_nor_b32 s25, s0, vcc_lo
	s_delay_alu instid0(SALU_CYCLE_1)
	s_and_saveexec_b32 s13, s25
	s_cbranch_execz .LBB58_13
; %bb.10:                               ;   in Loop: Header=BB58_9 Depth=1
	v_mbcnt_lo_u32_b32 v7, exec_lo, 0
	s_mov_b32 s25, exec_lo
	s_delay_alu instid0(VALU_DEP_1)
	v_cmpx_eq_u32_e32 0, v7
	s_cbranch_execz .LBB58_12
; %bb.11:                               ;   in Loop: Header=BB58_9 Depth=1
	v_mov_b32_e32 v7, s28
	global_atomic_min_i32 v1, v7, s[8:9] scope:SCOPE_DEV
.LBB58_12:                              ;   in Loop: Header=BB58_9 Depth=1
	s_wait_xcnt 0x0
	s_or_b32 exec_lo, exec_lo, s25
	v_mov_b64_e32 v[14:15], 1.0
.LBB58_13:                              ;   in Loop: Header=BB58_9 Depth=1
	s_or_b32 exec_lo, exec_lo, s13
	s_mov_b32 s26, -1
	s_mov_b32 s13, 0
	s_cmp_lt_i32 s5, 1
	s_mov_b32 s25, 0
                                        ; implicit-def: $vgpr16_vgpr17
	s_cbranch_scc0 .LBB58_20
; %bb.14:                               ;   in Loop: Header=BB58_9 Depth=1
	s_and_b32 vcc_lo, exec_lo, s26
	s_mov_b32 s26, 4
	s_cbranch_vccnz .LBB58_25
.LBB58_15:                              ;   in Loop: Header=BB58_9 Depth=1
	v_mov_b64_e32 v[18:19], v[4:5]
	s_and_b32 vcc_lo, exec_lo, s25
	s_cbranch_vccnz .LBB58_30
.LBB58_16:                              ;   in Loop: Header=BB58_9 Depth=1
	s_and_b32 vcc_lo, exec_lo, s13
	s_cbranch_vccnz .LBB58_35
.LBB58_17:                              ;   in Loop: Header=BB58_9 Depth=1
	s_mov_b32 s13, -1
	s_cmp_gt_i32 s26, 3
	s_mov_b32 s24, -1
	s_cbranch_scc0 .LBB58_36
.LBB58_18:                              ;   in Loop: Header=BB58_9 Depth=1
	s_and_not1_b32 vcc_lo, exec_lo, s24
	s_cbranch_vccz .LBB58_37
.LBB58_19:                              ;   in Loop: Header=BB58_9 Depth=1
	s_and_not1_b32 vcc_lo, exec_lo, s13
	s_cbranch_vccnz .LBB58_38
	s_branch .LBB58_44
.LBB58_20:                              ;   in Loop: Header=BB58_9 Depth=1
	s_cmp_eq_u32 s5, 1
	s_mov_b32 s25, -1
                                        ; implicit-def: $vgpr16_vgpr17
	s_cbranch_scc0 .LBB58_24
; %bb.21:                               ;   in Loop: Header=BB58_9 Depth=1
	v_mov_b64_e32 v[16:17], v[12:13]
	s_cmp_ge_i32 s24, s16
	s_mov_b32 s25, 0
	s_cbranch_scc0 .LBB58_24
; %bb.22:                               ;   in Loop: Header=BB58_9 Depth=1
	s_cmp_eq_u32 s24, s16
	s_mov_b32 s25, -1
                                        ; implicit-def: $vgpr16_vgpr17
	s_cbranch_scc0 .LBB58_24
; %bb.23:                               ;   in Loop: Header=BB58_9 Depth=1
	v_div_scale_f64 v[16:17], null, v[14:15], v[14:15], 1.0
	v_div_scale_f64 v[24:25], vcc_lo, 1.0, v[14:15], 1.0
	s_mov_b32 s25, 0
	v_rcp_f64_e32 v[18:19], v[16:17]
	v_nop
	s_delay_alu instid0(TRANS32_DEP_1) | instskip(NEXT) | instid1(VALU_DEP_1)
	v_fma_f64 v[22:23], -v[16:17], v[18:19], 1.0
	v_fmac_f64_e32 v[18:19], v[18:19], v[22:23]
	s_delay_alu instid0(VALU_DEP_1) | instskip(NEXT) | instid1(VALU_DEP_1)
	v_fma_f64 v[22:23], -v[16:17], v[18:19], 1.0
	v_fmac_f64_e32 v[18:19], v[18:19], v[22:23]
	s_delay_alu instid0(VALU_DEP_1) | instskip(NEXT) | instid1(VALU_DEP_1)
	v_mul_f64_e32 v[22:23], v[24:25], v[18:19]
	v_fma_f64 v[16:17], -v[16:17], v[22:23], v[24:25]
	s_delay_alu instid0(VALU_DEP_1) | instskip(NEXT) | instid1(VALU_DEP_1)
	v_div_fmas_f64 v[16:17], v[16:17], v[18:19], v[22:23]
	v_div_fixup_f64 v[16:17], v[16:17], v[14:15], 1.0
	s_delay_alu instid0(VALU_DEP_1)
	v_dual_cndmask_b32 v17, v13, v17, s1 :: v_dual_cndmask_b32 v16, v12, v16, s1
.LBB58_24:                              ;   in Loop: Header=BB58_9 Depth=1
	s_mov_b32 s26, 4
	s_branch .LBB58_15
.LBB58_25:                              ;   in Loop: Header=BB58_9 Depth=1
	s_cmp_eq_u32 s5, 0
	s_cbranch_scc1 .LBB58_27
; %bb.26:                               ;   in Loop: Header=BB58_9 Depth=1
	s_mov_b32 s25, -1
	s_branch .LBB58_29
.LBB58_27:                              ;   in Loop: Header=BB58_9 Depth=1
	s_cmp_le_i32 s24, s16
	s_mov_b32 s25, 0
	s_cbranch_scc0 .LBB58_29
; %bb.28:                               ;   in Loop: Header=BB58_9 Depth=1
	s_cmp_lg_u32 s24, s16
	s_mov_b32 s13, -1
	s_cselect_b32 s25, -1, 0
.LBB58_29:                              ;   in Loop: Header=BB58_9 Depth=1
	v_mov_b64_e32 v[16:17], v[12:13]
	s_mov_b32 s26, 2
	v_mov_b64_e32 v[18:19], v[4:5]
	s_and_b32 vcc_lo, exec_lo, s25
	s_cbranch_vccz .LBB58_16
.LBB58_30:                              ;   in Loop: Header=BB58_9 Depth=1
	s_and_saveexec_b32 s13, s3
	s_cbranch_execz .LBB58_32
; %bb.31:                               ;   in Loop: Header=BB58_9 Depth=1
	s_add_co_i32 s26, s24, s7
	s_delay_alu instid0(SALU_CYCLE_1)
	v_mov_b32_e32 v7, s26
	global_load_b32 v7, v7, s[18:19] scale_offset scope:SCOPE_DEV
	s_wait_loadcnt 0x0
	v_cmp_ne_u32_e32 vcc_lo, 0, v7
	s_cbranch_vccz .LBB58_39
.LBB58_32:                              ;   in Loop: Header=BB58_9 Depth=1
	s_wait_xcnt 0x0
	s_or_b32 exec_lo, exec_lo, s13
	v_mov_b64_e32 v[18:19], 0
	s_wait_storecnt 0x0
	s_barrier_signal -1
	s_barrier_wait -1
	global_inv scope:SCOPE_DEV
	s_and_saveexec_b32 s13, s2
	s_cbranch_execz .LBB58_34
; %bb.33:                               ;   in Loop: Header=BB58_9 Depth=1
	s_ashr_i32 s25, s24, 31
	s_delay_alu instid0(SALU_CYCLE_1) | instskip(NEXT) | instid1(SALU_CYCLE_1)
	s_mul_u64 s[24:25], s[10:11], s[24:25]
	v_lshl_add_u64 v[16:17], s[24:25], 3, v[2:3]
	global_load_b64 v[16:17], v[16:17], off
	s_wait_loadcnt 0x0
	v_fma_f64 v[18:19], -v[14:15], v[16:17], v[4:5]
.LBB58_34:                              ;   in Loop: Header=BB58_9 Depth=1
	s_or_b32 exec_lo, exec_lo, s13
	v_mov_b64_e32 v[16:17], v[12:13]
	s_mov_b32 s26, 0
	s_branch .LBB58_17
.LBB58_35:                              ;   in Loop: Header=BB58_9 Depth=1
	v_div_scale_f64 v[16:17], null, v[14:15], v[14:15], 1.0
	v_div_scale_f64 v[24:25], vcc_lo, 1.0, v[14:15], 1.0
	s_mov_b32 s26, 2
	v_rcp_f64_e32 v[18:19], v[16:17]
	v_nop
	s_delay_alu instid0(TRANS32_DEP_1) | instskip(NEXT) | instid1(VALU_DEP_1)
	v_fma_f64 v[22:23], -v[16:17], v[18:19], 1.0
	v_fmac_f64_e32 v[18:19], v[18:19], v[22:23]
	s_delay_alu instid0(VALU_DEP_1) | instskip(NEXT) | instid1(VALU_DEP_1)
	v_fma_f64 v[22:23], -v[16:17], v[18:19], 1.0
	v_fmac_f64_e32 v[18:19], v[18:19], v[22:23]
	s_delay_alu instid0(VALU_DEP_1) | instskip(NEXT) | instid1(VALU_DEP_1)
	v_mul_f64_e32 v[22:23], v[24:25], v[18:19]
	v_fma_f64 v[16:17], -v[16:17], v[22:23], v[24:25]
	s_delay_alu instid0(VALU_DEP_1) | instskip(SKIP_1) | instid1(VALU_DEP_2)
	v_div_fmas_f64 v[16:17], v[16:17], v[18:19], v[22:23]
	v_mov_b64_e32 v[18:19], v[4:5]
	v_div_fixup_f64 v[14:15], v[16:17], v[14:15], 1.0
	s_delay_alu instid0(VALU_DEP_1)
	v_dual_cndmask_b32 v17, v13, v15, s1 :: v_dual_cndmask_b32 v16, v12, v14, s1
	s_mov_b32 s13, -1
	s_cmp_gt_i32 s26, 3
	s_mov_b32 s24, -1
	s_cbranch_scc1 .LBB58_18
.LBB58_36:                              ;   in Loop: Header=BB58_9 Depth=1
	s_cmp_eq_u32 s26, 0
	s_cselect_b32 s24, -1, 0
	s_delay_alu instid0(SALU_CYCLE_1)
	s_and_not1_b32 vcc_lo, exec_lo, s24
	s_cbranch_vccnz .LBB58_19
.LBB58_37:                              ;   in Loop: Header=BB58_9 Depth=1
	s_add_nc_u64 s[22:23], s[22:23], 1
	s_delay_alu instid0(SALU_CYCLE_1)
	v_cmp_ge_i64_e64 s13, s[22:23], s[14:15]
	s_and_not1_b32 vcc_lo, exec_lo, s13
	s_cbranch_vccz .LBB58_44
.LBB58_38:                              ;   in Loop: Header=BB58_9 Depth=1
	s_delay_alu instid0(VALU_DEP_1) | instskip(SKIP_2) | instid1(SALU_CYCLE_1)
	v_mov_b64_e32 v[4:5], v[18:19]
	v_mov_b64_e32 v[12:13], v[16:17]
	s_sub_co_i32 s13, s22, s12
	s_and_b32 s13, s13, 0xff
	s_delay_alu instid0(SALU_CYCLE_1)
	s_cmp_lg_u32 s13, 0
	s_cbranch_scc1 .LBB58_9
	s_branch .LBB58_6
.LBB58_39:                              ;   in Loop: Header=BB58_9 Depth=1
	s_ashr_i32 s27, s26, 31
	s_mov_b32 s25, 0
	s_lshl_b64 s[26:27], s[26:27], 2
	s_delay_alu instid0(SALU_CYCLE_1)
	s_add_nc_u64 s[26:27], s[18:19], s[26:27]
	s_branch .LBB58_41
.LBB58_40:                              ;   in Loop: Header=BB58_41 Depth=2
	global_load_b32 v7, v1, s[26:27] scope:SCOPE_DEV
	s_cmp_lt_u32 s25, 0xf43
	s_cselect_b32 s29, -1, 0
	s_delay_alu instid0(SALU_CYCLE_1)
	s_cmp_lg_u32 s29, 0
	s_add_co_ci_u32 s25, s25, 0
	s_wait_loadcnt 0x0
	v_cmp_ne_u32_e32 vcc_lo, 0, v7
	s_cbranch_vccnz .LBB58_32
.LBB58_41:                              ;   Parent Loop BB58_9 Depth=1
                                        ; =>  This Loop Header: Depth=2
                                        ;       Child Loop BB58_42 Depth 3
	s_cmp_eq_u32 s25, 0
	s_mov_b32 s29, s25
	s_cbranch_scc1 .LBB58_40
.LBB58_42:                              ;   Parent Loop BB58_9 Depth=1
                                        ;     Parent Loop BB58_41 Depth=2
                                        ; =>    This Inner Loop Header: Depth=3
	s_add_co_i32 s29, s29, -1
	s_sleep 1
	s_cmp_eq_u32 s29, 0
	s_cbranch_scc0 .LBB58_42
	s_branch .LBB58_40
.LBB58_43:
	v_mov_b64_e32 v[18:19], v[4:5]
.LBB58_44:
	s_and_saveexec_b32 s0, s2
	s_cbranch_execz .LBB58_46
; %bb.45:
	s_delay_alu instid0(VALU_DEP_1) | instskip(SKIP_3) | instid1(VALU_DEP_2)
	v_mul_f64_e32 v[4:5], v[16:17], v[18:19]
	s_cmp_eq_u32 s6, 0
	v_lshl_add_u64 v[2:3], s[20:21], 3, v[2:3]
	s_cselect_b32 vcc_lo, -1, 0
	v_dual_cndmask_b32 v5, v19, v5 :: v_dual_cndmask_b32 v4, v18, v4
	global_store_b64 v[2:3], v[4:5], off
.LBB58_46:
	s_wait_xcnt 0x0
	s_or_b32 exec_lo, exec_lo, s0
	global_wb scope:SCOPE_DEV
	s_wait_loadcnt 0x0
	s_wait_storecnt 0x0
	global_inv scope:SCOPE_DEV
	s_wait_loadcnt 0x0
	s_barrier_signal -1
	s_barrier_wait -1
	s_mov_b32 s0, exec_lo
	v_cmpx_eq_u32_e32 0, v0
	s_cbranch_execz .LBB58_48
; %bb.47:
	s_add_co_i32 s0, s16, s7
	s_delay_alu instid0(SALU_CYCLE_1)
	v_dual_mov_b32 v0, 1 :: v_dual_mov_b32 v1, s0
	global_store_b32 v1, v0, s[18:19] scale_offset scope:SCOPE_DEV
.LBB58_48:
	s_endpgm
	.section	.rodata,"a",@progbits
	.p2align	6, 0x0
	.amdhsa_kernel _ZN9rocsparseL5csrsmILj256ELj64ELb1ElidEEv20rocsparse_operation_T3_S2_NS_24const_host_device_scalarIT4_EEPKT2_PKS2_PKS4_PS4_lPiSA_PS2_21rocsparse_index_base_20rocsparse_fill_mode_20rocsparse_diag_type_b
		.amdhsa_group_segment_fixed_size 3072
		.amdhsa_private_segment_fixed_size 0
		.amdhsa_kernarg_size 104
		.amdhsa_user_sgpr_count 2
		.amdhsa_user_sgpr_dispatch_ptr 0
		.amdhsa_user_sgpr_queue_ptr 0
		.amdhsa_user_sgpr_kernarg_segment_ptr 1
		.amdhsa_user_sgpr_dispatch_id 0
		.amdhsa_user_sgpr_kernarg_preload_length 0
		.amdhsa_user_sgpr_kernarg_preload_offset 0
		.amdhsa_user_sgpr_private_segment_size 0
		.amdhsa_wavefront_size32 1
		.amdhsa_uses_dynamic_stack 0
		.amdhsa_enable_private_segment 0
		.amdhsa_system_sgpr_workgroup_id_x 1
		.amdhsa_system_sgpr_workgroup_id_y 0
		.amdhsa_system_sgpr_workgroup_id_z 0
		.amdhsa_system_sgpr_workgroup_info 0
		.amdhsa_system_vgpr_workitem_id 0
		.amdhsa_next_free_vgpr 26
		.amdhsa_next_free_sgpr 30
		.amdhsa_named_barrier_count 0
		.amdhsa_reserve_vcc 1
		.amdhsa_float_round_mode_32 0
		.amdhsa_float_round_mode_16_64 0
		.amdhsa_float_denorm_mode_32 3
		.amdhsa_float_denorm_mode_16_64 3
		.amdhsa_fp16_overflow 0
		.amdhsa_memory_ordered 1
		.amdhsa_forward_progress 1
		.amdhsa_inst_pref_size 14
		.amdhsa_round_robin_scheduling 0
		.amdhsa_exception_fp_ieee_invalid_op 0
		.amdhsa_exception_fp_denorm_src 0
		.amdhsa_exception_fp_ieee_div_zero 0
		.amdhsa_exception_fp_ieee_overflow 0
		.amdhsa_exception_fp_ieee_underflow 0
		.amdhsa_exception_fp_ieee_inexact 0
		.amdhsa_exception_int_div_zero 0
	.end_amdhsa_kernel
	.section	.text._ZN9rocsparseL5csrsmILj256ELj64ELb1ElidEEv20rocsparse_operation_T3_S2_NS_24const_host_device_scalarIT4_EEPKT2_PKS2_PKS4_PS4_lPiSA_PS2_21rocsparse_index_base_20rocsparse_fill_mode_20rocsparse_diag_type_b,"axG",@progbits,_ZN9rocsparseL5csrsmILj256ELj64ELb1ElidEEv20rocsparse_operation_T3_S2_NS_24const_host_device_scalarIT4_EEPKT2_PKS2_PKS4_PS4_lPiSA_PS2_21rocsparse_index_base_20rocsparse_fill_mode_20rocsparse_diag_type_b,comdat
.Lfunc_end58:
	.size	_ZN9rocsparseL5csrsmILj256ELj64ELb1ElidEEv20rocsparse_operation_T3_S2_NS_24const_host_device_scalarIT4_EEPKT2_PKS2_PKS4_PS4_lPiSA_PS2_21rocsparse_index_base_20rocsparse_fill_mode_20rocsparse_diag_type_b, .Lfunc_end58-_ZN9rocsparseL5csrsmILj256ELj64ELb1ElidEEv20rocsparse_operation_T3_S2_NS_24const_host_device_scalarIT4_EEPKT2_PKS2_PKS4_PS4_lPiSA_PS2_21rocsparse_index_base_20rocsparse_fill_mode_20rocsparse_diag_type_b
                                        ; -- End function
	.set _ZN9rocsparseL5csrsmILj256ELj64ELb1ElidEEv20rocsparse_operation_T3_S2_NS_24const_host_device_scalarIT4_EEPKT2_PKS2_PKS4_PS4_lPiSA_PS2_21rocsparse_index_base_20rocsparse_fill_mode_20rocsparse_diag_type_b.num_vgpr, 26
	.set _ZN9rocsparseL5csrsmILj256ELj64ELb1ElidEEv20rocsparse_operation_T3_S2_NS_24const_host_device_scalarIT4_EEPKT2_PKS2_PKS4_PS4_lPiSA_PS2_21rocsparse_index_base_20rocsparse_fill_mode_20rocsparse_diag_type_b.num_agpr, 0
	.set _ZN9rocsparseL5csrsmILj256ELj64ELb1ElidEEv20rocsparse_operation_T3_S2_NS_24const_host_device_scalarIT4_EEPKT2_PKS2_PKS4_PS4_lPiSA_PS2_21rocsparse_index_base_20rocsparse_fill_mode_20rocsparse_diag_type_b.numbered_sgpr, 30
	.set _ZN9rocsparseL5csrsmILj256ELj64ELb1ElidEEv20rocsparse_operation_T3_S2_NS_24const_host_device_scalarIT4_EEPKT2_PKS2_PKS4_PS4_lPiSA_PS2_21rocsparse_index_base_20rocsparse_fill_mode_20rocsparse_diag_type_b.num_named_barrier, 0
	.set _ZN9rocsparseL5csrsmILj256ELj64ELb1ElidEEv20rocsparse_operation_T3_S2_NS_24const_host_device_scalarIT4_EEPKT2_PKS2_PKS4_PS4_lPiSA_PS2_21rocsparse_index_base_20rocsparse_fill_mode_20rocsparse_diag_type_b.private_seg_size, 0
	.set _ZN9rocsparseL5csrsmILj256ELj64ELb1ElidEEv20rocsparse_operation_T3_S2_NS_24const_host_device_scalarIT4_EEPKT2_PKS2_PKS4_PS4_lPiSA_PS2_21rocsparse_index_base_20rocsparse_fill_mode_20rocsparse_diag_type_b.uses_vcc, 1
	.set _ZN9rocsparseL5csrsmILj256ELj64ELb1ElidEEv20rocsparse_operation_T3_S2_NS_24const_host_device_scalarIT4_EEPKT2_PKS2_PKS4_PS4_lPiSA_PS2_21rocsparse_index_base_20rocsparse_fill_mode_20rocsparse_diag_type_b.uses_flat_scratch, 0
	.set _ZN9rocsparseL5csrsmILj256ELj64ELb1ElidEEv20rocsparse_operation_T3_S2_NS_24const_host_device_scalarIT4_EEPKT2_PKS2_PKS4_PS4_lPiSA_PS2_21rocsparse_index_base_20rocsparse_fill_mode_20rocsparse_diag_type_b.has_dyn_sized_stack, 0
	.set _ZN9rocsparseL5csrsmILj256ELj64ELb1ElidEEv20rocsparse_operation_T3_S2_NS_24const_host_device_scalarIT4_EEPKT2_PKS2_PKS4_PS4_lPiSA_PS2_21rocsparse_index_base_20rocsparse_fill_mode_20rocsparse_diag_type_b.has_recursion, 0
	.set _ZN9rocsparseL5csrsmILj256ELj64ELb1ElidEEv20rocsparse_operation_T3_S2_NS_24const_host_device_scalarIT4_EEPKT2_PKS2_PKS4_PS4_lPiSA_PS2_21rocsparse_index_base_20rocsparse_fill_mode_20rocsparse_diag_type_b.has_indirect_call, 0
	.section	.AMDGPU.csdata,"",@progbits
; Kernel info:
; codeLenInByte = 1776
; TotalNumSgprs: 32
; NumVgprs: 26
; ScratchSize: 0
; MemoryBound: 0
; FloatMode: 240
; IeeeMode: 1
; LDSByteSize: 3072 bytes/workgroup (compile time only)
; SGPRBlocks: 0
; VGPRBlocks: 1
; NumSGPRsForWavesPerEU: 32
; NumVGPRsForWavesPerEU: 26
; NamedBarCnt: 0
; Occupancy: 16
; WaveLimiterHint : 1
; COMPUTE_PGM_RSRC2:SCRATCH_EN: 0
; COMPUTE_PGM_RSRC2:USER_SGPR: 2
; COMPUTE_PGM_RSRC2:TRAP_HANDLER: 0
; COMPUTE_PGM_RSRC2:TGID_X_EN: 1
; COMPUTE_PGM_RSRC2:TGID_Y_EN: 0
; COMPUTE_PGM_RSRC2:TGID_Z_EN: 0
; COMPUTE_PGM_RSRC2:TIDIG_COMP_CNT: 0
	.section	.text._ZN9rocsparseL5csrsmILj256ELj64ELb0ElidEEv20rocsparse_operation_T3_S2_NS_24const_host_device_scalarIT4_EEPKT2_PKS2_PKS4_PS4_lPiSA_PS2_21rocsparse_index_base_20rocsparse_fill_mode_20rocsparse_diag_type_b,"axG",@progbits,_ZN9rocsparseL5csrsmILj256ELj64ELb0ElidEEv20rocsparse_operation_T3_S2_NS_24const_host_device_scalarIT4_EEPKT2_PKS2_PKS4_PS4_lPiSA_PS2_21rocsparse_index_base_20rocsparse_fill_mode_20rocsparse_diag_type_b,comdat
	.globl	_ZN9rocsparseL5csrsmILj256ELj64ELb0ElidEEv20rocsparse_operation_T3_S2_NS_24const_host_device_scalarIT4_EEPKT2_PKS2_PKS4_PS4_lPiSA_PS2_21rocsparse_index_base_20rocsparse_fill_mode_20rocsparse_diag_type_b ; -- Begin function _ZN9rocsparseL5csrsmILj256ELj64ELb0ElidEEv20rocsparse_operation_T3_S2_NS_24const_host_device_scalarIT4_EEPKT2_PKS2_PKS4_PS4_lPiSA_PS2_21rocsparse_index_base_20rocsparse_fill_mode_20rocsparse_diag_type_b
	.p2align	8
	.type	_ZN9rocsparseL5csrsmILj256ELj64ELb0ElidEEv20rocsparse_operation_T3_S2_NS_24const_host_device_scalarIT4_EEPKT2_PKS2_PKS4_PS4_lPiSA_PS2_21rocsparse_index_base_20rocsparse_fill_mode_20rocsparse_diag_type_b,@function
_ZN9rocsparseL5csrsmILj256ELj64ELb0ElidEEv20rocsparse_operation_T3_S2_NS_24const_host_device_scalarIT4_EEPKT2_PKS2_PKS4_PS4_lPiSA_PS2_21rocsparse_index_base_20rocsparse_fill_mode_20rocsparse_diag_type_b: ; @_ZN9rocsparseL5csrsmILj256ELj64ELb0ElidEEv20rocsparse_operation_T3_S2_NS_24const_host_device_scalarIT4_EEPKT2_PKS2_PKS4_PS4_lPiSA_PS2_21rocsparse_index_base_20rocsparse_fill_mode_20rocsparse_diag_type_b
; %bb.0:
	s_clause 0x2
	s_load_b128 s[4:7], s[0:1], 0x58
	s_load_b128 s[12:15], s[0:1], 0x10
	s_load_b64 s[2:3], s[0:1], 0x48
	s_wait_kmcnt 0x0
	s_bitcmp1_b32 s7, 0
	v_mov_b64_e32 v[2:3], s[12:13]
	s_cselect_b32 s7, -1, 0
	s_delay_alu instid0(SALU_CYCLE_1)
	s_and_b32 vcc_lo, exec_lo, s7
	s_cbranch_vccnz .LBB59_2
; %bb.1:
	v_mov_b32_e32 v1, 0
	flat_load_b64 v[2:3], v1, s[12:13]
.LBB59_2:
	s_load_b64 s[20:21], s[0:1], 0x4
	s_bfe_u32 s9, ttmp6, 0x4000c
	s_and_b32 s8, ttmp6, 15
	s_add_co_i32 s9, s9, 1
	s_getreg_b32 s11, hwreg(HW_REG_IB_STS2, 6, 4)
	s_mul_i32 s9, ttmp9, s9
	v_mov_b64_e32 v[4:5], 0
	s_add_co_i32 s8, s8, s9
	s_wait_kmcnt 0x0
	s_cvt_f32_u32 s7, s20
	s_sub_co_i32 s10, 0, s20
	s_delay_alu instid0(SALU_CYCLE_2) | instskip(SKIP_1) | instid1(TRANS32_DEP_1)
	v_rcp_iflag_f32_e32 v1, s7
	v_nop
	v_readfirstlane_b32 s7, v1
	s_mul_f32 s7, s7, 0x4f7ffffe
	s_delay_alu instid0(SALU_CYCLE_3) | instskip(NEXT) | instid1(SALU_CYCLE_3)
	s_cvt_u32_f32 s7, s7
	s_mul_i32 s10, s10, s7
	s_delay_alu instid0(SALU_CYCLE_1) | instskip(NEXT) | instid1(SALU_CYCLE_1)
	s_mul_hi_u32 s10, s7, s10
	s_add_co_i32 s7, s7, s10
	s_cmp_eq_u32 s11, 0
	s_cselect_b32 s8, ttmp9, s8
	s_delay_alu instid0(SALU_CYCLE_1) | instskip(NEXT) | instid1(SALU_CYCLE_1)
	s_mul_hi_u32 s7, s8, s7
	s_mul_i32 s9, s7, s20
	s_add_co_i32 s10, s7, 1
	s_sub_co_i32 s9, s8, s9
	s_delay_alu instid0(SALU_CYCLE_1)
	s_sub_co_i32 s11, s9, s20
	s_cmp_ge_u32 s9, s20
	s_cselect_b32 s7, s10, s7
	s_cselect_b32 s9, s11, s9
	s_add_co_i32 s10, s7, 1
	s_cmp_ge_u32 s9, s20
	s_cselect_b32 s22, s10, s7
	s_delay_alu instid0(SALU_CYCLE_1) | instskip(SKIP_2) | instid1(SALU_CYCLE_1)
	s_mul_i32 s7, s22, s20
	v_lshl_or_b32 v6, s22, 8, v0
	s_sub_co_i32 s8, s8, s7
	s_ashr_i32 s9, s8, 31
	s_delay_alu instid0(VALU_DEP_1) | instskip(SKIP_1) | instid1(SALU_CYCLE_1)
	v_ashrrev_i32_e32 v7, 31, v6
	s_lshl_b64 s[8:9], s[8:9], 2
	s_add_nc_u64 s[2:3], s[2:3], s[8:9]
	s_load_b128 s[8:11], s[0:1], 0x30
	s_load_b32 s16, s[2:3], 0x0
	s_wait_kmcnt 0x0
	s_ashr_i32 s17, s16, 31
	s_delay_alu instid0(SALU_CYCLE_1) | instskip(NEXT) | instid1(SALU_CYCLE_1)
	s_lshl_b64 s[2:3], s[16:17], 3
	s_add_nc_u64 s[2:3], s[14:15], s[2:3]
	s_load_b64 s[18:19], s[0:1], 0x40
	s_load_b128 s[12:15], s[2:3], 0x0
	s_wait_xcnt 0x0
	v_cmp_gt_i32_e64 s2, s21, v6
	s_mul_u64 s[20:21], s[10:11], s[16:17]
	s_and_saveexec_b32 s3, s2
	s_cbranch_execz .LBB59_4
; %bb.3:
	v_add_nc_u64_e32 v[4:5], s[20:21], v[6:7]
	s_delay_alu instid0(VALU_DEP_1)
	v_lshl_add_u64 v[4:5], v[4:5], 3, s[8:9]
	global_load_b64 v[4:5], v[4:5], off
	s_wait_loadcnt_dscnt 0x0
	v_mul_f64_e32 v[4:5], v[2:3], v[4:5]
.LBB59_4:
	s_or_b32 exec_lo, exec_lo, s3
	s_wait_kmcnt 0x0
	v_cmp_ge_i64_e64 s3, s[12:13], s[14:15]
	v_mov_b64_e32 v[16:17], 1.0
	s_wait_loadcnt_dscnt 0x0
	v_lshl_add_u64 v[2:3], v[6:7], 3, s[8:9]
	s_and_b32 vcc_lo, exec_lo, s3
	v_cmp_eq_u32_e64 s3, 0, v0
	s_cbranch_vccnz .LBB59_41
; %bb.5:
	s_clause 0x1
	s_load_b128 s[24:27], s[0:1], 0x20
	s_load_b64 s[8:9], s[0:1], 0x50
	v_dual_mov_b32 v1, 0 :: v_dual_lshlrev_b32 v8, 2, v0
	v_lshlrev_b32_e32 v6, 3, v0
	s_cmp_lg_u32 s6, 0
	v_mov_b64_e32 v[12:13], 1.0
	s_delay_alu instid0(VALU_DEP_3)
	v_dual_mov_b32 v9, v1 :: v_dual_mov_b32 v7, v1
	v_or_b32_e32 v20, 0x800, v8
	s_mov_b32 s23, 0
	s_mov_b32 s22, s4
	s_wait_xcnt 0x0
	v_cmp_ne_u32_e64 s0, 0, v0
	s_cselect_b32 s17, -1, 0
	s_add_co_i32 s28, s16, s4
	s_sub_nc_u64 s[12:13], s[12:13], s[22:23]
	s_cmp_eq_u32 s6, 0
	s_sub_nc_u64 s[14:15], s[14:15], s[22:23]
	s_cselect_b32 s1, -1, 0
	s_mov_b64 s[22:23], s[12:13]
	s_wait_kmcnt 0x0
	v_add_nc_u64_e32 v[8:9], s[24:25], v[8:9]
	v_add_nc_u64_e32 v[10:11], s[26:27], v[6:7]
	s_sub_co_i32 s13, s22, s12
	s_delay_alu instid0(SALU_CYCLE_1) | instskip(NEXT) | instid1(SALU_CYCLE_1)
	s_and_b32 s13, s13, 0xff
	s_cmp_lg_u32 s13, 0
	s_cbranch_scc1 .LBB59_9
.LBB59_6:
	s_sub_nc_u64 s[24:25], s[14:15], s[22:23]
	v_mov_b64_e32 v[14:15], -1.0
	v_cmp_gt_i64_e32 vcc_lo, s[24:25], v[0:1]
	v_mov_b32_e32 v7, -1
	s_and_saveexec_b32 s24, vcc_lo
	s_cbranch_execz .LBB59_8
; %bb.7:
	v_lshl_add_u64 v[14:15], s[22:23], 2, v[8:9]
	global_load_b32 v7, v[14:15], off
	s_wait_xcnt 0x0
	v_lshl_add_u64 v[14:15], s[22:23], 3, v[10:11]
	global_load_b64 v[14:15], v[14:15], off
	s_wait_loadcnt 0x1
	v_subrev_nc_u32_e32 v7, s4, v7
.LBB59_8:
	s_wait_xcnt 0x0
	s_or_b32 exec_lo, exec_lo, s24
	ds_store_b32 v20, v7
	s_wait_loadcnt 0x0
	ds_store_b64 v6, v[14:15]
.LBB59_9:                               ; =>This Loop Header: Depth=1
                                        ;     Child Loop BB59_33 Depth 2
	s_lshl_b32 s24, s13, 3
	s_wait_dscnt 0x0
	v_mov_b32_e32 v7, s24
	s_barrier_signal -1
	s_barrier_wait -1
	s_lshl_b32 s13, s13, 2
	ds_load_b64 v[14:15], v7
	v_mov_b32_e32 v7, s13
	ds_load_b32 v7, v7 offset:2048
	s_wait_dscnt 0x1
	v_cmp_neq_f64_e32 vcc_lo, 0, v[14:15]
	s_wait_dscnt 0x0
	v_readfirstlane_b32 s24, v7
	s_cmp_lg_u32 s24, s16
	s_cselect_b32 s13, -1, 0
	s_delay_alu instid0(SALU_CYCLE_1) | instskip(NEXT) | instid1(SALU_CYCLE_1)
	s_or_b32 s13, s17, s13
	s_or_b32 vcc_lo, vcc_lo, s13
	v_cndmask_b32_e32 v15, 0x3ff00000, v15, vcc_lo
	v_cndmask_b32_e32 v14, 0, v14, vcc_lo
	s_nor_b32 s25, s0, vcc_lo
	s_delay_alu instid0(SALU_CYCLE_1)
	s_and_saveexec_b32 s13, s25
	s_cbranch_execz .LBB59_13
; %bb.10:                               ;   in Loop: Header=BB59_9 Depth=1
	v_mbcnt_lo_u32_b32 v7, exec_lo, 0
	s_mov_b32 s25, exec_lo
	s_delay_alu instid0(VALU_DEP_1)
	v_cmpx_eq_u32_e32 0, v7
	s_cbranch_execz .LBB59_12
; %bb.11:                               ;   in Loop: Header=BB59_9 Depth=1
	v_mov_b32_e32 v7, s28
	global_atomic_min_i32 v1, v7, s[8:9] scope:SCOPE_DEV
.LBB59_12:                              ;   in Loop: Header=BB59_9 Depth=1
	s_wait_xcnt 0x0
	s_or_b32 exec_lo, exec_lo, s25
	v_mov_b64_e32 v[14:15], 1.0
.LBB59_13:                              ;   in Loop: Header=BB59_9 Depth=1
	s_or_b32 exec_lo, exec_lo, s13
	s_mov_b32 s26, -1
	s_mov_b32 s13, 0
	s_cmp_lt_i32 s5, 1
	s_mov_b32 s25, 0
                                        ; implicit-def: $vgpr16_vgpr17
	s_cbranch_scc0 .LBB59_20
; %bb.14:                               ;   in Loop: Header=BB59_9 Depth=1
	s_and_b32 vcc_lo, exec_lo, s26
	s_mov_b32 s26, 4
	s_cbranch_vccnz .LBB59_25
.LBB59_15:                              ;   in Loop: Header=BB59_9 Depth=1
	v_mov_b64_e32 v[18:19], v[4:5]
	s_and_b32 vcc_lo, exec_lo, s25
	s_cbranch_vccnz .LBB59_30
.LBB59_16:                              ;   in Loop: Header=BB59_9 Depth=1
	s_and_b32 vcc_lo, exec_lo, s13
	s_cbranch_vccnz .LBB59_37
.LBB59_17:                              ;   in Loop: Header=BB59_9 Depth=1
	s_mov_b32 s13, -1
	s_cmp_gt_i32 s26, 3
	s_mov_b32 s24, -1
	s_cbranch_scc0 .LBB59_38
.LBB59_18:                              ;   in Loop: Header=BB59_9 Depth=1
	s_and_not1_b32 vcc_lo, exec_lo, s24
	s_cbranch_vccz .LBB59_39
.LBB59_19:                              ;   in Loop: Header=BB59_9 Depth=1
	s_and_not1_b32 vcc_lo, exec_lo, s13
	s_cbranch_vccnz .LBB59_40
	s_branch .LBB59_42
.LBB59_20:                              ;   in Loop: Header=BB59_9 Depth=1
	s_cmp_eq_u32 s5, 1
	s_mov_b32 s25, -1
                                        ; implicit-def: $vgpr16_vgpr17
	s_cbranch_scc0 .LBB59_24
; %bb.21:                               ;   in Loop: Header=BB59_9 Depth=1
	v_mov_b64_e32 v[16:17], v[12:13]
	s_cmp_ge_i32 s24, s16
	s_mov_b32 s25, 0
	s_cbranch_scc0 .LBB59_24
; %bb.22:                               ;   in Loop: Header=BB59_9 Depth=1
	s_cmp_eq_u32 s24, s16
	s_mov_b32 s25, -1
                                        ; implicit-def: $vgpr16_vgpr17
	s_cbranch_scc0 .LBB59_24
; %bb.23:                               ;   in Loop: Header=BB59_9 Depth=1
	v_div_scale_f64 v[16:17], null, v[14:15], v[14:15], 1.0
	v_div_scale_f64 v[24:25], vcc_lo, 1.0, v[14:15], 1.0
	s_mov_b32 s25, 0
	v_rcp_f64_e32 v[18:19], v[16:17]
	v_nop
	s_delay_alu instid0(TRANS32_DEP_1) | instskip(NEXT) | instid1(VALU_DEP_1)
	v_fma_f64 v[22:23], -v[16:17], v[18:19], 1.0
	v_fmac_f64_e32 v[18:19], v[18:19], v[22:23]
	s_delay_alu instid0(VALU_DEP_1) | instskip(NEXT) | instid1(VALU_DEP_1)
	v_fma_f64 v[22:23], -v[16:17], v[18:19], 1.0
	v_fmac_f64_e32 v[18:19], v[18:19], v[22:23]
	s_delay_alu instid0(VALU_DEP_1) | instskip(NEXT) | instid1(VALU_DEP_1)
	v_mul_f64_e32 v[22:23], v[24:25], v[18:19]
	v_fma_f64 v[16:17], -v[16:17], v[22:23], v[24:25]
	s_delay_alu instid0(VALU_DEP_1) | instskip(NEXT) | instid1(VALU_DEP_1)
	v_div_fmas_f64 v[16:17], v[16:17], v[18:19], v[22:23]
	v_div_fixup_f64 v[16:17], v[16:17], v[14:15], 1.0
	s_delay_alu instid0(VALU_DEP_1)
	v_dual_cndmask_b32 v17, v13, v17, s1 :: v_dual_cndmask_b32 v16, v12, v16, s1
.LBB59_24:                              ;   in Loop: Header=BB59_9 Depth=1
	s_mov_b32 s26, 4
	s_branch .LBB59_15
.LBB59_25:                              ;   in Loop: Header=BB59_9 Depth=1
	s_cmp_eq_u32 s5, 0
	s_cbranch_scc1 .LBB59_27
; %bb.26:                               ;   in Loop: Header=BB59_9 Depth=1
	s_mov_b32 s25, -1
	s_branch .LBB59_29
.LBB59_27:                              ;   in Loop: Header=BB59_9 Depth=1
	s_cmp_le_i32 s24, s16
	s_mov_b32 s25, 0
	s_cbranch_scc0 .LBB59_29
; %bb.28:                               ;   in Loop: Header=BB59_9 Depth=1
	s_cmp_lg_u32 s24, s16
	s_mov_b32 s13, -1
	s_cselect_b32 s25, -1, 0
.LBB59_29:                              ;   in Loop: Header=BB59_9 Depth=1
	v_mov_b64_e32 v[16:17], v[12:13]
	s_mov_b32 s26, 2
	v_mov_b64_e32 v[18:19], v[4:5]
	s_and_b32 vcc_lo, exec_lo, s25
	s_cbranch_vccz .LBB59_16
.LBB59_30:                              ;   in Loop: Header=BB59_9 Depth=1
	s_and_saveexec_b32 s13, s3
	s_cbranch_execz .LBB59_34
; %bb.31:                               ;   in Loop: Header=BB59_9 Depth=1
	s_add_co_i32 s26, s24, s7
	s_delay_alu instid0(SALU_CYCLE_1)
	v_mov_b32_e32 v7, s26
	global_load_b32 v7, v7, s[18:19] scale_offset scope:SCOPE_DEV
	s_wait_loadcnt 0x0
	v_cmp_ne_u32_e32 vcc_lo, 0, v7
	s_cbranch_vccnz .LBB59_34
; %bb.32:                               ;   in Loop: Header=BB59_9 Depth=1
	s_ashr_i32 s27, s26, 31
	s_delay_alu instid0(SALU_CYCLE_1) | instskip(NEXT) | instid1(SALU_CYCLE_1)
	s_lshl_b64 s[26:27], s[26:27], 2
	s_add_nc_u64 s[26:27], s[18:19], s[26:27]
.LBB59_33:                              ;   Parent Loop BB59_9 Depth=1
                                        ; =>  This Inner Loop Header: Depth=2
	global_load_b32 v7, v1, s[26:27] scope:SCOPE_DEV
	s_wait_loadcnt 0x0
	v_cmp_eq_u32_e32 vcc_lo, 0, v7
	s_cbranch_vccnz .LBB59_33
.LBB59_34:                              ;   in Loop: Header=BB59_9 Depth=1
	s_wait_xcnt 0x0
	s_or_b32 exec_lo, exec_lo, s13
	v_mov_b64_e32 v[18:19], 0
	s_wait_storecnt 0x0
	s_barrier_signal -1
	s_barrier_wait -1
	global_inv scope:SCOPE_DEV
	s_and_saveexec_b32 s13, s2
	s_cbranch_execz .LBB59_36
; %bb.35:                               ;   in Loop: Header=BB59_9 Depth=1
	s_ashr_i32 s25, s24, 31
	s_delay_alu instid0(SALU_CYCLE_1) | instskip(NEXT) | instid1(SALU_CYCLE_1)
	s_mul_u64 s[24:25], s[10:11], s[24:25]
	v_lshl_add_u64 v[16:17], s[24:25], 3, v[2:3]
	global_load_b64 v[16:17], v[16:17], off
	s_wait_loadcnt 0x0
	v_fma_f64 v[18:19], -v[14:15], v[16:17], v[4:5]
.LBB59_36:                              ;   in Loop: Header=BB59_9 Depth=1
	s_or_b32 exec_lo, exec_lo, s13
	v_mov_b64_e32 v[16:17], v[12:13]
	s_mov_b32 s26, 0
	s_branch .LBB59_17
.LBB59_37:                              ;   in Loop: Header=BB59_9 Depth=1
	v_div_scale_f64 v[16:17], null, v[14:15], v[14:15], 1.0
	v_div_scale_f64 v[24:25], vcc_lo, 1.0, v[14:15], 1.0
	s_mov_b32 s26, 2
	v_rcp_f64_e32 v[18:19], v[16:17]
	v_nop
	s_delay_alu instid0(TRANS32_DEP_1) | instskip(NEXT) | instid1(VALU_DEP_1)
	v_fma_f64 v[22:23], -v[16:17], v[18:19], 1.0
	v_fmac_f64_e32 v[18:19], v[18:19], v[22:23]
	s_delay_alu instid0(VALU_DEP_1) | instskip(NEXT) | instid1(VALU_DEP_1)
	v_fma_f64 v[22:23], -v[16:17], v[18:19], 1.0
	v_fmac_f64_e32 v[18:19], v[18:19], v[22:23]
	s_delay_alu instid0(VALU_DEP_1) | instskip(NEXT) | instid1(VALU_DEP_1)
	v_mul_f64_e32 v[22:23], v[24:25], v[18:19]
	v_fma_f64 v[16:17], -v[16:17], v[22:23], v[24:25]
	s_delay_alu instid0(VALU_DEP_1) | instskip(SKIP_1) | instid1(VALU_DEP_2)
	v_div_fmas_f64 v[16:17], v[16:17], v[18:19], v[22:23]
	v_mov_b64_e32 v[18:19], v[4:5]
	v_div_fixup_f64 v[14:15], v[16:17], v[14:15], 1.0
	s_delay_alu instid0(VALU_DEP_1)
	v_dual_cndmask_b32 v17, v13, v15, s1 :: v_dual_cndmask_b32 v16, v12, v14, s1
	s_mov_b32 s13, -1
	s_cmp_gt_i32 s26, 3
	s_mov_b32 s24, -1
	s_cbranch_scc1 .LBB59_18
.LBB59_38:                              ;   in Loop: Header=BB59_9 Depth=1
	s_cmp_eq_u32 s26, 0
	s_cselect_b32 s24, -1, 0
	s_delay_alu instid0(SALU_CYCLE_1)
	s_and_not1_b32 vcc_lo, exec_lo, s24
	s_cbranch_vccnz .LBB59_19
.LBB59_39:                              ;   in Loop: Header=BB59_9 Depth=1
	s_add_nc_u64 s[22:23], s[22:23], 1
	s_delay_alu instid0(SALU_CYCLE_1)
	v_cmp_ge_i64_e64 s13, s[22:23], s[14:15]
	s_and_not1_b32 vcc_lo, exec_lo, s13
	s_cbranch_vccz .LBB59_42
.LBB59_40:                              ;   in Loop: Header=BB59_9 Depth=1
	s_delay_alu instid0(VALU_DEP_1) | instskip(SKIP_2) | instid1(SALU_CYCLE_1)
	v_mov_b64_e32 v[4:5], v[18:19]
	v_mov_b64_e32 v[12:13], v[16:17]
	s_sub_co_i32 s13, s22, s12
	s_and_b32 s13, s13, 0xff
	s_delay_alu instid0(SALU_CYCLE_1)
	s_cmp_lg_u32 s13, 0
	s_cbranch_scc1 .LBB59_9
	s_branch .LBB59_6
.LBB59_41:
	v_mov_b64_e32 v[18:19], v[4:5]
.LBB59_42:
	s_and_saveexec_b32 s0, s2
	s_cbranch_execz .LBB59_44
; %bb.43:
	s_delay_alu instid0(VALU_DEP_1) | instskip(SKIP_3) | instid1(VALU_DEP_2)
	v_mul_f64_e32 v[4:5], v[16:17], v[18:19]
	s_cmp_eq_u32 s6, 0
	v_lshl_add_u64 v[2:3], s[20:21], 3, v[2:3]
	s_cselect_b32 vcc_lo, -1, 0
	v_dual_cndmask_b32 v5, v19, v5 :: v_dual_cndmask_b32 v4, v18, v4
	global_store_b64 v[2:3], v[4:5], off
.LBB59_44:
	s_wait_xcnt 0x0
	s_or_b32 exec_lo, exec_lo, s0
	global_wb scope:SCOPE_DEV
	s_wait_loadcnt 0x0
	s_wait_storecnt 0x0
	global_inv scope:SCOPE_DEV
	s_wait_loadcnt 0x0
	s_barrier_signal -1
	s_barrier_wait -1
	s_mov_b32 s0, exec_lo
	v_cmpx_eq_u32_e32 0, v0
	s_cbranch_execz .LBB59_46
; %bb.45:
	s_add_co_i32 s0, s16, s7
	s_delay_alu instid0(SALU_CYCLE_1)
	v_dual_mov_b32 v0, 1 :: v_dual_mov_b32 v1, s0
	global_store_b32 v1, v0, s[18:19] scale_offset scope:SCOPE_DEV
.LBB59_46:
	s_endpgm
	.section	.rodata,"a",@progbits
	.p2align	6, 0x0
	.amdhsa_kernel _ZN9rocsparseL5csrsmILj256ELj64ELb0ElidEEv20rocsparse_operation_T3_S2_NS_24const_host_device_scalarIT4_EEPKT2_PKS2_PKS4_PS4_lPiSA_PS2_21rocsparse_index_base_20rocsparse_fill_mode_20rocsparse_diag_type_b
		.amdhsa_group_segment_fixed_size 3072
		.amdhsa_private_segment_fixed_size 0
		.amdhsa_kernarg_size 104
		.amdhsa_user_sgpr_count 2
		.amdhsa_user_sgpr_dispatch_ptr 0
		.amdhsa_user_sgpr_queue_ptr 0
		.amdhsa_user_sgpr_kernarg_segment_ptr 1
		.amdhsa_user_sgpr_dispatch_id 0
		.amdhsa_user_sgpr_kernarg_preload_length 0
		.amdhsa_user_sgpr_kernarg_preload_offset 0
		.amdhsa_user_sgpr_private_segment_size 0
		.amdhsa_wavefront_size32 1
		.amdhsa_uses_dynamic_stack 0
		.amdhsa_enable_private_segment 0
		.amdhsa_system_sgpr_workgroup_id_x 1
		.amdhsa_system_sgpr_workgroup_id_y 0
		.amdhsa_system_sgpr_workgroup_id_z 0
		.amdhsa_system_sgpr_workgroup_info 0
		.amdhsa_system_vgpr_workitem_id 0
		.amdhsa_next_free_vgpr 26
		.amdhsa_next_free_sgpr 29
		.amdhsa_named_barrier_count 0
		.amdhsa_reserve_vcc 1
		.amdhsa_float_round_mode_32 0
		.amdhsa_float_round_mode_16_64 0
		.amdhsa_float_denorm_mode_32 3
		.amdhsa_float_denorm_mode_16_64 3
		.amdhsa_fp16_overflow 0
		.amdhsa_memory_ordered 1
		.amdhsa_forward_progress 1
		.amdhsa_inst_pref_size 14
		.amdhsa_round_robin_scheduling 0
		.amdhsa_exception_fp_ieee_invalid_op 0
		.amdhsa_exception_fp_denorm_src 0
		.amdhsa_exception_fp_ieee_div_zero 0
		.amdhsa_exception_fp_ieee_overflow 0
		.amdhsa_exception_fp_ieee_underflow 0
		.amdhsa_exception_fp_ieee_inexact 0
		.amdhsa_exception_int_div_zero 0
	.end_amdhsa_kernel
	.section	.text._ZN9rocsparseL5csrsmILj256ELj64ELb0ElidEEv20rocsparse_operation_T3_S2_NS_24const_host_device_scalarIT4_EEPKT2_PKS2_PKS4_PS4_lPiSA_PS2_21rocsparse_index_base_20rocsparse_fill_mode_20rocsparse_diag_type_b,"axG",@progbits,_ZN9rocsparseL5csrsmILj256ELj64ELb0ElidEEv20rocsparse_operation_T3_S2_NS_24const_host_device_scalarIT4_EEPKT2_PKS2_PKS4_PS4_lPiSA_PS2_21rocsparse_index_base_20rocsparse_fill_mode_20rocsparse_diag_type_b,comdat
.Lfunc_end59:
	.size	_ZN9rocsparseL5csrsmILj256ELj64ELb0ElidEEv20rocsparse_operation_T3_S2_NS_24const_host_device_scalarIT4_EEPKT2_PKS2_PKS4_PS4_lPiSA_PS2_21rocsparse_index_base_20rocsparse_fill_mode_20rocsparse_diag_type_b, .Lfunc_end59-_ZN9rocsparseL5csrsmILj256ELj64ELb0ElidEEv20rocsparse_operation_T3_S2_NS_24const_host_device_scalarIT4_EEPKT2_PKS2_PKS4_PS4_lPiSA_PS2_21rocsparse_index_base_20rocsparse_fill_mode_20rocsparse_diag_type_b
                                        ; -- End function
	.set _ZN9rocsparseL5csrsmILj256ELj64ELb0ElidEEv20rocsparse_operation_T3_S2_NS_24const_host_device_scalarIT4_EEPKT2_PKS2_PKS4_PS4_lPiSA_PS2_21rocsparse_index_base_20rocsparse_fill_mode_20rocsparse_diag_type_b.num_vgpr, 26
	.set _ZN9rocsparseL5csrsmILj256ELj64ELb0ElidEEv20rocsparse_operation_T3_S2_NS_24const_host_device_scalarIT4_EEPKT2_PKS2_PKS4_PS4_lPiSA_PS2_21rocsparse_index_base_20rocsparse_fill_mode_20rocsparse_diag_type_b.num_agpr, 0
	.set _ZN9rocsparseL5csrsmILj256ELj64ELb0ElidEEv20rocsparse_operation_T3_S2_NS_24const_host_device_scalarIT4_EEPKT2_PKS2_PKS4_PS4_lPiSA_PS2_21rocsparse_index_base_20rocsparse_fill_mode_20rocsparse_diag_type_b.numbered_sgpr, 29
	.set _ZN9rocsparseL5csrsmILj256ELj64ELb0ElidEEv20rocsparse_operation_T3_S2_NS_24const_host_device_scalarIT4_EEPKT2_PKS2_PKS4_PS4_lPiSA_PS2_21rocsparse_index_base_20rocsparse_fill_mode_20rocsparse_diag_type_b.num_named_barrier, 0
	.set _ZN9rocsparseL5csrsmILj256ELj64ELb0ElidEEv20rocsparse_operation_T3_S2_NS_24const_host_device_scalarIT4_EEPKT2_PKS2_PKS4_PS4_lPiSA_PS2_21rocsparse_index_base_20rocsparse_fill_mode_20rocsparse_diag_type_b.private_seg_size, 0
	.set _ZN9rocsparseL5csrsmILj256ELj64ELb0ElidEEv20rocsparse_operation_T3_S2_NS_24const_host_device_scalarIT4_EEPKT2_PKS2_PKS4_PS4_lPiSA_PS2_21rocsparse_index_base_20rocsparse_fill_mode_20rocsparse_diag_type_b.uses_vcc, 1
	.set _ZN9rocsparseL5csrsmILj256ELj64ELb0ElidEEv20rocsparse_operation_T3_S2_NS_24const_host_device_scalarIT4_EEPKT2_PKS2_PKS4_PS4_lPiSA_PS2_21rocsparse_index_base_20rocsparse_fill_mode_20rocsparse_diag_type_b.uses_flat_scratch, 0
	.set _ZN9rocsparseL5csrsmILj256ELj64ELb0ElidEEv20rocsparse_operation_T3_S2_NS_24const_host_device_scalarIT4_EEPKT2_PKS2_PKS4_PS4_lPiSA_PS2_21rocsparse_index_base_20rocsparse_fill_mode_20rocsparse_diag_type_b.has_dyn_sized_stack, 0
	.set _ZN9rocsparseL5csrsmILj256ELj64ELb0ElidEEv20rocsparse_operation_T3_S2_NS_24const_host_device_scalarIT4_EEPKT2_PKS2_PKS4_PS4_lPiSA_PS2_21rocsparse_index_base_20rocsparse_fill_mode_20rocsparse_diag_type_b.has_recursion, 0
	.set _ZN9rocsparseL5csrsmILj256ELj64ELb0ElidEEv20rocsparse_operation_T3_S2_NS_24const_host_device_scalarIT4_EEPKT2_PKS2_PKS4_PS4_lPiSA_PS2_21rocsparse_index_base_20rocsparse_fill_mode_20rocsparse_diag_type_b.has_indirect_call, 0
	.section	.AMDGPU.csdata,"",@progbits
; Kernel info:
; codeLenInByte = 1712
; TotalNumSgprs: 31
; NumVgprs: 26
; ScratchSize: 0
; MemoryBound: 0
; FloatMode: 240
; IeeeMode: 1
; LDSByteSize: 3072 bytes/workgroup (compile time only)
; SGPRBlocks: 0
; VGPRBlocks: 1
; NumSGPRsForWavesPerEU: 31
; NumVGPRsForWavesPerEU: 26
; NamedBarCnt: 0
; Occupancy: 16
; WaveLimiterHint : 1
; COMPUTE_PGM_RSRC2:SCRATCH_EN: 0
; COMPUTE_PGM_RSRC2:USER_SGPR: 2
; COMPUTE_PGM_RSRC2:TRAP_HANDLER: 0
; COMPUTE_PGM_RSRC2:TGID_X_EN: 1
; COMPUTE_PGM_RSRC2:TGID_Y_EN: 0
; COMPUTE_PGM_RSRC2:TGID_Z_EN: 0
; COMPUTE_PGM_RSRC2:TIDIG_COMP_CNT: 0
	.section	.text._ZN9rocsparseL5csrsmILj512ELj64ELb1ElidEEv20rocsparse_operation_T3_S2_NS_24const_host_device_scalarIT4_EEPKT2_PKS2_PKS4_PS4_lPiSA_PS2_21rocsparse_index_base_20rocsparse_fill_mode_20rocsparse_diag_type_b,"axG",@progbits,_ZN9rocsparseL5csrsmILj512ELj64ELb1ElidEEv20rocsparse_operation_T3_S2_NS_24const_host_device_scalarIT4_EEPKT2_PKS2_PKS4_PS4_lPiSA_PS2_21rocsparse_index_base_20rocsparse_fill_mode_20rocsparse_diag_type_b,comdat
	.globl	_ZN9rocsparseL5csrsmILj512ELj64ELb1ElidEEv20rocsparse_operation_T3_S2_NS_24const_host_device_scalarIT4_EEPKT2_PKS2_PKS4_PS4_lPiSA_PS2_21rocsparse_index_base_20rocsparse_fill_mode_20rocsparse_diag_type_b ; -- Begin function _ZN9rocsparseL5csrsmILj512ELj64ELb1ElidEEv20rocsparse_operation_T3_S2_NS_24const_host_device_scalarIT4_EEPKT2_PKS2_PKS4_PS4_lPiSA_PS2_21rocsparse_index_base_20rocsparse_fill_mode_20rocsparse_diag_type_b
	.p2align	8
	.type	_ZN9rocsparseL5csrsmILj512ELj64ELb1ElidEEv20rocsparse_operation_T3_S2_NS_24const_host_device_scalarIT4_EEPKT2_PKS2_PKS4_PS4_lPiSA_PS2_21rocsparse_index_base_20rocsparse_fill_mode_20rocsparse_diag_type_b,@function
_ZN9rocsparseL5csrsmILj512ELj64ELb1ElidEEv20rocsparse_operation_T3_S2_NS_24const_host_device_scalarIT4_EEPKT2_PKS2_PKS4_PS4_lPiSA_PS2_21rocsparse_index_base_20rocsparse_fill_mode_20rocsparse_diag_type_b: ; @_ZN9rocsparseL5csrsmILj512ELj64ELb1ElidEEv20rocsparse_operation_T3_S2_NS_24const_host_device_scalarIT4_EEPKT2_PKS2_PKS4_PS4_lPiSA_PS2_21rocsparse_index_base_20rocsparse_fill_mode_20rocsparse_diag_type_b
; %bb.0:
	s_clause 0x2
	s_load_b128 s[4:7], s[0:1], 0x58
	s_load_b128 s[12:15], s[0:1], 0x10
	s_load_b64 s[2:3], s[0:1], 0x48
	s_wait_kmcnt 0x0
	s_bitcmp1_b32 s7, 0
	v_mov_b64_e32 v[2:3], s[12:13]
	s_cselect_b32 s7, -1, 0
	s_delay_alu instid0(SALU_CYCLE_1)
	s_and_b32 vcc_lo, exec_lo, s7
	s_cbranch_vccnz .LBB60_2
; %bb.1:
	v_mov_b32_e32 v1, 0
	flat_load_b64 v[2:3], v1, s[12:13]
.LBB60_2:
	s_load_b64 s[20:21], s[0:1], 0x4
	s_bfe_u32 s9, ttmp6, 0x4000c
	s_and_b32 s8, ttmp6, 15
	s_add_co_i32 s9, s9, 1
	s_getreg_b32 s11, hwreg(HW_REG_IB_STS2, 6, 4)
	s_mul_i32 s9, ttmp9, s9
	v_mov_b64_e32 v[4:5], 0
	s_add_co_i32 s8, s8, s9
	s_wait_kmcnt 0x0
	s_cvt_f32_u32 s7, s20
	s_sub_co_i32 s10, 0, s20
	s_delay_alu instid0(SALU_CYCLE_2) | instskip(SKIP_1) | instid1(TRANS32_DEP_1)
	v_rcp_iflag_f32_e32 v1, s7
	v_nop
	v_readfirstlane_b32 s7, v1
	s_mul_f32 s7, s7, 0x4f7ffffe
	s_delay_alu instid0(SALU_CYCLE_3) | instskip(NEXT) | instid1(SALU_CYCLE_3)
	s_cvt_u32_f32 s7, s7
	s_mul_i32 s10, s10, s7
	s_delay_alu instid0(SALU_CYCLE_1) | instskip(NEXT) | instid1(SALU_CYCLE_1)
	s_mul_hi_u32 s10, s7, s10
	s_add_co_i32 s7, s7, s10
	s_cmp_eq_u32 s11, 0
	s_cselect_b32 s8, ttmp9, s8
	s_delay_alu instid0(SALU_CYCLE_1) | instskip(NEXT) | instid1(SALU_CYCLE_1)
	s_mul_hi_u32 s7, s8, s7
	s_mul_i32 s9, s7, s20
	s_add_co_i32 s10, s7, 1
	s_sub_co_i32 s9, s8, s9
	s_delay_alu instid0(SALU_CYCLE_1)
	s_sub_co_i32 s11, s9, s20
	s_cmp_ge_u32 s9, s20
	s_cselect_b32 s7, s10, s7
	s_cselect_b32 s9, s11, s9
	s_add_co_i32 s10, s7, 1
	s_cmp_ge_u32 s9, s20
	s_cselect_b32 s22, s10, s7
	s_delay_alu instid0(SALU_CYCLE_1) | instskip(SKIP_2) | instid1(SALU_CYCLE_1)
	s_mul_i32 s7, s22, s20
	v_lshl_or_b32 v6, s22, 9, v0
	s_sub_co_i32 s8, s8, s7
	s_ashr_i32 s9, s8, 31
	s_delay_alu instid0(VALU_DEP_1) | instskip(SKIP_1) | instid1(SALU_CYCLE_1)
	v_ashrrev_i32_e32 v7, 31, v6
	s_lshl_b64 s[8:9], s[8:9], 2
	s_add_nc_u64 s[2:3], s[2:3], s[8:9]
	s_load_b128 s[8:11], s[0:1], 0x30
	s_load_b32 s16, s[2:3], 0x0
	s_wait_kmcnt 0x0
	s_ashr_i32 s17, s16, 31
	s_delay_alu instid0(SALU_CYCLE_1) | instskip(NEXT) | instid1(SALU_CYCLE_1)
	s_lshl_b64 s[2:3], s[16:17], 3
	s_add_nc_u64 s[2:3], s[14:15], s[2:3]
	s_load_b64 s[18:19], s[0:1], 0x40
	s_load_b128 s[12:15], s[2:3], 0x0
	s_wait_xcnt 0x0
	v_cmp_gt_i32_e64 s2, s21, v6
	s_mul_u64 s[20:21], s[10:11], s[16:17]
	s_and_saveexec_b32 s3, s2
	s_cbranch_execz .LBB60_4
; %bb.3:
	v_add_nc_u64_e32 v[4:5], s[20:21], v[6:7]
	s_delay_alu instid0(VALU_DEP_1)
	v_lshl_add_u64 v[4:5], v[4:5], 3, s[8:9]
	global_load_b64 v[4:5], v[4:5], off
	s_wait_loadcnt_dscnt 0x0
	v_mul_f64_e32 v[4:5], v[2:3], v[4:5]
.LBB60_4:
	s_or_b32 exec_lo, exec_lo, s3
	s_wait_kmcnt 0x0
	v_cmp_ge_i64_e64 s3, s[12:13], s[14:15]
	v_mov_b64_e32 v[16:17], 1.0
	s_wait_loadcnt_dscnt 0x0
	v_lshl_add_u64 v[2:3], v[6:7], 3, s[8:9]
	s_and_b32 vcc_lo, exec_lo, s3
	v_cmp_eq_u32_e64 s3, 0, v0
	s_cbranch_vccnz .LBB60_43
; %bb.5:
	s_clause 0x1
	s_load_b128 s[24:27], s[0:1], 0x20
	s_load_b64 s[8:9], s[0:1], 0x50
	v_dual_mov_b32 v1, 0 :: v_dual_lshlrev_b32 v8, 2, v0
	v_lshlrev_b32_e32 v6, 3, v0
	s_cmp_lg_u32 s6, 0
	v_mov_b64_e32 v[12:13], 1.0
	s_delay_alu instid0(VALU_DEP_3)
	v_dual_mov_b32 v9, v1 :: v_dual_mov_b32 v7, v1
	v_or_b32_e32 v20, 0x1000, v8
	s_mov_b32 s23, 0
	s_mov_b32 s22, s4
	s_wait_xcnt 0x0
	v_cmp_ne_u32_e64 s0, 0, v0
	s_cselect_b32 s17, -1, 0
	s_add_co_i32 s28, s16, s4
	s_sub_nc_u64 s[12:13], s[12:13], s[22:23]
	s_cmp_eq_u32 s6, 0
	s_sub_nc_u64 s[14:15], s[14:15], s[22:23]
	s_cselect_b32 s1, -1, 0
	s_mov_b64 s[22:23], s[12:13]
	s_wait_kmcnt 0x0
	v_add_nc_u64_e32 v[8:9], s[24:25], v[8:9]
	v_add_nc_u64_e32 v[10:11], s[26:27], v[6:7]
	s_sub_co_i32 s13, s22, s12
	s_delay_alu instid0(SALU_CYCLE_1) | instskip(NEXT) | instid1(SALU_CYCLE_1)
	s_and_b32 s13, s13, 0x1ff
	s_cmp_lg_u32 s13, 0
	s_cbranch_scc1 .LBB60_9
.LBB60_6:
	s_sub_nc_u64 s[24:25], s[14:15], s[22:23]
	v_mov_b64_e32 v[14:15], -1.0
	v_cmp_gt_i64_e32 vcc_lo, s[24:25], v[0:1]
	v_mov_b32_e32 v7, -1
	s_and_saveexec_b32 s24, vcc_lo
	s_cbranch_execz .LBB60_8
; %bb.7:
	v_lshl_add_u64 v[14:15], s[22:23], 2, v[8:9]
	global_load_b32 v7, v[14:15], off
	s_wait_xcnt 0x0
	v_lshl_add_u64 v[14:15], s[22:23], 3, v[10:11]
	global_load_b64 v[14:15], v[14:15], off
	s_wait_loadcnt 0x1
	v_subrev_nc_u32_e32 v7, s4, v7
.LBB60_8:
	s_wait_xcnt 0x0
	s_or_b32 exec_lo, exec_lo, s24
	ds_store_b32 v20, v7
	s_wait_loadcnt 0x0
	ds_store_b64 v6, v[14:15]
.LBB60_9:                               ; =>This Loop Header: Depth=1
                                        ;     Child Loop BB60_41 Depth 2
                                        ;       Child Loop BB60_42 Depth 3
	s_lshl_b32 s24, s13, 3
	s_wait_dscnt 0x0
	v_mov_b32_e32 v7, s24
	s_barrier_signal -1
	s_barrier_wait -1
	s_lshl_b32 s13, s13, 2
	ds_load_b64 v[14:15], v7
	v_mov_b32_e32 v7, s13
	ds_load_b32 v7, v7 offset:4096
	s_wait_dscnt 0x1
	v_cmp_neq_f64_e32 vcc_lo, 0, v[14:15]
	s_wait_dscnt 0x0
	v_readfirstlane_b32 s24, v7
	s_cmp_lg_u32 s24, s16
	s_cselect_b32 s13, -1, 0
	s_delay_alu instid0(SALU_CYCLE_1) | instskip(NEXT) | instid1(SALU_CYCLE_1)
	s_or_b32 s13, s17, s13
	s_or_b32 vcc_lo, vcc_lo, s13
	v_cndmask_b32_e32 v15, 0x3ff00000, v15, vcc_lo
	v_cndmask_b32_e32 v14, 0, v14, vcc_lo
	s_nor_b32 s25, s0, vcc_lo
	s_delay_alu instid0(SALU_CYCLE_1)
	s_and_saveexec_b32 s13, s25
	s_cbranch_execz .LBB60_13
; %bb.10:                               ;   in Loop: Header=BB60_9 Depth=1
	v_mbcnt_lo_u32_b32 v7, exec_lo, 0
	s_mov_b32 s25, exec_lo
	s_delay_alu instid0(VALU_DEP_1)
	v_cmpx_eq_u32_e32 0, v7
	s_cbranch_execz .LBB60_12
; %bb.11:                               ;   in Loop: Header=BB60_9 Depth=1
	v_mov_b32_e32 v7, s28
	global_atomic_min_i32 v1, v7, s[8:9] scope:SCOPE_DEV
.LBB60_12:                              ;   in Loop: Header=BB60_9 Depth=1
	s_wait_xcnt 0x0
	s_or_b32 exec_lo, exec_lo, s25
	v_mov_b64_e32 v[14:15], 1.0
.LBB60_13:                              ;   in Loop: Header=BB60_9 Depth=1
	s_or_b32 exec_lo, exec_lo, s13
	s_mov_b32 s26, -1
	s_mov_b32 s13, 0
	s_cmp_lt_i32 s5, 1
	s_mov_b32 s25, 0
                                        ; implicit-def: $vgpr16_vgpr17
	s_cbranch_scc0 .LBB60_20
; %bb.14:                               ;   in Loop: Header=BB60_9 Depth=1
	s_and_b32 vcc_lo, exec_lo, s26
	s_mov_b32 s26, 4
	s_cbranch_vccnz .LBB60_25
.LBB60_15:                              ;   in Loop: Header=BB60_9 Depth=1
	v_mov_b64_e32 v[18:19], v[4:5]
	s_and_b32 vcc_lo, exec_lo, s25
	s_cbranch_vccnz .LBB60_30
.LBB60_16:                              ;   in Loop: Header=BB60_9 Depth=1
	s_and_b32 vcc_lo, exec_lo, s13
	s_cbranch_vccnz .LBB60_35
.LBB60_17:                              ;   in Loop: Header=BB60_9 Depth=1
	s_mov_b32 s13, -1
	s_cmp_gt_i32 s26, 3
	s_mov_b32 s24, -1
	s_cbranch_scc0 .LBB60_36
.LBB60_18:                              ;   in Loop: Header=BB60_9 Depth=1
	s_and_not1_b32 vcc_lo, exec_lo, s24
	s_cbranch_vccz .LBB60_37
.LBB60_19:                              ;   in Loop: Header=BB60_9 Depth=1
	s_and_not1_b32 vcc_lo, exec_lo, s13
	s_cbranch_vccnz .LBB60_38
	s_branch .LBB60_44
.LBB60_20:                              ;   in Loop: Header=BB60_9 Depth=1
	s_cmp_eq_u32 s5, 1
	s_mov_b32 s25, -1
                                        ; implicit-def: $vgpr16_vgpr17
	s_cbranch_scc0 .LBB60_24
; %bb.21:                               ;   in Loop: Header=BB60_9 Depth=1
	v_mov_b64_e32 v[16:17], v[12:13]
	s_cmp_ge_i32 s24, s16
	s_mov_b32 s25, 0
	s_cbranch_scc0 .LBB60_24
; %bb.22:                               ;   in Loop: Header=BB60_9 Depth=1
	s_cmp_eq_u32 s24, s16
	s_mov_b32 s25, -1
                                        ; implicit-def: $vgpr16_vgpr17
	s_cbranch_scc0 .LBB60_24
; %bb.23:                               ;   in Loop: Header=BB60_9 Depth=1
	v_div_scale_f64 v[16:17], null, v[14:15], v[14:15], 1.0
	v_div_scale_f64 v[24:25], vcc_lo, 1.0, v[14:15], 1.0
	s_mov_b32 s25, 0
	v_rcp_f64_e32 v[18:19], v[16:17]
	v_nop
	s_delay_alu instid0(TRANS32_DEP_1) | instskip(NEXT) | instid1(VALU_DEP_1)
	v_fma_f64 v[22:23], -v[16:17], v[18:19], 1.0
	v_fmac_f64_e32 v[18:19], v[18:19], v[22:23]
	s_delay_alu instid0(VALU_DEP_1) | instskip(NEXT) | instid1(VALU_DEP_1)
	v_fma_f64 v[22:23], -v[16:17], v[18:19], 1.0
	v_fmac_f64_e32 v[18:19], v[18:19], v[22:23]
	s_delay_alu instid0(VALU_DEP_1) | instskip(NEXT) | instid1(VALU_DEP_1)
	v_mul_f64_e32 v[22:23], v[24:25], v[18:19]
	v_fma_f64 v[16:17], -v[16:17], v[22:23], v[24:25]
	s_delay_alu instid0(VALU_DEP_1) | instskip(NEXT) | instid1(VALU_DEP_1)
	v_div_fmas_f64 v[16:17], v[16:17], v[18:19], v[22:23]
	v_div_fixup_f64 v[16:17], v[16:17], v[14:15], 1.0
	s_delay_alu instid0(VALU_DEP_1)
	v_dual_cndmask_b32 v17, v13, v17, s1 :: v_dual_cndmask_b32 v16, v12, v16, s1
.LBB60_24:                              ;   in Loop: Header=BB60_9 Depth=1
	s_mov_b32 s26, 4
	s_branch .LBB60_15
.LBB60_25:                              ;   in Loop: Header=BB60_9 Depth=1
	s_cmp_eq_u32 s5, 0
	s_cbranch_scc1 .LBB60_27
; %bb.26:                               ;   in Loop: Header=BB60_9 Depth=1
	s_mov_b32 s25, -1
	s_branch .LBB60_29
.LBB60_27:                              ;   in Loop: Header=BB60_9 Depth=1
	s_cmp_le_i32 s24, s16
	s_mov_b32 s25, 0
	s_cbranch_scc0 .LBB60_29
; %bb.28:                               ;   in Loop: Header=BB60_9 Depth=1
	s_cmp_lg_u32 s24, s16
	s_mov_b32 s13, -1
	s_cselect_b32 s25, -1, 0
.LBB60_29:                              ;   in Loop: Header=BB60_9 Depth=1
	v_mov_b64_e32 v[16:17], v[12:13]
	s_mov_b32 s26, 2
	v_mov_b64_e32 v[18:19], v[4:5]
	s_and_b32 vcc_lo, exec_lo, s25
	s_cbranch_vccz .LBB60_16
.LBB60_30:                              ;   in Loop: Header=BB60_9 Depth=1
	s_and_saveexec_b32 s13, s3
	s_cbranch_execz .LBB60_32
; %bb.31:                               ;   in Loop: Header=BB60_9 Depth=1
	s_add_co_i32 s26, s24, s7
	s_delay_alu instid0(SALU_CYCLE_1)
	v_mov_b32_e32 v7, s26
	global_load_b32 v7, v7, s[18:19] scale_offset scope:SCOPE_DEV
	s_wait_loadcnt 0x0
	v_cmp_ne_u32_e32 vcc_lo, 0, v7
	s_cbranch_vccz .LBB60_39
.LBB60_32:                              ;   in Loop: Header=BB60_9 Depth=1
	s_wait_xcnt 0x0
	s_or_b32 exec_lo, exec_lo, s13
	v_mov_b64_e32 v[18:19], 0
	s_wait_storecnt 0x0
	s_barrier_signal -1
	s_barrier_wait -1
	global_inv scope:SCOPE_DEV
	s_and_saveexec_b32 s13, s2
	s_cbranch_execz .LBB60_34
; %bb.33:                               ;   in Loop: Header=BB60_9 Depth=1
	s_ashr_i32 s25, s24, 31
	s_delay_alu instid0(SALU_CYCLE_1) | instskip(NEXT) | instid1(SALU_CYCLE_1)
	s_mul_u64 s[24:25], s[10:11], s[24:25]
	v_lshl_add_u64 v[16:17], s[24:25], 3, v[2:3]
	global_load_b64 v[16:17], v[16:17], off
	s_wait_loadcnt 0x0
	v_fma_f64 v[18:19], -v[14:15], v[16:17], v[4:5]
.LBB60_34:                              ;   in Loop: Header=BB60_9 Depth=1
	s_or_b32 exec_lo, exec_lo, s13
	v_mov_b64_e32 v[16:17], v[12:13]
	s_mov_b32 s26, 0
	s_branch .LBB60_17
.LBB60_35:                              ;   in Loop: Header=BB60_9 Depth=1
	v_div_scale_f64 v[16:17], null, v[14:15], v[14:15], 1.0
	v_div_scale_f64 v[24:25], vcc_lo, 1.0, v[14:15], 1.0
	s_mov_b32 s26, 2
	v_rcp_f64_e32 v[18:19], v[16:17]
	v_nop
	s_delay_alu instid0(TRANS32_DEP_1) | instskip(NEXT) | instid1(VALU_DEP_1)
	v_fma_f64 v[22:23], -v[16:17], v[18:19], 1.0
	v_fmac_f64_e32 v[18:19], v[18:19], v[22:23]
	s_delay_alu instid0(VALU_DEP_1) | instskip(NEXT) | instid1(VALU_DEP_1)
	v_fma_f64 v[22:23], -v[16:17], v[18:19], 1.0
	v_fmac_f64_e32 v[18:19], v[18:19], v[22:23]
	s_delay_alu instid0(VALU_DEP_1) | instskip(NEXT) | instid1(VALU_DEP_1)
	v_mul_f64_e32 v[22:23], v[24:25], v[18:19]
	v_fma_f64 v[16:17], -v[16:17], v[22:23], v[24:25]
	s_delay_alu instid0(VALU_DEP_1) | instskip(SKIP_1) | instid1(VALU_DEP_2)
	v_div_fmas_f64 v[16:17], v[16:17], v[18:19], v[22:23]
	v_mov_b64_e32 v[18:19], v[4:5]
	v_div_fixup_f64 v[14:15], v[16:17], v[14:15], 1.0
	s_delay_alu instid0(VALU_DEP_1)
	v_dual_cndmask_b32 v17, v13, v15, s1 :: v_dual_cndmask_b32 v16, v12, v14, s1
	s_mov_b32 s13, -1
	s_cmp_gt_i32 s26, 3
	s_mov_b32 s24, -1
	s_cbranch_scc1 .LBB60_18
.LBB60_36:                              ;   in Loop: Header=BB60_9 Depth=1
	s_cmp_eq_u32 s26, 0
	s_cselect_b32 s24, -1, 0
	s_delay_alu instid0(SALU_CYCLE_1)
	s_and_not1_b32 vcc_lo, exec_lo, s24
	s_cbranch_vccnz .LBB60_19
.LBB60_37:                              ;   in Loop: Header=BB60_9 Depth=1
	s_add_nc_u64 s[22:23], s[22:23], 1
	s_delay_alu instid0(SALU_CYCLE_1)
	v_cmp_ge_i64_e64 s13, s[22:23], s[14:15]
	s_and_not1_b32 vcc_lo, exec_lo, s13
	s_cbranch_vccz .LBB60_44
.LBB60_38:                              ;   in Loop: Header=BB60_9 Depth=1
	s_delay_alu instid0(VALU_DEP_1) | instskip(SKIP_2) | instid1(SALU_CYCLE_1)
	v_mov_b64_e32 v[4:5], v[18:19]
	v_mov_b64_e32 v[12:13], v[16:17]
	s_sub_co_i32 s13, s22, s12
	s_and_b32 s13, s13, 0x1ff
	s_delay_alu instid0(SALU_CYCLE_1)
	s_cmp_lg_u32 s13, 0
	s_cbranch_scc1 .LBB60_9
	s_branch .LBB60_6
.LBB60_39:                              ;   in Loop: Header=BB60_9 Depth=1
	s_ashr_i32 s27, s26, 31
	s_mov_b32 s25, 0
	s_lshl_b64 s[26:27], s[26:27], 2
	s_delay_alu instid0(SALU_CYCLE_1)
	s_add_nc_u64 s[26:27], s[18:19], s[26:27]
	s_branch .LBB60_41
.LBB60_40:                              ;   in Loop: Header=BB60_41 Depth=2
	global_load_b32 v7, v1, s[26:27] scope:SCOPE_DEV
	s_cmp_lt_u32 s25, 0xf43
	s_cselect_b32 s29, -1, 0
	s_delay_alu instid0(SALU_CYCLE_1)
	s_cmp_lg_u32 s29, 0
	s_add_co_ci_u32 s25, s25, 0
	s_wait_loadcnt 0x0
	v_cmp_ne_u32_e32 vcc_lo, 0, v7
	s_cbranch_vccnz .LBB60_32
.LBB60_41:                              ;   Parent Loop BB60_9 Depth=1
                                        ; =>  This Loop Header: Depth=2
                                        ;       Child Loop BB60_42 Depth 3
	s_cmp_eq_u32 s25, 0
	s_mov_b32 s29, s25
	s_cbranch_scc1 .LBB60_40
.LBB60_42:                              ;   Parent Loop BB60_9 Depth=1
                                        ;     Parent Loop BB60_41 Depth=2
                                        ; =>    This Inner Loop Header: Depth=3
	s_add_co_i32 s29, s29, -1
	s_sleep 1
	s_cmp_eq_u32 s29, 0
	s_cbranch_scc0 .LBB60_42
	s_branch .LBB60_40
.LBB60_43:
	v_mov_b64_e32 v[18:19], v[4:5]
.LBB60_44:
	s_and_saveexec_b32 s0, s2
	s_cbranch_execz .LBB60_46
; %bb.45:
	s_delay_alu instid0(VALU_DEP_1) | instskip(SKIP_3) | instid1(VALU_DEP_2)
	v_mul_f64_e32 v[4:5], v[16:17], v[18:19]
	s_cmp_eq_u32 s6, 0
	v_lshl_add_u64 v[2:3], s[20:21], 3, v[2:3]
	s_cselect_b32 vcc_lo, -1, 0
	v_dual_cndmask_b32 v5, v19, v5 :: v_dual_cndmask_b32 v4, v18, v4
	global_store_b64 v[2:3], v[4:5], off
.LBB60_46:
	s_wait_xcnt 0x0
	s_or_b32 exec_lo, exec_lo, s0
	global_wb scope:SCOPE_DEV
	s_wait_loadcnt 0x0
	s_wait_storecnt 0x0
	global_inv scope:SCOPE_DEV
	s_wait_loadcnt 0x0
	s_barrier_signal -1
	s_barrier_wait -1
	s_mov_b32 s0, exec_lo
	v_cmpx_eq_u32_e32 0, v0
	s_cbranch_execz .LBB60_48
; %bb.47:
	s_add_co_i32 s0, s16, s7
	s_delay_alu instid0(SALU_CYCLE_1)
	v_dual_mov_b32 v0, 1 :: v_dual_mov_b32 v1, s0
	global_store_b32 v1, v0, s[18:19] scale_offset scope:SCOPE_DEV
.LBB60_48:
	s_endpgm
	.section	.rodata,"a",@progbits
	.p2align	6, 0x0
	.amdhsa_kernel _ZN9rocsparseL5csrsmILj512ELj64ELb1ElidEEv20rocsparse_operation_T3_S2_NS_24const_host_device_scalarIT4_EEPKT2_PKS2_PKS4_PS4_lPiSA_PS2_21rocsparse_index_base_20rocsparse_fill_mode_20rocsparse_diag_type_b
		.amdhsa_group_segment_fixed_size 6144
		.amdhsa_private_segment_fixed_size 0
		.amdhsa_kernarg_size 104
		.amdhsa_user_sgpr_count 2
		.amdhsa_user_sgpr_dispatch_ptr 0
		.amdhsa_user_sgpr_queue_ptr 0
		.amdhsa_user_sgpr_kernarg_segment_ptr 1
		.amdhsa_user_sgpr_dispatch_id 0
		.amdhsa_user_sgpr_kernarg_preload_length 0
		.amdhsa_user_sgpr_kernarg_preload_offset 0
		.amdhsa_user_sgpr_private_segment_size 0
		.amdhsa_wavefront_size32 1
		.amdhsa_uses_dynamic_stack 0
		.amdhsa_enable_private_segment 0
		.amdhsa_system_sgpr_workgroup_id_x 1
		.amdhsa_system_sgpr_workgroup_id_y 0
		.amdhsa_system_sgpr_workgroup_id_z 0
		.amdhsa_system_sgpr_workgroup_info 0
		.amdhsa_system_vgpr_workitem_id 0
		.amdhsa_next_free_vgpr 26
		.amdhsa_next_free_sgpr 30
		.amdhsa_named_barrier_count 0
		.amdhsa_reserve_vcc 1
		.amdhsa_float_round_mode_32 0
		.amdhsa_float_round_mode_16_64 0
		.amdhsa_float_denorm_mode_32 3
		.amdhsa_float_denorm_mode_16_64 3
		.amdhsa_fp16_overflow 0
		.amdhsa_memory_ordered 1
		.amdhsa_forward_progress 1
		.amdhsa_inst_pref_size 14
		.amdhsa_round_robin_scheduling 0
		.amdhsa_exception_fp_ieee_invalid_op 0
		.amdhsa_exception_fp_denorm_src 0
		.amdhsa_exception_fp_ieee_div_zero 0
		.amdhsa_exception_fp_ieee_overflow 0
		.amdhsa_exception_fp_ieee_underflow 0
		.amdhsa_exception_fp_ieee_inexact 0
		.amdhsa_exception_int_div_zero 0
	.end_amdhsa_kernel
	.section	.text._ZN9rocsparseL5csrsmILj512ELj64ELb1ElidEEv20rocsparse_operation_T3_S2_NS_24const_host_device_scalarIT4_EEPKT2_PKS2_PKS4_PS4_lPiSA_PS2_21rocsparse_index_base_20rocsparse_fill_mode_20rocsparse_diag_type_b,"axG",@progbits,_ZN9rocsparseL5csrsmILj512ELj64ELb1ElidEEv20rocsparse_operation_T3_S2_NS_24const_host_device_scalarIT4_EEPKT2_PKS2_PKS4_PS4_lPiSA_PS2_21rocsparse_index_base_20rocsparse_fill_mode_20rocsparse_diag_type_b,comdat
.Lfunc_end60:
	.size	_ZN9rocsparseL5csrsmILj512ELj64ELb1ElidEEv20rocsparse_operation_T3_S2_NS_24const_host_device_scalarIT4_EEPKT2_PKS2_PKS4_PS4_lPiSA_PS2_21rocsparse_index_base_20rocsparse_fill_mode_20rocsparse_diag_type_b, .Lfunc_end60-_ZN9rocsparseL5csrsmILj512ELj64ELb1ElidEEv20rocsparse_operation_T3_S2_NS_24const_host_device_scalarIT4_EEPKT2_PKS2_PKS4_PS4_lPiSA_PS2_21rocsparse_index_base_20rocsparse_fill_mode_20rocsparse_diag_type_b
                                        ; -- End function
	.set _ZN9rocsparseL5csrsmILj512ELj64ELb1ElidEEv20rocsparse_operation_T3_S2_NS_24const_host_device_scalarIT4_EEPKT2_PKS2_PKS4_PS4_lPiSA_PS2_21rocsparse_index_base_20rocsparse_fill_mode_20rocsparse_diag_type_b.num_vgpr, 26
	.set _ZN9rocsparseL5csrsmILj512ELj64ELb1ElidEEv20rocsparse_operation_T3_S2_NS_24const_host_device_scalarIT4_EEPKT2_PKS2_PKS4_PS4_lPiSA_PS2_21rocsparse_index_base_20rocsparse_fill_mode_20rocsparse_diag_type_b.num_agpr, 0
	.set _ZN9rocsparseL5csrsmILj512ELj64ELb1ElidEEv20rocsparse_operation_T3_S2_NS_24const_host_device_scalarIT4_EEPKT2_PKS2_PKS4_PS4_lPiSA_PS2_21rocsparse_index_base_20rocsparse_fill_mode_20rocsparse_diag_type_b.numbered_sgpr, 30
	.set _ZN9rocsparseL5csrsmILj512ELj64ELb1ElidEEv20rocsparse_operation_T3_S2_NS_24const_host_device_scalarIT4_EEPKT2_PKS2_PKS4_PS4_lPiSA_PS2_21rocsparse_index_base_20rocsparse_fill_mode_20rocsparse_diag_type_b.num_named_barrier, 0
	.set _ZN9rocsparseL5csrsmILj512ELj64ELb1ElidEEv20rocsparse_operation_T3_S2_NS_24const_host_device_scalarIT4_EEPKT2_PKS2_PKS4_PS4_lPiSA_PS2_21rocsparse_index_base_20rocsparse_fill_mode_20rocsparse_diag_type_b.private_seg_size, 0
	.set _ZN9rocsparseL5csrsmILj512ELj64ELb1ElidEEv20rocsparse_operation_T3_S2_NS_24const_host_device_scalarIT4_EEPKT2_PKS2_PKS4_PS4_lPiSA_PS2_21rocsparse_index_base_20rocsparse_fill_mode_20rocsparse_diag_type_b.uses_vcc, 1
	.set _ZN9rocsparseL5csrsmILj512ELj64ELb1ElidEEv20rocsparse_operation_T3_S2_NS_24const_host_device_scalarIT4_EEPKT2_PKS2_PKS4_PS4_lPiSA_PS2_21rocsparse_index_base_20rocsparse_fill_mode_20rocsparse_diag_type_b.uses_flat_scratch, 0
	.set _ZN9rocsparseL5csrsmILj512ELj64ELb1ElidEEv20rocsparse_operation_T3_S2_NS_24const_host_device_scalarIT4_EEPKT2_PKS2_PKS4_PS4_lPiSA_PS2_21rocsparse_index_base_20rocsparse_fill_mode_20rocsparse_diag_type_b.has_dyn_sized_stack, 0
	.set _ZN9rocsparseL5csrsmILj512ELj64ELb1ElidEEv20rocsparse_operation_T3_S2_NS_24const_host_device_scalarIT4_EEPKT2_PKS2_PKS4_PS4_lPiSA_PS2_21rocsparse_index_base_20rocsparse_fill_mode_20rocsparse_diag_type_b.has_recursion, 0
	.set _ZN9rocsparseL5csrsmILj512ELj64ELb1ElidEEv20rocsparse_operation_T3_S2_NS_24const_host_device_scalarIT4_EEPKT2_PKS2_PKS4_PS4_lPiSA_PS2_21rocsparse_index_base_20rocsparse_fill_mode_20rocsparse_diag_type_b.has_indirect_call, 0
	.section	.AMDGPU.csdata,"",@progbits
; Kernel info:
; codeLenInByte = 1776
; TotalNumSgprs: 32
; NumVgprs: 26
; ScratchSize: 0
; MemoryBound: 0
; FloatMode: 240
; IeeeMode: 1
; LDSByteSize: 6144 bytes/workgroup (compile time only)
; SGPRBlocks: 0
; VGPRBlocks: 1
; NumSGPRsForWavesPerEU: 32
; NumVGPRsForWavesPerEU: 26
; NamedBarCnt: 0
; Occupancy: 16
; WaveLimiterHint : 1
; COMPUTE_PGM_RSRC2:SCRATCH_EN: 0
; COMPUTE_PGM_RSRC2:USER_SGPR: 2
; COMPUTE_PGM_RSRC2:TRAP_HANDLER: 0
; COMPUTE_PGM_RSRC2:TGID_X_EN: 1
; COMPUTE_PGM_RSRC2:TGID_Y_EN: 0
; COMPUTE_PGM_RSRC2:TGID_Z_EN: 0
; COMPUTE_PGM_RSRC2:TIDIG_COMP_CNT: 0
	.section	.text._ZN9rocsparseL5csrsmILj512ELj64ELb0ElidEEv20rocsparse_operation_T3_S2_NS_24const_host_device_scalarIT4_EEPKT2_PKS2_PKS4_PS4_lPiSA_PS2_21rocsparse_index_base_20rocsparse_fill_mode_20rocsparse_diag_type_b,"axG",@progbits,_ZN9rocsparseL5csrsmILj512ELj64ELb0ElidEEv20rocsparse_operation_T3_S2_NS_24const_host_device_scalarIT4_EEPKT2_PKS2_PKS4_PS4_lPiSA_PS2_21rocsparse_index_base_20rocsparse_fill_mode_20rocsparse_diag_type_b,comdat
	.globl	_ZN9rocsparseL5csrsmILj512ELj64ELb0ElidEEv20rocsparse_operation_T3_S2_NS_24const_host_device_scalarIT4_EEPKT2_PKS2_PKS4_PS4_lPiSA_PS2_21rocsparse_index_base_20rocsparse_fill_mode_20rocsparse_diag_type_b ; -- Begin function _ZN9rocsparseL5csrsmILj512ELj64ELb0ElidEEv20rocsparse_operation_T3_S2_NS_24const_host_device_scalarIT4_EEPKT2_PKS2_PKS4_PS4_lPiSA_PS2_21rocsparse_index_base_20rocsparse_fill_mode_20rocsparse_diag_type_b
	.p2align	8
	.type	_ZN9rocsparseL5csrsmILj512ELj64ELb0ElidEEv20rocsparse_operation_T3_S2_NS_24const_host_device_scalarIT4_EEPKT2_PKS2_PKS4_PS4_lPiSA_PS2_21rocsparse_index_base_20rocsparse_fill_mode_20rocsparse_diag_type_b,@function
_ZN9rocsparseL5csrsmILj512ELj64ELb0ElidEEv20rocsparse_operation_T3_S2_NS_24const_host_device_scalarIT4_EEPKT2_PKS2_PKS4_PS4_lPiSA_PS2_21rocsparse_index_base_20rocsparse_fill_mode_20rocsparse_diag_type_b: ; @_ZN9rocsparseL5csrsmILj512ELj64ELb0ElidEEv20rocsparse_operation_T3_S2_NS_24const_host_device_scalarIT4_EEPKT2_PKS2_PKS4_PS4_lPiSA_PS2_21rocsparse_index_base_20rocsparse_fill_mode_20rocsparse_diag_type_b
; %bb.0:
	s_clause 0x2
	s_load_b128 s[4:7], s[0:1], 0x58
	s_load_b128 s[12:15], s[0:1], 0x10
	s_load_b64 s[2:3], s[0:1], 0x48
	s_wait_kmcnt 0x0
	s_bitcmp1_b32 s7, 0
	v_mov_b64_e32 v[2:3], s[12:13]
	s_cselect_b32 s7, -1, 0
	s_delay_alu instid0(SALU_CYCLE_1)
	s_and_b32 vcc_lo, exec_lo, s7
	s_cbranch_vccnz .LBB61_2
; %bb.1:
	v_mov_b32_e32 v1, 0
	flat_load_b64 v[2:3], v1, s[12:13]
.LBB61_2:
	s_load_b64 s[20:21], s[0:1], 0x4
	s_bfe_u32 s9, ttmp6, 0x4000c
	s_and_b32 s8, ttmp6, 15
	s_add_co_i32 s9, s9, 1
	s_getreg_b32 s11, hwreg(HW_REG_IB_STS2, 6, 4)
	s_mul_i32 s9, ttmp9, s9
	v_mov_b64_e32 v[4:5], 0
	s_add_co_i32 s8, s8, s9
	s_wait_kmcnt 0x0
	s_cvt_f32_u32 s7, s20
	s_sub_co_i32 s10, 0, s20
	s_delay_alu instid0(SALU_CYCLE_2) | instskip(SKIP_1) | instid1(TRANS32_DEP_1)
	v_rcp_iflag_f32_e32 v1, s7
	v_nop
	v_readfirstlane_b32 s7, v1
	s_mul_f32 s7, s7, 0x4f7ffffe
	s_delay_alu instid0(SALU_CYCLE_3) | instskip(NEXT) | instid1(SALU_CYCLE_3)
	s_cvt_u32_f32 s7, s7
	s_mul_i32 s10, s10, s7
	s_delay_alu instid0(SALU_CYCLE_1) | instskip(NEXT) | instid1(SALU_CYCLE_1)
	s_mul_hi_u32 s10, s7, s10
	s_add_co_i32 s7, s7, s10
	s_cmp_eq_u32 s11, 0
	s_cselect_b32 s8, ttmp9, s8
	s_delay_alu instid0(SALU_CYCLE_1) | instskip(NEXT) | instid1(SALU_CYCLE_1)
	s_mul_hi_u32 s7, s8, s7
	s_mul_i32 s9, s7, s20
	s_add_co_i32 s10, s7, 1
	s_sub_co_i32 s9, s8, s9
	s_delay_alu instid0(SALU_CYCLE_1)
	s_sub_co_i32 s11, s9, s20
	s_cmp_ge_u32 s9, s20
	s_cselect_b32 s7, s10, s7
	s_cselect_b32 s9, s11, s9
	s_add_co_i32 s10, s7, 1
	s_cmp_ge_u32 s9, s20
	s_cselect_b32 s22, s10, s7
	s_delay_alu instid0(SALU_CYCLE_1) | instskip(SKIP_2) | instid1(SALU_CYCLE_1)
	s_mul_i32 s7, s22, s20
	v_lshl_or_b32 v6, s22, 9, v0
	s_sub_co_i32 s8, s8, s7
	s_ashr_i32 s9, s8, 31
	s_delay_alu instid0(VALU_DEP_1) | instskip(SKIP_1) | instid1(SALU_CYCLE_1)
	v_ashrrev_i32_e32 v7, 31, v6
	s_lshl_b64 s[8:9], s[8:9], 2
	s_add_nc_u64 s[2:3], s[2:3], s[8:9]
	s_load_b128 s[8:11], s[0:1], 0x30
	s_load_b32 s16, s[2:3], 0x0
	s_wait_kmcnt 0x0
	s_ashr_i32 s17, s16, 31
	s_delay_alu instid0(SALU_CYCLE_1) | instskip(NEXT) | instid1(SALU_CYCLE_1)
	s_lshl_b64 s[2:3], s[16:17], 3
	s_add_nc_u64 s[2:3], s[14:15], s[2:3]
	s_load_b64 s[18:19], s[0:1], 0x40
	s_load_b128 s[12:15], s[2:3], 0x0
	s_wait_xcnt 0x0
	v_cmp_gt_i32_e64 s2, s21, v6
	s_mul_u64 s[20:21], s[10:11], s[16:17]
	s_and_saveexec_b32 s3, s2
	s_cbranch_execz .LBB61_4
; %bb.3:
	v_add_nc_u64_e32 v[4:5], s[20:21], v[6:7]
	s_delay_alu instid0(VALU_DEP_1)
	v_lshl_add_u64 v[4:5], v[4:5], 3, s[8:9]
	global_load_b64 v[4:5], v[4:5], off
	s_wait_loadcnt_dscnt 0x0
	v_mul_f64_e32 v[4:5], v[2:3], v[4:5]
.LBB61_4:
	s_or_b32 exec_lo, exec_lo, s3
	s_wait_kmcnt 0x0
	v_cmp_ge_i64_e64 s3, s[12:13], s[14:15]
	v_mov_b64_e32 v[16:17], 1.0
	s_wait_loadcnt_dscnt 0x0
	v_lshl_add_u64 v[2:3], v[6:7], 3, s[8:9]
	s_and_b32 vcc_lo, exec_lo, s3
	v_cmp_eq_u32_e64 s3, 0, v0
	s_cbranch_vccnz .LBB61_41
; %bb.5:
	s_clause 0x1
	s_load_b128 s[24:27], s[0:1], 0x20
	s_load_b64 s[8:9], s[0:1], 0x50
	v_dual_mov_b32 v1, 0 :: v_dual_lshlrev_b32 v8, 2, v0
	v_lshlrev_b32_e32 v6, 3, v0
	s_cmp_lg_u32 s6, 0
	v_mov_b64_e32 v[12:13], 1.0
	s_delay_alu instid0(VALU_DEP_3)
	v_dual_mov_b32 v9, v1 :: v_dual_mov_b32 v7, v1
	v_or_b32_e32 v20, 0x1000, v8
	s_mov_b32 s23, 0
	s_mov_b32 s22, s4
	s_wait_xcnt 0x0
	v_cmp_ne_u32_e64 s0, 0, v0
	s_cselect_b32 s17, -1, 0
	s_add_co_i32 s28, s16, s4
	s_sub_nc_u64 s[12:13], s[12:13], s[22:23]
	s_cmp_eq_u32 s6, 0
	s_sub_nc_u64 s[14:15], s[14:15], s[22:23]
	s_cselect_b32 s1, -1, 0
	s_mov_b64 s[22:23], s[12:13]
	s_wait_kmcnt 0x0
	v_add_nc_u64_e32 v[8:9], s[24:25], v[8:9]
	v_add_nc_u64_e32 v[10:11], s[26:27], v[6:7]
	s_sub_co_i32 s13, s22, s12
	s_delay_alu instid0(SALU_CYCLE_1) | instskip(NEXT) | instid1(SALU_CYCLE_1)
	s_and_b32 s13, s13, 0x1ff
	s_cmp_lg_u32 s13, 0
	s_cbranch_scc1 .LBB61_9
.LBB61_6:
	s_sub_nc_u64 s[24:25], s[14:15], s[22:23]
	v_mov_b64_e32 v[14:15], -1.0
	v_cmp_gt_i64_e32 vcc_lo, s[24:25], v[0:1]
	v_mov_b32_e32 v7, -1
	s_and_saveexec_b32 s24, vcc_lo
	s_cbranch_execz .LBB61_8
; %bb.7:
	v_lshl_add_u64 v[14:15], s[22:23], 2, v[8:9]
	global_load_b32 v7, v[14:15], off
	s_wait_xcnt 0x0
	v_lshl_add_u64 v[14:15], s[22:23], 3, v[10:11]
	global_load_b64 v[14:15], v[14:15], off
	s_wait_loadcnt 0x1
	v_subrev_nc_u32_e32 v7, s4, v7
.LBB61_8:
	s_wait_xcnt 0x0
	s_or_b32 exec_lo, exec_lo, s24
	ds_store_b32 v20, v7
	s_wait_loadcnt 0x0
	ds_store_b64 v6, v[14:15]
.LBB61_9:                               ; =>This Loop Header: Depth=1
                                        ;     Child Loop BB61_33 Depth 2
	s_lshl_b32 s24, s13, 3
	s_wait_dscnt 0x0
	v_mov_b32_e32 v7, s24
	s_barrier_signal -1
	s_barrier_wait -1
	s_lshl_b32 s13, s13, 2
	ds_load_b64 v[14:15], v7
	v_mov_b32_e32 v7, s13
	ds_load_b32 v7, v7 offset:4096
	s_wait_dscnt 0x1
	v_cmp_neq_f64_e32 vcc_lo, 0, v[14:15]
	s_wait_dscnt 0x0
	v_readfirstlane_b32 s24, v7
	s_cmp_lg_u32 s24, s16
	s_cselect_b32 s13, -1, 0
	s_delay_alu instid0(SALU_CYCLE_1) | instskip(NEXT) | instid1(SALU_CYCLE_1)
	s_or_b32 s13, s17, s13
	s_or_b32 vcc_lo, vcc_lo, s13
	v_cndmask_b32_e32 v15, 0x3ff00000, v15, vcc_lo
	v_cndmask_b32_e32 v14, 0, v14, vcc_lo
	s_nor_b32 s25, s0, vcc_lo
	s_delay_alu instid0(SALU_CYCLE_1)
	s_and_saveexec_b32 s13, s25
	s_cbranch_execz .LBB61_13
; %bb.10:                               ;   in Loop: Header=BB61_9 Depth=1
	v_mbcnt_lo_u32_b32 v7, exec_lo, 0
	s_mov_b32 s25, exec_lo
	s_delay_alu instid0(VALU_DEP_1)
	v_cmpx_eq_u32_e32 0, v7
	s_cbranch_execz .LBB61_12
; %bb.11:                               ;   in Loop: Header=BB61_9 Depth=1
	v_mov_b32_e32 v7, s28
	global_atomic_min_i32 v1, v7, s[8:9] scope:SCOPE_DEV
.LBB61_12:                              ;   in Loop: Header=BB61_9 Depth=1
	s_wait_xcnt 0x0
	s_or_b32 exec_lo, exec_lo, s25
	v_mov_b64_e32 v[14:15], 1.0
.LBB61_13:                              ;   in Loop: Header=BB61_9 Depth=1
	s_or_b32 exec_lo, exec_lo, s13
	s_mov_b32 s26, -1
	s_mov_b32 s13, 0
	s_cmp_lt_i32 s5, 1
	s_mov_b32 s25, 0
                                        ; implicit-def: $vgpr16_vgpr17
	s_cbranch_scc0 .LBB61_20
; %bb.14:                               ;   in Loop: Header=BB61_9 Depth=1
	s_and_b32 vcc_lo, exec_lo, s26
	s_mov_b32 s26, 4
	s_cbranch_vccnz .LBB61_25
.LBB61_15:                              ;   in Loop: Header=BB61_9 Depth=1
	v_mov_b64_e32 v[18:19], v[4:5]
	s_and_b32 vcc_lo, exec_lo, s25
	s_cbranch_vccnz .LBB61_30
.LBB61_16:                              ;   in Loop: Header=BB61_9 Depth=1
	s_and_b32 vcc_lo, exec_lo, s13
	s_cbranch_vccnz .LBB61_37
.LBB61_17:                              ;   in Loop: Header=BB61_9 Depth=1
	s_mov_b32 s13, -1
	s_cmp_gt_i32 s26, 3
	s_mov_b32 s24, -1
	s_cbranch_scc0 .LBB61_38
.LBB61_18:                              ;   in Loop: Header=BB61_9 Depth=1
	s_and_not1_b32 vcc_lo, exec_lo, s24
	s_cbranch_vccz .LBB61_39
.LBB61_19:                              ;   in Loop: Header=BB61_9 Depth=1
	s_and_not1_b32 vcc_lo, exec_lo, s13
	s_cbranch_vccnz .LBB61_40
	s_branch .LBB61_42
.LBB61_20:                              ;   in Loop: Header=BB61_9 Depth=1
	s_cmp_eq_u32 s5, 1
	s_mov_b32 s25, -1
                                        ; implicit-def: $vgpr16_vgpr17
	s_cbranch_scc0 .LBB61_24
; %bb.21:                               ;   in Loop: Header=BB61_9 Depth=1
	v_mov_b64_e32 v[16:17], v[12:13]
	s_cmp_ge_i32 s24, s16
	s_mov_b32 s25, 0
	s_cbranch_scc0 .LBB61_24
; %bb.22:                               ;   in Loop: Header=BB61_9 Depth=1
	s_cmp_eq_u32 s24, s16
	s_mov_b32 s25, -1
                                        ; implicit-def: $vgpr16_vgpr17
	s_cbranch_scc0 .LBB61_24
; %bb.23:                               ;   in Loop: Header=BB61_9 Depth=1
	v_div_scale_f64 v[16:17], null, v[14:15], v[14:15], 1.0
	v_div_scale_f64 v[24:25], vcc_lo, 1.0, v[14:15], 1.0
	s_mov_b32 s25, 0
	v_rcp_f64_e32 v[18:19], v[16:17]
	v_nop
	s_delay_alu instid0(TRANS32_DEP_1) | instskip(NEXT) | instid1(VALU_DEP_1)
	v_fma_f64 v[22:23], -v[16:17], v[18:19], 1.0
	v_fmac_f64_e32 v[18:19], v[18:19], v[22:23]
	s_delay_alu instid0(VALU_DEP_1) | instskip(NEXT) | instid1(VALU_DEP_1)
	v_fma_f64 v[22:23], -v[16:17], v[18:19], 1.0
	v_fmac_f64_e32 v[18:19], v[18:19], v[22:23]
	s_delay_alu instid0(VALU_DEP_1) | instskip(NEXT) | instid1(VALU_DEP_1)
	v_mul_f64_e32 v[22:23], v[24:25], v[18:19]
	v_fma_f64 v[16:17], -v[16:17], v[22:23], v[24:25]
	s_delay_alu instid0(VALU_DEP_1) | instskip(NEXT) | instid1(VALU_DEP_1)
	v_div_fmas_f64 v[16:17], v[16:17], v[18:19], v[22:23]
	v_div_fixup_f64 v[16:17], v[16:17], v[14:15], 1.0
	s_delay_alu instid0(VALU_DEP_1)
	v_dual_cndmask_b32 v17, v13, v17, s1 :: v_dual_cndmask_b32 v16, v12, v16, s1
.LBB61_24:                              ;   in Loop: Header=BB61_9 Depth=1
	s_mov_b32 s26, 4
	s_branch .LBB61_15
.LBB61_25:                              ;   in Loop: Header=BB61_9 Depth=1
	s_cmp_eq_u32 s5, 0
	s_cbranch_scc1 .LBB61_27
; %bb.26:                               ;   in Loop: Header=BB61_9 Depth=1
	s_mov_b32 s25, -1
	s_branch .LBB61_29
.LBB61_27:                              ;   in Loop: Header=BB61_9 Depth=1
	s_cmp_le_i32 s24, s16
	s_mov_b32 s25, 0
	s_cbranch_scc0 .LBB61_29
; %bb.28:                               ;   in Loop: Header=BB61_9 Depth=1
	s_cmp_lg_u32 s24, s16
	s_mov_b32 s13, -1
	s_cselect_b32 s25, -1, 0
.LBB61_29:                              ;   in Loop: Header=BB61_9 Depth=1
	v_mov_b64_e32 v[16:17], v[12:13]
	s_mov_b32 s26, 2
	v_mov_b64_e32 v[18:19], v[4:5]
	s_and_b32 vcc_lo, exec_lo, s25
	s_cbranch_vccz .LBB61_16
.LBB61_30:                              ;   in Loop: Header=BB61_9 Depth=1
	s_and_saveexec_b32 s13, s3
	s_cbranch_execz .LBB61_34
; %bb.31:                               ;   in Loop: Header=BB61_9 Depth=1
	s_add_co_i32 s26, s24, s7
	s_delay_alu instid0(SALU_CYCLE_1)
	v_mov_b32_e32 v7, s26
	global_load_b32 v7, v7, s[18:19] scale_offset scope:SCOPE_DEV
	s_wait_loadcnt 0x0
	v_cmp_ne_u32_e32 vcc_lo, 0, v7
	s_cbranch_vccnz .LBB61_34
; %bb.32:                               ;   in Loop: Header=BB61_9 Depth=1
	s_ashr_i32 s27, s26, 31
	s_delay_alu instid0(SALU_CYCLE_1) | instskip(NEXT) | instid1(SALU_CYCLE_1)
	s_lshl_b64 s[26:27], s[26:27], 2
	s_add_nc_u64 s[26:27], s[18:19], s[26:27]
.LBB61_33:                              ;   Parent Loop BB61_9 Depth=1
                                        ; =>  This Inner Loop Header: Depth=2
	global_load_b32 v7, v1, s[26:27] scope:SCOPE_DEV
	s_wait_loadcnt 0x0
	v_cmp_eq_u32_e32 vcc_lo, 0, v7
	s_cbranch_vccnz .LBB61_33
.LBB61_34:                              ;   in Loop: Header=BB61_9 Depth=1
	s_wait_xcnt 0x0
	s_or_b32 exec_lo, exec_lo, s13
	v_mov_b64_e32 v[18:19], 0
	s_wait_storecnt 0x0
	s_barrier_signal -1
	s_barrier_wait -1
	global_inv scope:SCOPE_DEV
	s_and_saveexec_b32 s13, s2
	s_cbranch_execz .LBB61_36
; %bb.35:                               ;   in Loop: Header=BB61_9 Depth=1
	s_ashr_i32 s25, s24, 31
	s_delay_alu instid0(SALU_CYCLE_1) | instskip(NEXT) | instid1(SALU_CYCLE_1)
	s_mul_u64 s[24:25], s[10:11], s[24:25]
	v_lshl_add_u64 v[16:17], s[24:25], 3, v[2:3]
	global_load_b64 v[16:17], v[16:17], off
	s_wait_loadcnt 0x0
	v_fma_f64 v[18:19], -v[14:15], v[16:17], v[4:5]
.LBB61_36:                              ;   in Loop: Header=BB61_9 Depth=1
	s_or_b32 exec_lo, exec_lo, s13
	v_mov_b64_e32 v[16:17], v[12:13]
	s_mov_b32 s26, 0
	s_branch .LBB61_17
.LBB61_37:                              ;   in Loop: Header=BB61_9 Depth=1
	v_div_scale_f64 v[16:17], null, v[14:15], v[14:15], 1.0
	v_div_scale_f64 v[24:25], vcc_lo, 1.0, v[14:15], 1.0
	s_mov_b32 s26, 2
	v_rcp_f64_e32 v[18:19], v[16:17]
	v_nop
	s_delay_alu instid0(TRANS32_DEP_1) | instskip(NEXT) | instid1(VALU_DEP_1)
	v_fma_f64 v[22:23], -v[16:17], v[18:19], 1.0
	v_fmac_f64_e32 v[18:19], v[18:19], v[22:23]
	s_delay_alu instid0(VALU_DEP_1) | instskip(NEXT) | instid1(VALU_DEP_1)
	v_fma_f64 v[22:23], -v[16:17], v[18:19], 1.0
	v_fmac_f64_e32 v[18:19], v[18:19], v[22:23]
	s_delay_alu instid0(VALU_DEP_1) | instskip(NEXT) | instid1(VALU_DEP_1)
	v_mul_f64_e32 v[22:23], v[24:25], v[18:19]
	v_fma_f64 v[16:17], -v[16:17], v[22:23], v[24:25]
	s_delay_alu instid0(VALU_DEP_1) | instskip(SKIP_1) | instid1(VALU_DEP_2)
	v_div_fmas_f64 v[16:17], v[16:17], v[18:19], v[22:23]
	v_mov_b64_e32 v[18:19], v[4:5]
	v_div_fixup_f64 v[14:15], v[16:17], v[14:15], 1.0
	s_delay_alu instid0(VALU_DEP_1)
	v_dual_cndmask_b32 v17, v13, v15, s1 :: v_dual_cndmask_b32 v16, v12, v14, s1
	s_mov_b32 s13, -1
	s_cmp_gt_i32 s26, 3
	s_mov_b32 s24, -1
	s_cbranch_scc1 .LBB61_18
.LBB61_38:                              ;   in Loop: Header=BB61_9 Depth=1
	s_cmp_eq_u32 s26, 0
	s_cselect_b32 s24, -1, 0
	s_delay_alu instid0(SALU_CYCLE_1)
	s_and_not1_b32 vcc_lo, exec_lo, s24
	s_cbranch_vccnz .LBB61_19
.LBB61_39:                              ;   in Loop: Header=BB61_9 Depth=1
	s_add_nc_u64 s[22:23], s[22:23], 1
	s_delay_alu instid0(SALU_CYCLE_1)
	v_cmp_ge_i64_e64 s13, s[22:23], s[14:15]
	s_and_not1_b32 vcc_lo, exec_lo, s13
	s_cbranch_vccz .LBB61_42
.LBB61_40:                              ;   in Loop: Header=BB61_9 Depth=1
	s_delay_alu instid0(VALU_DEP_1) | instskip(SKIP_2) | instid1(SALU_CYCLE_1)
	v_mov_b64_e32 v[4:5], v[18:19]
	v_mov_b64_e32 v[12:13], v[16:17]
	s_sub_co_i32 s13, s22, s12
	s_and_b32 s13, s13, 0x1ff
	s_delay_alu instid0(SALU_CYCLE_1)
	s_cmp_lg_u32 s13, 0
	s_cbranch_scc1 .LBB61_9
	s_branch .LBB61_6
.LBB61_41:
	v_mov_b64_e32 v[18:19], v[4:5]
.LBB61_42:
	s_and_saveexec_b32 s0, s2
	s_cbranch_execz .LBB61_44
; %bb.43:
	s_delay_alu instid0(VALU_DEP_1) | instskip(SKIP_3) | instid1(VALU_DEP_2)
	v_mul_f64_e32 v[4:5], v[16:17], v[18:19]
	s_cmp_eq_u32 s6, 0
	v_lshl_add_u64 v[2:3], s[20:21], 3, v[2:3]
	s_cselect_b32 vcc_lo, -1, 0
	v_dual_cndmask_b32 v5, v19, v5 :: v_dual_cndmask_b32 v4, v18, v4
	global_store_b64 v[2:3], v[4:5], off
.LBB61_44:
	s_wait_xcnt 0x0
	s_or_b32 exec_lo, exec_lo, s0
	global_wb scope:SCOPE_DEV
	s_wait_loadcnt 0x0
	s_wait_storecnt 0x0
	global_inv scope:SCOPE_DEV
	s_wait_loadcnt 0x0
	s_barrier_signal -1
	s_barrier_wait -1
	s_mov_b32 s0, exec_lo
	v_cmpx_eq_u32_e32 0, v0
	s_cbranch_execz .LBB61_46
; %bb.45:
	s_add_co_i32 s0, s16, s7
	s_delay_alu instid0(SALU_CYCLE_1)
	v_dual_mov_b32 v0, 1 :: v_dual_mov_b32 v1, s0
	global_store_b32 v1, v0, s[18:19] scale_offset scope:SCOPE_DEV
.LBB61_46:
	s_endpgm
	.section	.rodata,"a",@progbits
	.p2align	6, 0x0
	.amdhsa_kernel _ZN9rocsparseL5csrsmILj512ELj64ELb0ElidEEv20rocsparse_operation_T3_S2_NS_24const_host_device_scalarIT4_EEPKT2_PKS2_PKS4_PS4_lPiSA_PS2_21rocsparse_index_base_20rocsparse_fill_mode_20rocsparse_diag_type_b
		.amdhsa_group_segment_fixed_size 6144
		.amdhsa_private_segment_fixed_size 0
		.amdhsa_kernarg_size 104
		.amdhsa_user_sgpr_count 2
		.amdhsa_user_sgpr_dispatch_ptr 0
		.amdhsa_user_sgpr_queue_ptr 0
		.amdhsa_user_sgpr_kernarg_segment_ptr 1
		.amdhsa_user_sgpr_dispatch_id 0
		.amdhsa_user_sgpr_kernarg_preload_length 0
		.amdhsa_user_sgpr_kernarg_preload_offset 0
		.amdhsa_user_sgpr_private_segment_size 0
		.amdhsa_wavefront_size32 1
		.amdhsa_uses_dynamic_stack 0
		.amdhsa_enable_private_segment 0
		.amdhsa_system_sgpr_workgroup_id_x 1
		.amdhsa_system_sgpr_workgroup_id_y 0
		.amdhsa_system_sgpr_workgroup_id_z 0
		.amdhsa_system_sgpr_workgroup_info 0
		.amdhsa_system_vgpr_workitem_id 0
		.amdhsa_next_free_vgpr 26
		.amdhsa_next_free_sgpr 29
		.amdhsa_named_barrier_count 0
		.amdhsa_reserve_vcc 1
		.amdhsa_float_round_mode_32 0
		.amdhsa_float_round_mode_16_64 0
		.amdhsa_float_denorm_mode_32 3
		.amdhsa_float_denorm_mode_16_64 3
		.amdhsa_fp16_overflow 0
		.amdhsa_memory_ordered 1
		.amdhsa_forward_progress 1
		.amdhsa_inst_pref_size 14
		.amdhsa_round_robin_scheduling 0
		.amdhsa_exception_fp_ieee_invalid_op 0
		.amdhsa_exception_fp_denorm_src 0
		.amdhsa_exception_fp_ieee_div_zero 0
		.amdhsa_exception_fp_ieee_overflow 0
		.amdhsa_exception_fp_ieee_underflow 0
		.amdhsa_exception_fp_ieee_inexact 0
		.amdhsa_exception_int_div_zero 0
	.end_amdhsa_kernel
	.section	.text._ZN9rocsparseL5csrsmILj512ELj64ELb0ElidEEv20rocsparse_operation_T3_S2_NS_24const_host_device_scalarIT4_EEPKT2_PKS2_PKS4_PS4_lPiSA_PS2_21rocsparse_index_base_20rocsparse_fill_mode_20rocsparse_diag_type_b,"axG",@progbits,_ZN9rocsparseL5csrsmILj512ELj64ELb0ElidEEv20rocsparse_operation_T3_S2_NS_24const_host_device_scalarIT4_EEPKT2_PKS2_PKS4_PS4_lPiSA_PS2_21rocsparse_index_base_20rocsparse_fill_mode_20rocsparse_diag_type_b,comdat
.Lfunc_end61:
	.size	_ZN9rocsparseL5csrsmILj512ELj64ELb0ElidEEv20rocsparse_operation_T3_S2_NS_24const_host_device_scalarIT4_EEPKT2_PKS2_PKS4_PS4_lPiSA_PS2_21rocsparse_index_base_20rocsparse_fill_mode_20rocsparse_diag_type_b, .Lfunc_end61-_ZN9rocsparseL5csrsmILj512ELj64ELb0ElidEEv20rocsparse_operation_T3_S2_NS_24const_host_device_scalarIT4_EEPKT2_PKS2_PKS4_PS4_lPiSA_PS2_21rocsparse_index_base_20rocsparse_fill_mode_20rocsparse_diag_type_b
                                        ; -- End function
	.set _ZN9rocsparseL5csrsmILj512ELj64ELb0ElidEEv20rocsparse_operation_T3_S2_NS_24const_host_device_scalarIT4_EEPKT2_PKS2_PKS4_PS4_lPiSA_PS2_21rocsparse_index_base_20rocsparse_fill_mode_20rocsparse_diag_type_b.num_vgpr, 26
	.set _ZN9rocsparseL5csrsmILj512ELj64ELb0ElidEEv20rocsparse_operation_T3_S2_NS_24const_host_device_scalarIT4_EEPKT2_PKS2_PKS4_PS4_lPiSA_PS2_21rocsparse_index_base_20rocsparse_fill_mode_20rocsparse_diag_type_b.num_agpr, 0
	.set _ZN9rocsparseL5csrsmILj512ELj64ELb0ElidEEv20rocsparse_operation_T3_S2_NS_24const_host_device_scalarIT4_EEPKT2_PKS2_PKS4_PS4_lPiSA_PS2_21rocsparse_index_base_20rocsparse_fill_mode_20rocsparse_diag_type_b.numbered_sgpr, 29
	.set _ZN9rocsparseL5csrsmILj512ELj64ELb0ElidEEv20rocsparse_operation_T3_S2_NS_24const_host_device_scalarIT4_EEPKT2_PKS2_PKS4_PS4_lPiSA_PS2_21rocsparse_index_base_20rocsparse_fill_mode_20rocsparse_diag_type_b.num_named_barrier, 0
	.set _ZN9rocsparseL5csrsmILj512ELj64ELb0ElidEEv20rocsparse_operation_T3_S2_NS_24const_host_device_scalarIT4_EEPKT2_PKS2_PKS4_PS4_lPiSA_PS2_21rocsparse_index_base_20rocsparse_fill_mode_20rocsparse_diag_type_b.private_seg_size, 0
	.set _ZN9rocsparseL5csrsmILj512ELj64ELb0ElidEEv20rocsparse_operation_T3_S2_NS_24const_host_device_scalarIT4_EEPKT2_PKS2_PKS4_PS4_lPiSA_PS2_21rocsparse_index_base_20rocsparse_fill_mode_20rocsparse_diag_type_b.uses_vcc, 1
	.set _ZN9rocsparseL5csrsmILj512ELj64ELb0ElidEEv20rocsparse_operation_T3_S2_NS_24const_host_device_scalarIT4_EEPKT2_PKS2_PKS4_PS4_lPiSA_PS2_21rocsparse_index_base_20rocsparse_fill_mode_20rocsparse_diag_type_b.uses_flat_scratch, 0
	.set _ZN9rocsparseL5csrsmILj512ELj64ELb0ElidEEv20rocsparse_operation_T3_S2_NS_24const_host_device_scalarIT4_EEPKT2_PKS2_PKS4_PS4_lPiSA_PS2_21rocsparse_index_base_20rocsparse_fill_mode_20rocsparse_diag_type_b.has_dyn_sized_stack, 0
	.set _ZN9rocsparseL5csrsmILj512ELj64ELb0ElidEEv20rocsparse_operation_T3_S2_NS_24const_host_device_scalarIT4_EEPKT2_PKS2_PKS4_PS4_lPiSA_PS2_21rocsparse_index_base_20rocsparse_fill_mode_20rocsparse_diag_type_b.has_recursion, 0
	.set _ZN9rocsparseL5csrsmILj512ELj64ELb0ElidEEv20rocsparse_operation_T3_S2_NS_24const_host_device_scalarIT4_EEPKT2_PKS2_PKS4_PS4_lPiSA_PS2_21rocsparse_index_base_20rocsparse_fill_mode_20rocsparse_diag_type_b.has_indirect_call, 0
	.section	.AMDGPU.csdata,"",@progbits
; Kernel info:
; codeLenInByte = 1712
; TotalNumSgprs: 31
; NumVgprs: 26
; ScratchSize: 0
; MemoryBound: 0
; FloatMode: 240
; IeeeMode: 1
; LDSByteSize: 6144 bytes/workgroup (compile time only)
; SGPRBlocks: 0
; VGPRBlocks: 1
; NumSGPRsForWavesPerEU: 31
; NumVGPRsForWavesPerEU: 26
; NamedBarCnt: 0
; Occupancy: 16
; WaveLimiterHint : 1
; COMPUTE_PGM_RSRC2:SCRATCH_EN: 0
; COMPUTE_PGM_RSRC2:USER_SGPR: 2
; COMPUTE_PGM_RSRC2:TRAP_HANDLER: 0
; COMPUTE_PGM_RSRC2:TGID_X_EN: 1
; COMPUTE_PGM_RSRC2:TGID_Y_EN: 0
; COMPUTE_PGM_RSRC2:TGID_Z_EN: 0
; COMPUTE_PGM_RSRC2:TIDIG_COMP_CNT: 0
	.section	.text._ZN9rocsparseL5csrsmILj1024ELj64ELb1ElidEEv20rocsparse_operation_T3_S2_NS_24const_host_device_scalarIT4_EEPKT2_PKS2_PKS4_PS4_lPiSA_PS2_21rocsparse_index_base_20rocsparse_fill_mode_20rocsparse_diag_type_b,"axG",@progbits,_ZN9rocsparseL5csrsmILj1024ELj64ELb1ElidEEv20rocsparse_operation_T3_S2_NS_24const_host_device_scalarIT4_EEPKT2_PKS2_PKS4_PS4_lPiSA_PS2_21rocsparse_index_base_20rocsparse_fill_mode_20rocsparse_diag_type_b,comdat
	.globl	_ZN9rocsparseL5csrsmILj1024ELj64ELb1ElidEEv20rocsparse_operation_T3_S2_NS_24const_host_device_scalarIT4_EEPKT2_PKS2_PKS4_PS4_lPiSA_PS2_21rocsparse_index_base_20rocsparse_fill_mode_20rocsparse_diag_type_b ; -- Begin function _ZN9rocsparseL5csrsmILj1024ELj64ELb1ElidEEv20rocsparse_operation_T3_S2_NS_24const_host_device_scalarIT4_EEPKT2_PKS2_PKS4_PS4_lPiSA_PS2_21rocsparse_index_base_20rocsparse_fill_mode_20rocsparse_diag_type_b
	.p2align	8
	.type	_ZN9rocsparseL5csrsmILj1024ELj64ELb1ElidEEv20rocsparse_operation_T3_S2_NS_24const_host_device_scalarIT4_EEPKT2_PKS2_PKS4_PS4_lPiSA_PS2_21rocsparse_index_base_20rocsparse_fill_mode_20rocsparse_diag_type_b,@function
_ZN9rocsparseL5csrsmILj1024ELj64ELb1ElidEEv20rocsparse_operation_T3_S2_NS_24const_host_device_scalarIT4_EEPKT2_PKS2_PKS4_PS4_lPiSA_PS2_21rocsparse_index_base_20rocsparse_fill_mode_20rocsparse_diag_type_b: ; @_ZN9rocsparseL5csrsmILj1024ELj64ELb1ElidEEv20rocsparse_operation_T3_S2_NS_24const_host_device_scalarIT4_EEPKT2_PKS2_PKS4_PS4_lPiSA_PS2_21rocsparse_index_base_20rocsparse_fill_mode_20rocsparse_diag_type_b
; %bb.0:
	s_clause 0x2
	s_load_b128 s[4:7], s[0:1], 0x58
	s_load_b128 s[12:15], s[0:1], 0x10
	s_load_b64 s[2:3], s[0:1], 0x48
	s_wait_kmcnt 0x0
	s_bitcmp1_b32 s7, 0
	v_mov_b64_e32 v[2:3], s[12:13]
	s_cselect_b32 s7, -1, 0
	s_delay_alu instid0(SALU_CYCLE_1)
	s_and_b32 vcc_lo, exec_lo, s7
	s_cbranch_vccnz .LBB62_2
; %bb.1:
	v_mov_b32_e32 v1, 0
	flat_load_b64 v[2:3], v1, s[12:13]
.LBB62_2:
	s_load_b64 s[20:21], s[0:1], 0x4
	s_bfe_u32 s9, ttmp6, 0x4000c
	s_and_b32 s8, ttmp6, 15
	s_add_co_i32 s9, s9, 1
	s_getreg_b32 s11, hwreg(HW_REG_IB_STS2, 6, 4)
	s_mul_i32 s9, ttmp9, s9
	v_mov_b64_e32 v[4:5], 0
	s_add_co_i32 s8, s8, s9
	s_wait_kmcnt 0x0
	s_cvt_f32_u32 s7, s20
	s_sub_co_i32 s10, 0, s20
	s_delay_alu instid0(SALU_CYCLE_2) | instskip(SKIP_1) | instid1(TRANS32_DEP_1)
	v_rcp_iflag_f32_e32 v1, s7
	v_nop
	v_readfirstlane_b32 s7, v1
	s_mul_f32 s7, s7, 0x4f7ffffe
	s_delay_alu instid0(SALU_CYCLE_3) | instskip(NEXT) | instid1(SALU_CYCLE_3)
	s_cvt_u32_f32 s7, s7
	s_mul_i32 s10, s10, s7
	s_delay_alu instid0(SALU_CYCLE_1) | instskip(NEXT) | instid1(SALU_CYCLE_1)
	s_mul_hi_u32 s10, s7, s10
	s_add_co_i32 s7, s7, s10
	s_cmp_eq_u32 s11, 0
	s_cselect_b32 s8, ttmp9, s8
	s_delay_alu instid0(SALU_CYCLE_1) | instskip(NEXT) | instid1(SALU_CYCLE_1)
	s_mul_hi_u32 s7, s8, s7
	s_mul_i32 s9, s7, s20
	s_add_co_i32 s10, s7, 1
	s_sub_co_i32 s9, s8, s9
	s_delay_alu instid0(SALU_CYCLE_1)
	s_sub_co_i32 s11, s9, s20
	s_cmp_ge_u32 s9, s20
	s_cselect_b32 s7, s10, s7
	s_cselect_b32 s9, s11, s9
	s_add_co_i32 s10, s7, 1
	s_cmp_ge_u32 s9, s20
	s_cselect_b32 s22, s10, s7
	s_delay_alu instid0(SALU_CYCLE_1) | instskip(SKIP_2) | instid1(SALU_CYCLE_1)
	s_mul_i32 s7, s22, s20
	v_lshl_or_b32 v6, s22, 10, v0
	s_sub_co_i32 s8, s8, s7
	s_ashr_i32 s9, s8, 31
	s_delay_alu instid0(VALU_DEP_1) | instskip(SKIP_1) | instid1(SALU_CYCLE_1)
	v_ashrrev_i32_e32 v7, 31, v6
	s_lshl_b64 s[8:9], s[8:9], 2
	s_add_nc_u64 s[2:3], s[2:3], s[8:9]
	s_load_b128 s[8:11], s[0:1], 0x30
	s_load_b32 s16, s[2:3], 0x0
	s_wait_kmcnt 0x0
	s_ashr_i32 s17, s16, 31
	s_delay_alu instid0(SALU_CYCLE_1) | instskip(NEXT) | instid1(SALU_CYCLE_1)
	s_lshl_b64 s[2:3], s[16:17], 3
	s_add_nc_u64 s[2:3], s[14:15], s[2:3]
	s_load_b64 s[18:19], s[0:1], 0x40
	s_load_b128 s[12:15], s[2:3], 0x0
	s_wait_xcnt 0x0
	v_cmp_gt_i32_e64 s2, s21, v6
	s_mul_u64 s[20:21], s[10:11], s[16:17]
	s_and_saveexec_b32 s3, s2
	s_cbranch_execz .LBB62_4
; %bb.3:
	v_add_nc_u64_e32 v[4:5], s[20:21], v[6:7]
	s_delay_alu instid0(VALU_DEP_1)
	v_lshl_add_u64 v[4:5], v[4:5], 3, s[8:9]
	global_load_b64 v[4:5], v[4:5], off
	s_wait_loadcnt_dscnt 0x0
	v_mul_f64_e32 v[4:5], v[2:3], v[4:5]
.LBB62_4:
	s_or_b32 exec_lo, exec_lo, s3
	s_wait_kmcnt 0x0
	v_cmp_ge_i64_e64 s3, s[12:13], s[14:15]
	v_mov_b64_e32 v[16:17], 1.0
	s_wait_loadcnt_dscnt 0x0
	v_lshl_add_u64 v[2:3], v[6:7], 3, s[8:9]
	s_and_b32 vcc_lo, exec_lo, s3
	v_cmp_eq_u32_e64 s3, 0, v0
	s_cbranch_vccnz .LBB62_43
; %bb.5:
	s_clause 0x1
	s_load_b128 s[24:27], s[0:1], 0x20
	s_load_b64 s[8:9], s[0:1], 0x50
	v_dual_mov_b32 v1, 0 :: v_dual_lshlrev_b32 v8, 2, v0
	v_lshlrev_b32_e32 v6, 3, v0
	s_cmp_lg_u32 s6, 0
	v_mov_b64_e32 v[12:13], 1.0
	s_delay_alu instid0(VALU_DEP_3)
	v_dual_mov_b32 v9, v1 :: v_dual_mov_b32 v7, v1
	v_or_b32_e32 v20, 0x2000, v8
	s_mov_b32 s23, 0
	s_mov_b32 s22, s4
	s_wait_xcnt 0x0
	v_cmp_ne_u32_e64 s0, 0, v0
	s_cselect_b32 s17, -1, 0
	s_add_co_i32 s28, s16, s4
	s_sub_nc_u64 s[12:13], s[12:13], s[22:23]
	s_cmp_eq_u32 s6, 0
	s_sub_nc_u64 s[14:15], s[14:15], s[22:23]
	s_cselect_b32 s1, -1, 0
	s_mov_b64 s[22:23], s[12:13]
	s_wait_kmcnt 0x0
	v_add_nc_u64_e32 v[8:9], s[24:25], v[8:9]
	v_add_nc_u64_e32 v[10:11], s[26:27], v[6:7]
	s_sub_co_i32 s13, s22, s12
	s_delay_alu instid0(SALU_CYCLE_1) | instskip(NEXT) | instid1(SALU_CYCLE_1)
	s_and_b32 s13, s13, 0x3ff
	s_cmp_lg_u32 s13, 0
	s_cbranch_scc1 .LBB62_9
.LBB62_6:
	s_sub_nc_u64 s[24:25], s[14:15], s[22:23]
	v_mov_b64_e32 v[14:15], -1.0
	v_cmp_gt_i64_e32 vcc_lo, s[24:25], v[0:1]
	v_mov_b32_e32 v7, -1
	s_and_saveexec_b32 s24, vcc_lo
	s_cbranch_execz .LBB62_8
; %bb.7:
	v_lshl_add_u64 v[14:15], s[22:23], 2, v[8:9]
	global_load_b32 v7, v[14:15], off
	s_wait_xcnt 0x0
	v_lshl_add_u64 v[14:15], s[22:23], 3, v[10:11]
	global_load_b64 v[14:15], v[14:15], off
	s_wait_loadcnt 0x1
	v_subrev_nc_u32_e32 v7, s4, v7
.LBB62_8:
	s_wait_xcnt 0x0
	s_or_b32 exec_lo, exec_lo, s24
	ds_store_b32 v20, v7
	s_wait_loadcnt 0x0
	ds_store_b64 v6, v[14:15]
.LBB62_9:                               ; =>This Loop Header: Depth=1
                                        ;     Child Loop BB62_41 Depth 2
                                        ;       Child Loop BB62_42 Depth 3
	s_lshl_b32 s24, s13, 3
	s_wait_dscnt 0x0
	v_mov_b32_e32 v7, s24
	s_barrier_signal -1
	s_barrier_wait -1
	s_lshl_b32 s13, s13, 2
	ds_load_b64 v[14:15], v7
	v_mov_b32_e32 v7, s13
	ds_load_b32 v7, v7 offset:8192
	s_wait_dscnt 0x1
	v_cmp_neq_f64_e32 vcc_lo, 0, v[14:15]
	s_wait_dscnt 0x0
	v_readfirstlane_b32 s24, v7
	s_cmp_lg_u32 s24, s16
	s_cselect_b32 s13, -1, 0
	s_delay_alu instid0(SALU_CYCLE_1) | instskip(NEXT) | instid1(SALU_CYCLE_1)
	s_or_b32 s13, s17, s13
	s_or_b32 vcc_lo, vcc_lo, s13
	v_cndmask_b32_e32 v15, 0x3ff00000, v15, vcc_lo
	v_cndmask_b32_e32 v14, 0, v14, vcc_lo
	s_nor_b32 s25, s0, vcc_lo
	s_delay_alu instid0(SALU_CYCLE_1)
	s_and_saveexec_b32 s13, s25
	s_cbranch_execz .LBB62_13
; %bb.10:                               ;   in Loop: Header=BB62_9 Depth=1
	v_mbcnt_lo_u32_b32 v7, exec_lo, 0
	s_mov_b32 s25, exec_lo
	s_delay_alu instid0(VALU_DEP_1)
	v_cmpx_eq_u32_e32 0, v7
	s_cbranch_execz .LBB62_12
; %bb.11:                               ;   in Loop: Header=BB62_9 Depth=1
	v_mov_b32_e32 v7, s28
	global_atomic_min_i32 v1, v7, s[8:9] scope:SCOPE_DEV
.LBB62_12:                              ;   in Loop: Header=BB62_9 Depth=1
	s_wait_xcnt 0x0
	s_or_b32 exec_lo, exec_lo, s25
	v_mov_b64_e32 v[14:15], 1.0
.LBB62_13:                              ;   in Loop: Header=BB62_9 Depth=1
	s_or_b32 exec_lo, exec_lo, s13
	s_mov_b32 s26, -1
	s_mov_b32 s13, 0
	s_cmp_lt_i32 s5, 1
	s_mov_b32 s25, 0
                                        ; implicit-def: $vgpr16_vgpr17
	s_cbranch_scc0 .LBB62_20
; %bb.14:                               ;   in Loop: Header=BB62_9 Depth=1
	s_and_b32 vcc_lo, exec_lo, s26
	s_mov_b32 s26, 4
	s_cbranch_vccnz .LBB62_25
.LBB62_15:                              ;   in Loop: Header=BB62_9 Depth=1
	v_mov_b64_e32 v[18:19], v[4:5]
	s_and_b32 vcc_lo, exec_lo, s25
	s_cbranch_vccnz .LBB62_30
.LBB62_16:                              ;   in Loop: Header=BB62_9 Depth=1
	s_and_b32 vcc_lo, exec_lo, s13
	s_cbranch_vccnz .LBB62_35
.LBB62_17:                              ;   in Loop: Header=BB62_9 Depth=1
	s_mov_b32 s13, -1
	s_cmp_gt_i32 s26, 3
	s_mov_b32 s24, -1
	s_cbranch_scc0 .LBB62_36
.LBB62_18:                              ;   in Loop: Header=BB62_9 Depth=1
	s_and_not1_b32 vcc_lo, exec_lo, s24
	s_cbranch_vccz .LBB62_37
.LBB62_19:                              ;   in Loop: Header=BB62_9 Depth=1
	s_and_not1_b32 vcc_lo, exec_lo, s13
	s_cbranch_vccnz .LBB62_38
	s_branch .LBB62_44
.LBB62_20:                              ;   in Loop: Header=BB62_9 Depth=1
	s_cmp_eq_u32 s5, 1
	s_mov_b32 s25, -1
                                        ; implicit-def: $vgpr16_vgpr17
	s_cbranch_scc0 .LBB62_24
; %bb.21:                               ;   in Loop: Header=BB62_9 Depth=1
	v_mov_b64_e32 v[16:17], v[12:13]
	s_cmp_ge_i32 s24, s16
	s_mov_b32 s25, 0
	s_cbranch_scc0 .LBB62_24
; %bb.22:                               ;   in Loop: Header=BB62_9 Depth=1
	s_cmp_eq_u32 s24, s16
	s_mov_b32 s25, -1
                                        ; implicit-def: $vgpr16_vgpr17
	s_cbranch_scc0 .LBB62_24
; %bb.23:                               ;   in Loop: Header=BB62_9 Depth=1
	v_div_scale_f64 v[16:17], null, v[14:15], v[14:15], 1.0
	v_div_scale_f64 v[24:25], vcc_lo, 1.0, v[14:15], 1.0
	s_mov_b32 s25, 0
	v_rcp_f64_e32 v[18:19], v[16:17]
	v_nop
	s_delay_alu instid0(TRANS32_DEP_1) | instskip(NEXT) | instid1(VALU_DEP_1)
	v_fma_f64 v[22:23], -v[16:17], v[18:19], 1.0
	v_fmac_f64_e32 v[18:19], v[18:19], v[22:23]
	s_delay_alu instid0(VALU_DEP_1) | instskip(NEXT) | instid1(VALU_DEP_1)
	v_fma_f64 v[22:23], -v[16:17], v[18:19], 1.0
	v_fmac_f64_e32 v[18:19], v[18:19], v[22:23]
	s_delay_alu instid0(VALU_DEP_1) | instskip(NEXT) | instid1(VALU_DEP_1)
	v_mul_f64_e32 v[22:23], v[24:25], v[18:19]
	v_fma_f64 v[16:17], -v[16:17], v[22:23], v[24:25]
	s_delay_alu instid0(VALU_DEP_1) | instskip(NEXT) | instid1(VALU_DEP_1)
	v_div_fmas_f64 v[16:17], v[16:17], v[18:19], v[22:23]
	v_div_fixup_f64 v[16:17], v[16:17], v[14:15], 1.0
	s_delay_alu instid0(VALU_DEP_1)
	v_dual_cndmask_b32 v17, v13, v17, s1 :: v_dual_cndmask_b32 v16, v12, v16, s1
.LBB62_24:                              ;   in Loop: Header=BB62_9 Depth=1
	s_mov_b32 s26, 4
	s_branch .LBB62_15
.LBB62_25:                              ;   in Loop: Header=BB62_9 Depth=1
	s_cmp_eq_u32 s5, 0
	s_cbranch_scc1 .LBB62_27
; %bb.26:                               ;   in Loop: Header=BB62_9 Depth=1
	s_mov_b32 s25, -1
	s_branch .LBB62_29
.LBB62_27:                              ;   in Loop: Header=BB62_9 Depth=1
	s_cmp_le_i32 s24, s16
	s_mov_b32 s25, 0
	s_cbranch_scc0 .LBB62_29
; %bb.28:                               ;   in Loop: Header=BB62_9 Depth=1
	s_cmp_lg_u32 s24, s16
	s_mov_b32 s13, -1
	s_cselect_b32 s25, -1, 0
.LBB62_29:                              ;   in Loop: Header=BB62_9 Depth=1
	v_mov_b64_e32 v[16:17], v[12:13]
	s_mov_b32 s26, 2
	v_mov_b64_e32 v[18:19], v[4:5]
	s_and_b32 vcc_lo, exec_lo, s25
	s_cbranch_vccz .LBB62_16
.LBB62_30:                              ;   in Loop: Header=BB62_9 Depth=1
	s_and_saveexec_b32 s13, s3
	s_cbranch_execz .LBB62_32
; %bb.31:                               ;   in Loop: Header=BB62_9 Depth=1
	s_add_co_i32 s26, s24, s7
	s_delay_alu instid0(SALU_CYCLE_1)
	v_mov_b32_e32 v7, s26
	global_load_b32 v7, v7, s[18:19] scale_offset scope:SCOPE_DEV
	s_wait_loadcnt 0x0
	v_cmp_ne_u32_e32 vcc_lo, 0, v7
	s_cbranch_vccz .LBB62_39
.LBB62_32:                              ;   in Loop: Header=BB62_9 Depth=1
	s_wait_xcnt 0x0
	s_or_b32 exec_lo, exec_lo, s13
	v_mov_b64_e32 v[18:19], 0
	s_wait_storecnt 0x0
	s_barrier_signal -1
	s_barrier_wait -1
	global_inv scope:SCOPE_DEV
	s_and_saveexec_b32 s13, s2
	s_cbranch_execz .LBB62_34
; %bb.33:                               ;   in Loop: Header=BB62_9 Depth=1
	s_ashr_i32 s25, s24, 31
	s_delay_alu instid0(SALU_CYCLE_1) | instskip(NEXT) | instid1(SALU_CYCLE_1)
	s_mul_u64 s[24:25], s[10:11], s[24:25]
	v_lshl_add_u64 v[16:17], s[24:25], 3, v[2:3]
	global_load_b64 v[16:17], v[16:17], off
	s_wait_loadcnt 0x0
	v_fma_f64 v[18:19], -v[14:15], v[16:17], v[4:5]
.LBB62_34:                              ;   in Loop: Header=BB62_9 Depth=1
	s_or_b32 exec_lo, exec_lo, s13
	v_mov_b64_e32 v[16:17], v[12:13]
	s_mov_b32 s26, 0
	s_branch .LBB62_17
.LBB62_35:                              ;   in Loop: Header=BB62_9 Depth=1
	v_div_scale_f64 v[16:17], null, v[14:15], v[14:15], 1.0
	v_div_scale_f64 v[24:25], vcc_lo, 1.0, v[14:15], 1.0
	s_mov_b32 s26, 2
	v_rcp_f64_e32 v[18:19], v[16:17]
	v_nop
	s_delay_alu instid0(TRANS32_DEP_1) | instskip(NEXT) | instid1(VALU_DEP_1)
	v_fma_f64 v[22:23], -v[16:17], v[18:19], 1.0
	v_fmac_f64_e32 v[18:19], v[18:19], v[22:23]
	s_delay_alu instid0(VALU_DEP_1) | instskip(NEXT) | instid1(VALU_DEP_1)
	v_fma_f64 v[22:23], -v[16:17], v[18:19], 1.0
	v_fmac_f64_e32 v[18:19], v[18:19], v[22:23]
	s_delay_alu instid0(VALU_DEP_1) | instskip(NEXT) | instid1(VALU_DEP_1)
	v_mul_f64_e32 v[22:23], v[24:25], v[18:19]
	v_fma_f64 v[16:17], -v[16:17], v[22:23], v[24:25]
	s_delay_alu instid0(VALU_DEP_1) | instskip(SKIP_1) | instid1(VALU_DEP_2)
	v_div_fmas_f64 v[16:17], v[16:17], v[18:19], v[22:23]
	v_mov_b64_e32 v[18:19], v[4:5]
	v_div_fixup_f64 v[14:15], v[16:17], v[14:15], 1.0
	s_delay_alu instid0(VALU_DEP_1)
	v_dual_cndmask_b32 v17, v13, v15, s1 :: v_dual_cndmask_b32 v16, v12, v14, s1
	s_mov_b32 s13, -1
	s_cmp_gt_i32 s26, 3
	s_mov_b32 s24, -1
	s_cbranch_scc1 .LBB62_18
.LBB62_36:                              ;   in Loop: Header=BB62_9 Depth=1
	s_cmp_eq_u32 s26, 0
	s_cselect_b32 s24, -1, 0
	s_delay_alu instid0(SALU_CYCLE_1)
	s_and_not1_b32 vcc_lo, exec_lo, s24
	s_cbranch_vccnz .LBB62_19
.LBB62_37:                              ;   in Loop: Header=BB62_9 Depth=1
	s_add_nc_u64 s[22:23], s[22:23], 1
	s_delay_alu instid0(SALU_CYCLE_1)
	v_cmp_ge_i64_e64 s13, s[22:23], s[14:15]
	s_and_not1_b32 vcc_lo, exec_lo, s13
	s_cbranch_vccz .LBB62_44
.LBB62_38:                              ;   in Loop: Header=BB62_9 Depth=1
	s_delay_alu instid0(VALU_DEP_1) | instskip(SKIP_2) | instid1(SALU_CYCLE_1)
	v_mov_b64_e32 v[4:5], v[18:19]
	v_mov_b64_e32 v[12:13], v[16:17]
	s_sub_co_i32 s13, s22, s12
	s_and_b32 s13, s13, 0x3ff
	s_delay_alu instid0(SALU_CYCLE_1)
	s_cmp_lg_u32 s13, 0
	s_cbranch_scc1 .LBB62_9
	s_branch .LBB62_6
.LBB62_39:                              ;   in Loop: Header=BB62_9 Depth=1
	s_ashr_i32 s27, s26, 31
	s_mov_b32 s25, 0
	s_lshl_b64 s[26:27], s[26:27], 2
	s_delay_alu instid0(SALU_CYCLE_1)
	s_add_nc_u64 s[26:27], s[18:19], s[26:27]
	s_branch .LBB62_41
.LBB62_40:                              ;   in Loop: Header=BB62_41 Depth=2
	global_load_b32 v7, v1, s[26:27] scope:SCOPE_DEV
	s_cmp_lt_u32 s25, 0xf43
	s_cselect_b32 s29, -1, 0
	s_delay_alu instid0(SALU_CYCLE_1)
	s_cmp_lg_u32 s29, 0
	s_add_co_ci_u32 s25, s25, 0
	s_wait_loadcnt 0x0
	v_cmp_ne_u32_e32 vcc_lo, 0, v7
	s_cbranch_vccnz .LBB62_32
.LBB62_41:                              ;   Parent Loop BB62_9 Depth=1
                                        ; =>  This Loop Header: Depth=2
                                        ;       Child Loop BB62_42 Depth 3
	s_cmp_eq_u32 s25, 0
	s_mov_b32 s29, s25
	s_cbranch_scc1 .LBB62_40
.LBB62_42:                              ;   Parent Loop BB62_9 Depth=1
                                        ;     Parent Loop BB62_41 Depth=2
                                        ; =>    This Inner Loop Header: Depth=3
	s_add_co_i32 s29, s29, -1
	s_sleep 1
	s_cmp_eq_u32 s29, 0
	s_cbranch_scc0 .LBB62_42
	s_branch .LBB62_40
.LBB62_43:
	v_mov_b64_e32 v[18:19], v[4:5]
.LBB62_44:
	s_and_saveexec_b32 s0, s2
	s_cbranch_execz .LBB62_46
; %bb.45:
	s_delay_alu instid0(VALU_DEP_1) | instskip(SKIP_3) | instid1(VALU_DEP_2)
	v_mul_f64_e32 v[4:5], v[16:17], v[18:19]
	s_cmp_eq_u32 s6, 0
	v_lshl_add_u64 v[2:3], s[20:21], 3, v[2:3]
	s_cselect_b32 vcc_lo, -1, 0
	v_dual_cndmask_b32 v5, v19, v5 :: v_dual_cndmask_b32 v4, v18, v4
	global_store_b64 v[2:3], v[4:5], off
.LBB62_46:
	s_wait_xcnt 0x0
	s_or_b32 exec_lo, exec_lo, s0
	global_wb scope:SCOPE_DEV
	s_wait_loadcnt 0x0
	s_wait_storecnt 0x0
	global_inv scope:SCOPE_DEV
	s_wait_loadcnt 0x0
	s_barrier_signal -1
	s_barrier_wait -1
	s_mov_b32 s0, exec_lo
	v_cmpx_eq_u32_e32 0, v0
	s_cbranch_execz .LBB62_48
; %bb.47:
	s_add_co_i32 s0, s16, s7
	s_delay_alu instid0(SALU_CYCLE_1)
	v_dual_mov_b32 v0, 1 :: v_dual_mov_b32 v1, s0
	global_store_b32 v1, v0, s[18:19] scale_offset scope:SCOPE_DEV
.LBB62_48:
	s_endpgm
	.section	.rodata,"a",@progbits
	.p2align	6, 0x0
	.amdhsa_kernel _ZN9rocsparseL5csrsmILj1024ELj64ELb1ElidEEv20rocsparse_operation_T3_S2_NS_24const_host_device_scalarIT4_EEPKT2_PKS2_PKS4_PS4_lPiSA_PS2_21rocsparse_index_base_20rocsparse_fill_mode_20rocsparse_diag_type_b
		.amdhsa_group_segment_fixed_size 12288
		.amdhsa_private_segment_fixed_size 0
		.amdhsa_kernarg_size 104
		.amdhsa_user_sgpr_count 2
		.amdhsa_user_sgpr_dispatch_ptr 0
		.amdhsa_user_sgpr_queue_ptr 0
		.amdhsa_user_sgpr_kernarg_segment_ptr 1
		.amdhsa_user_sgpr_dispatch_id 0
		.amdhsa_user_sgpr_kernarg_preload_length 0
		.amdhsa_user_sgpr_kernarg_preload_offset 0
		.amdhsa_user_sgpr_private_segment_size 0
		.amdhsa_wavefront_size32 1
		.amdhsa_uses_dynamic_stack 0
		.amdhsa_enable_private_segment 0
		.amdhsa_system_sgpr_workgroup_id_x 1
		.amdhsa_system_sgpr_workgroup_id_y 0
		.amdhsa_system_sgpr_workgroup_id_z 0
		.amdhsa_system_sgpr_workgroup_info 0
		.amdhsa_system_vgpr_workitem_id 0
		.amdhsa_next_free_vgpr 26
		.amdhsa_next_free_sgpr 30
		.amdhsa_named_barrier_count 0
		.amdhsa_reserve_vcc 1
		.amdhsa_float_round_mode_32 0
		.amdhsa_float_round_mode_16_64 0
		.amdhsa_float_denorm_mode_32 3
		.amdhsa_float_denorm_mode_16_64 3
		.amdhsa_fp16_overflow 0
		.amdhsa_memory_ordered 1
		.amdhsa_forward_progress 1
		.amdhsa_inst_pref_size 14
		.amdhsa_round_robin_scheduling 0
		.amdhsa_exception_fp_ieee_invalid_op 0
		.amdhsa_exception_fp_denorm_src 0
		.amdhsa_exception_fp_ieee_div_zero 0
		.amdhsa_exception_fp_ieee_overflow 0
		.amdhsa_exception_fp_ieee_underflow 0
		.amdhsa_exception_fp_ieee_inexact 0
		.amdhsa_exception_int_div_zero 0
	.end_amdhsa_kernel
	.section	.text._ZN9rocsparseL5csrsmILj1024ELj64ELb1ElidEEv20rocsparse_operation_T3_S2_NS_24const_host_device_scalarIT4_EEPKT2_PKS2_PKS4_PS4_lPiSA_PS2_21rocsparse_index_base_20rocsparse_fill_mode_20rocsparse_diag_type_b,"axG",@progbits,_ZN9rocsparseL5csrsmILj1024ELj64ELb1ElidEEv20rocsparse_operation_T3_S2_NS_24const_host_device_scalarIT4_EEPKT2_PKS2_PKS4_PS4_lPiSA_PS2_21rocsparse_index_base_20rocsparse_fill_mode_20rocsparse_diag_type_b,comdat
.Lfunc_end62:
	.size	_ZN9rocsparseL5csrsmILj1024ELj64ELb1ElidEEv20rocsparse_operation_T3_S2_NS_24const_host_device_scalarIT4_EEPKT2_PKS2_PKS4_PS4_lPiSA_PS2_21rocsparse_index_base_20rocsparse_fill_mode_20rocsparse_diag_type_b, .Lfunc_end62-_ZN9rocsparseL5csrsmILj1024ELj64ELb1ElidEEv20rocsparse_operation_T3_S2_NS_24const_host_device_scalarIT4_EEPKT2_PKS2_PKS4_PS4_lPiSA_PS2_21rocsparse_index_base_20rocsparse_fill_mode_20rocsparse_diag_type_b
                                        ; -- End function
	.set _ZN9rocsparseL5csrsmILj1024ELj64ELb1ElidEEv20rocsparse_operation_T3_S2_NS_24const_host_device_scalarIT4_EEPKT2_PKS2_PKS4_PS4_lPiSA_PS2_21rocsparse_index_base_20rocsparse_fill_mode_20rocsparse_diag_type_b.num_vgpr, 26
	.set _ZN9rocsparseL5csrsmILj1024ELj64ELb1ElidEEv20rocsparse_operation_T3_S2_NS_24const_host_device_scalarIT4_EEPKT2_PKS2_PKS4_PS4_lPiSA_PS2_21rocsparse_index_base_20rocsparse_fill_mode_20rocsparse_diag_type_b.num_agpr, 0
	.set _ZN9rocsparseL5csrsmILj1024ELj64ELb1ElidEEv20rocsparse_operation_T3_S2_NS_24const_host_device_scalarIT4_EEPKT2_PKS2_PKS4_PS4_lPiSA_PS2_21rocsparse_index_base_20rocsparse_fill_mode_20rocsparse_diag_type_b.numbered_sgpr, 30
	.set _ZN9rocsparseL5csrsmILj1024ELj64ELb1ElidEEv20rocsparse_operation_T3_S2_NS_24const_host_device_scalarIT4_EEPKT2_PKS2_PKS4_PS4_lPiSA_PS2_21rocsparse_index_base_20rocsparse_fill_mode_20rocsparse_diag_type_b.num_named_barrier, 0
	.set _ZN9rocsparseL5csrsmILj1024ELj64ELb1ElidEEv20rocsparse_operation_T3_S2_NS_24const_host_device_scalarIT4_EEPKT2_PKS2_PKS4_PS4_lPiSA_PS2_21rocsparse_index_base_20rocsparse_fill_mode_20rocsparse_diag_type_b.private_seg_size, 0
	.set _ZN9rocsparseL5csrsmILj1024ELj64ELb1ElidEEv20rocsparse_operation_T3_S2_NS_24const_host_device_scalarIT4_EEPKT2_PKS2_PKS4_PS4_lPiSA_PS2_21rocsparse_index_base_20rocsparse_fill_mode_20rocsparse_diag_type_b.uses_vcc, 1
	.set _ZN9rocsparseL5csrsmILj1024ELj64ELb1ElidEEv20rocsparse_operation_T3_S2_NS_24const_host_device_scalarIT4_EEPKT2_PKS2_PKS4_PS4_lPiSA_PS2_21rocsparse_index_base_20rocsparse_fill_mode_20rocsparse_diag_type_b.uses_flat_scratch, 0
	.set _ZN9rocsparseL5csrsmILj1024ELj64ELb1ElidEEv20rocsparse_operation_T3_S2_NS_24const_host_device_scalarIT4_EEPKT2_PKS2_PKS4_PS4_lPiSA_PS2_21rocsparse_index_base_20rocsparse_fill_mode_20rocsparse_diag_type_b.has_dyn_sized_stack, 0
	.set _ZN9rocsparseL5csrsmILj1024ELj64ELb1ElidEEv20rocsparse_operation_T3_S2_NS_24const_host_device_scalarIT4_EEPKT2_PKS2_PKS4_PS4_lPiSA_PS2_21rocsparse_index_base_20rocsparse_fill_mode_20rocsparse_diag_type_b.has_recursion, 0
	.set _ZN9rocsparseL5csrsmILj1024ELj64ELb1ElidEEv20rocsparse_operation_T3_S2_NS_24const_host_device_scalarIT4_EEPKT2_PKS2_PKS4_PS4_lPiSA_PS2_21rocsparse_index_base_20rocsparse_fill_mode_20rocsparse_diag_type_b.has_indirect_call, 0
	.section	.AMDGPU.csdata,"",@progbits
; Kernel info:
; codeLenInByte = 1776
; TotalNumSgprs: 32
; NumVgprs: 26
; ScratchSize: 0
; MemoryBound: 0
; FloatMode: 240
; IeeeMode: 1
; LDSByteSize: 12288 bytes/workgroup (compile time only)
; SGPRBlocks: 0
; VGPRBlocks: 1
; NumSGPRsForWavesPerEU: 32
; NumVGPRsForWavesPerEU: 26
; NamedBarCnt: 0
; Occupancy: 16
; WaveLimiterHint : 1
; COMPUTE_PGM_RSRC2:SCRATCH_EN: 0
; COMPUTE_PGM_RSRC2:USER_SGPR: 2
; COMPUTE_PGM_RSRC2:TRAP_HANDLER: 0
; COMPUTE_PGM_RSRC2:TGID_X_EN: 1
; COMPUTE_PGM_RSRC2:TGID_Y_EN: 0
; COMPUTE_PGM_RSRC2:TGID_Z_EN: 0
; COMPUTE_PGM_RSRC2:TIDIG_COMP_CNT: 0
	.section	.text._ZN9rocsparseL5csrsmILj1024ELj64ELb0ElidEEv20rocsparse_operation_T3_S2_NS_24const_host_device_scalarIT4_EEPKT2_PKS2_PKS4_PS4_lPiSA_PS2_21rocsparse_index_base_20rocsparse_fill_mode_20rocsparse_diag_type_b,"axG",@progbits,_ZN9rocsparseL5csrsmILj1024ELj64ELb0ElidEEv20rocsparse_operation_T3_S2_NS_24const_host_device_scalarIT4_EEPKT2_PKS2_PKS4_PS4_lPiSA_PS2_21rocsparse_index_base_20rocsparse_fill_mode_20rocsparse_diag_type_b,comdat
	.globl	_ZN9rocsparseL5csrsmILj1024ELj64ELb0ElidEEv20rocsparse_operation_T3_S2_NS_24const_host_device_scalarIT4_EEPKT2_PKS2_PKS4_PS4_lPiSA_PS2_21rocsparse_index_base_20rocsparse_fill_mode_20rocsparse_diag_type_b ; -- Begin function _ZN9rocsparseL5csrsmILj1024ELj64ELb0ElidEEv20rocsparse_operation_T3_S2_NS_24const_host_device_scalarIT4_EEPKT2_PKS2_PKS4_PS4_lPiSA_PS2_21rocsparse_index_base_20rocsparse_fill_mode_20rocsparse_diag_type_b
	.p2align	8
	.type	_ZN9rocsparseL5csrsmILj1024ELj64ELb0ElidEEv20rocsparse_operation_T3_S2_NS_24const_host_device_scalarIT4_EEPKT2_PKS2_PKS4_PS4_lPiSA_PS2_21rocsparse_index_base_20rocsparse_fill_mode_20rocsparse_diag_type_b,@function
_ZN9rocsparseL5csrsmILj1024ELj64ELb0ElidEEv20rocsparse_operation_T3_S2_NS_24const_host_device_scalarIT4_EEPKT2_PKS2_PKS4_PS4_lPiSA_PS2_21rocsparse_index_base_20rocsparse_fill_mode_20rocsparse_diag_type_b: ; @_ZN9rocsparseL5csrsmILj1024ELj64ELb0ElidEEv20rocsparse_operation_T3_S2_NS_24const_host_device_scalarIT4_EEPKT2_PKS2_PKS4_PS4_lPiSA_PS2_21rocsparse_index_base_20rocsparse_fill_mode_20rocsparse_diag_type_b
; %bb.0:
	s_clause 0x2
	s_load_b128 s[4:7], s[0:1], 0x58
	s_load_b128 s[12:15], s[0:1], 0x10
	s_load_b64 s[2:3], s[0:1], 0x48
	s_wait_kmcnt 0x0
	s_bitcmp1_b32 s7, 0
	v_mov_b64_e32 v[2:3], s[12:13]
	s_cselect_b32 s7, -1, 0
	s_delay_alu instid0(SALU_CYCLE_1)
	s_and_b32 vcc_lo, exec_lo, s7
	s_cbranch_vccnz .LBB63_2
; %bb.1:
	v_mov_b32_e32 v1, 0
	flat_load_b64 v[2:3], v1, s[12:13]
.LBB63_2:
	s_load_b64 s[20:21], s[0:1], 0x4
	s_bfe_u32 s9, ttmp6, 0x4000c
	s_and_b32 s8, ttmp6, 15
	s_add_co_i32 s9, s9, 1
	s_getreg_b32 s11, hwreg(HW_REG_IB_STS2, 6, 4)
	s_mul_i32 s9, ttmp9, s9
	v_mov_b64_e32 v[4:5], 0
	s_add_co_i32 s8, s8, s9
	s_wait_kmcnt 0x0
	s_cvt_f32_u32 s7, s20
	s_sub_co_i32 s10, 0, s20
	s_delay_alu instid0(SALU_CYCLE_2) | instskip(SKIP_1) | instid1(TRANS32_DEP_1)
	v_rcp_iflag_f32_e32 v1, s7
	v_nop
	v_readfirstlane_b32 s7, v1
	s_mul_f32 s7, s7, 0x4f7ffffe
	s_delay_alu instid0(SALU_CYCLE_3) | instskip(NEXT) | instid1(SALU_CYCLE_3)
	s_cvt_u32_f32 s7, s7
	s_mul_i32 s10, s10, s7
	s_delay_alu instid0(SALU_CYCLE_1) | instskip(NEXT) | instid1(SALU_CYCLE_1)
	s_mul_hi_u32 s10, s7, s10
	s_add_co_i32 s7, s7, s10
	s_cmp_eq_u32 s11, 0
	s_cselect_b32 s8, ttmp9, s8
	s_delay_alu instid0(SALU_CYCLE_1) | instskip(NEXT) | instid1(SALU_CYCLE_1)
	s_mul_hi_u32 s7, s8, s7
	s_mul_i32 s9, s7, s20
	s_add_co_i32 s10, s7, 1
	s_sub_co_i32 s9, s8, s9
	s_delay_alu instid0(SALU_CYCLE_1)
	s_sub_co_i32 s11, s9, s20
	s_cmp_ge_u32 s9, s20
	s_cselect_b32 s7, s10, s7
	s_cselect_b32 s9, s11, s9
	s_add_co_i32 s10, s7, 1
	s_cmp_ge_u32 s9, s20
	s_cselect_b32 s22, s10, s7
	s_delay_alu instid0(SALU_CYCLE_1) | instskip(SKIP_2) | instid1(SALU_CYCLE_1)
	s_mul_i32 s7, s22, s20
	v_lshl_or_b32 v6, s22, 10, v0
	s_sub_co_i32 s8, s8, s7
	s_ashr_i32 s9, s8, 31
	s_delay_alu instid0(VALU_DEP_1) | instskip(SKIP_1) | instid1(SALU_CYCLE_1)
	v_ashrrev_i32_e32 v7, 31, v6
	s_lshl_b64 s[8:9], s[8:9], 2
	s_add_nc_u64 s[2:3], s[2:3], s[8:9]
	s_load_b128 s[8:11], s[0:1], 0x30
	s_load_b32 s16, s[2:3], 0x0
	s_wait_kmcnt 0x0
	s_ashr_i32 s17, s16, 31
	s_delay_alu instid0(SALU_CYCLE_1) | instskip(NEXT) | instid1(SALU_CYCLE_1)
	s_lshl_b64 s[2:3], s[16:17], 3
	s_add_nc_u64 s[2:3], s[14:15], s[2:3]
	s_load_b64 s[18:19], s[0:1], 0x40
	s_load_b128 s[12:15], s[2:3], 0x0
	s_wait_xcnt 0x0
	v_cmp_gt_i32_e64 s2, s21, v6
	s_mul_u64 s[20:21], s[10:11], s[16:17]
	s_and_saveexec_b32 s3, s2
	s_cbranch_execz .LBB63_4
; %bb.3:
	v_add_nc_u64_e32 v[4:5], s[20:21], v[6:7]
	s_delay_alu instid0(VALU_DEP_1)
	v_lshl_add_u64 v[4:5], v[4:5], 3, s[8:9]
	global_load_b64 v[4:5], v[4:5], off
	s_wait_loadcnt_dscnt 0x0
	v_mul_f64_e32 v[4:5], v[2:3], v[4:5]
.LBB63_4:
	s_or_b32 exec_lo, exec_lo, s3
	s_wait_kmcnt 0x0
	v_cmp_ge_i64_e64 s3, s[12:13], s[14:15]
	v_mov_b64_e32 v[16:17], 1.0
	s_wait_loadcnt_dscnt 0x0
	v_lshl_add_u64 v[2:3], v[6:7], 3, s[8:9]
	s_and_b32 vcc_lo, exec_lo, s3
	v_cmp_eq_u32_e64 s3, 0, v0
	s_cbranch_vccnz .LBB63_41
; %bb.5:
	s_clause 0x1
	s_load_b128 s[24:27], s[0:1], 0x20
	s_load_b64 s[8:9], s[0:1], 0x50
	v_dual_mov_b32 v1, 0 :: v_dual_lshlrev_b32 v8, 2, v0
	v_lshlrev_b32_e32 v6, 3, v0
	s_cmp_lg_u32 s6, 0
	v_mov_b64_e32 v[12:13], 1.0
	s_delay_alu instid0(VALU_DEP_3)
	v_dual_mov_b32 v9, v1 :: v_dual_mov_b32 v7, v1
	v_or_b32_e32 v20, 0x2000, v8
	s_mov_b32 s23, 0
	s_mov_b32 s22, s4
	s_wait_xcnt 0x0
	v_cmp_ne_u32_e64 s0, 0, v0
	s_cselect_b32 s17, -1, 0
	s_add_co_i32 s28, s16, s4
	s_sub_nc_u64 s[12:13], s[12:13], s[22:23]
	s_cmp_eq_u32 s6, 0
	s_sub_nc_u64 s[14:15], s[14:15], s[22:23]
	s_cselect_b32 s1, -1, 0
	s_mov_b64 s[22:23], s[12:13]
	s_wait_kmcnt 0x0
	v_add_nc_u64_e32 v[8:9], s[24:25], v[8:9]
	v_add_nc_u64_e32 v[10:11], s[26:27], v[6:7]
	s_sub_co_i32 s13, s22, s12
	s_delay_alu instid0(SALU_CYCLE_1) | instskip(NEXT) | instid1(SALU_CYCLE_1)
	s_and_b32 s13, s13, 0x3ff
	s_cmp_lg_u32 s13, 0
	s_cbranch_scc1 .LBB63_9
.LBB63_6:
	s_sub_nc_u64 s[24:25], s[14:15], s[22:23]
	v_mov_b64_e32 v[14:15], -1.0
	v_cmp_gt_i64_e32 vcc_lo, s[24:25], v[0:1]
	v_mov_b32_e32 v7, -1
	s_and_saveexec_b32 s24, vcc_lo
	s_cbranch_execz .LBB63_8
; %bb.7:
	v_lshl_add_u64 v[14:15], s[22:23], 2, v[8:9]
	global_load_b32 v7, v[14:15], off
	s_wait_xcnt 0x0
	v_lshl_add_u64 v[14:15], s[22:23], 3, v[10:11]
	global_load_b64 v[14:15], v[14:15], off
	s_wait_loadcnt 0x1
	v_subrev_nc_u32_e32 v7, s4, v7
.LBB63_8:
	s_wait_xcnt 0x0
	s_or_b32 exec_lo, exec_lo, s24
	ds_store_b32 v20, v7
	s_wait_loadcnt 0x0
	ds_store_b64 v6, v[14:15]
.LBB63_9:                               ; =>This Loop Header: Depth=1
                                        ;     Child Loop BB63_33 Depth 2
	s_lshl_b32 s24, s13, 3
	s_wait_dscnt 0x0
	v_mov_b32_e32 v7, s24
	s_barrier_signal -1
	s_barrier_wait -1
	s_lshl_b32 s13, s13, 2
	ds_load_b64 v[14:15], v7
	v_mov_b32_e32 v7, s13
	ds_load_b32 v7, v7 offset:8192
	s_wait_dscnt 0x1
	v_cmp_neq_f64_e32 vcc_lo, 0, v[14:15]
	s_wait_dscnt 0x0
	v_readfirstlane_b32 s24, v7
	s_cmp_lg_u32 s24, s16
	s_cselect_b32 s13, -1, 0
	s_delay_alu instid0(SALU_CYCLE_1) | instskip(NEXT) | instid1(SALU_CYCLE_1)
	s_or_b32 s13, s17, s13
	s_or_b32 vcc_lo, vcc_lo, s13
	v_cndmask_b32_e32 v15, 0x3ff00000, v15, vcc_lo
	v_cndmask_b32_e32 v14, 0, v14, vcc_lo
	s_nor_b32 s25, s0, vcc_lo
	s_delay_alu instid0(SALU_CYCLE_1)
	s_and_saveexec_b32 s13, s25
	s_cbranch_execz .LBB63_13
; %bb.10:                               ;   in Loop: Header=BB63_9 Depth=1
	v_mbcnt_lo_u32_b32 v7, exec_lo, 0
	s_mov_b32 s25, exec_lo
	s_delay_alu instid0(VALU_DEP_1)
	v_cmpx_eq_u32_e32 0, v7
	s_cbranch_execz .LBB63_12
; %bb.11:                               ;   in Loop: Header=BB63_9 Depth=1
	v_mov_b32_e32 v7, s28
	global_atomic_min_i32 v1, v7, s[8:9] scope:SCOPE_DEV
.LBB63_12:                              ;   in Loop: Header=BB63_9 Depth=1
	s_wait_xcnt 0x0
	s_or_b32 exec_lo, exec_lo, s25
	v_mov_b64_e32 v[14:15], 1.0
.LBB63_13:                              ;   in Loop: Header=BB63_9 Depth=1
	s_or_b32 exec_lo, exec_lo, s13
	s_mov_b32 s26, -1
	s_mov_b32 s13, 0
	s_cmp_lt_i32 s5, 1
	s_mov_b32 s25, 0
                                        ; implicit-def: $vgpr16_vgpr17
	s_cbranch_scc0 .LBB63_20
; %bb.14:                               ;   in Loop: Header=BB63_9 Depth=1
	s_and_b32 vcc_lo, exec_lo, s26
	s_mov_b32 s26, 4
	s_cbranch_vccnz .LBB63_25
.LBB63_15:                              ;   in Loop: Header=BB63_9 Depth=1
	v_mov_b64_e32 v[18:19], v[4:5]
	s_and_b32 vcc_lo, exec_lo, s25
	s_cbranch_vccnz .LBB63_30
.LBB63_16:                              ;   in Loop: Header=BB63_9 Depth=1
	s_and_b32 vcc_lo, exec_lo, s13
	s_cbranch_vccnz .LBB63_37
.LBB63_17:                              ;   in Loop: Header=BB63_9 Depth=1
	s_mov_b32 s13, -1
	s_cmp_gt_i32 s26, 3
	s_mov_b32 s24, -1
	s_cbranch_scc0 .LBB63_38
.LBB63_18:                              ;   in Loop: Header=BB63_9 Depth=1
	s_and_not1_b32 vcc_lo, exec_lo, s24
	s_cbranch_vccz .LBB63_39
.LBB63_19:                              ;   in Loop: Header=BB63_9 Depth=1
	s_and_not1_b32 vcc_lo, exec_lo, s13
	s_cbranch_vccnz .LBB63_40
	s_branch .LBB63_42
.LBB63_20:                              ;   in Loop: Header=BB63_9 Depth=1
	s_cmp_eq_u32 s5, 1
	s_mov_b32 s25, -1
                                        ; implicit-def: $vgpr16_vgpr17
	s_cbranch_scc0 .LBB63_24
; %bb.21:                               ;   in Loop: Header=BB63_9 Depth=1
	v_mov_b64_e32 v[16:17], v[12:13]
	s_cmp_ge_i32 s24, s16
	s_mov_b32 s25, 0
	s_cbranch_scc0 .LBB63_24
; %bb.22:                               ;   in Loop: Header=BB63_9 Depth=1
	s_cmp_eq_u32 s24, s16
	s_mov_b32 s25, -1
                                        ; implicit-def: $vgpr16_vgpr17
	s_cbranch_scc0 .LBB63_24
; %bb.23:                               ;   in Loop: Header=BB63_9 Depth=1
	v_div_scale_f64 v[16:17], null, v[14:15], v[14:15], 1.0
	v_div_scale_f64 v[24:25], vcc_lo, 1.0, v[14:15], 1.0
	s_mov_b32 s25, 0
	v_rcp_f64_e32 v[18:19], v[16:17]
	v_nop
	s_delay_alu instid0(TRANS32_DEP_1) | instskip(NEXT) | instid1(VALU_DEP_1)
	v_fma_f64 v[22:23], -v[16:17], v[18:19], 1.0
	v_fmac_f64_e32 v[18:19], v[18:19], v[22:23]
	s_delay_alu instid0(VALU_DEP_1) | instskip(NEXT) | instid1(VALU_DEP_1)
	v_fma_f64 v[22:23], -v[16:17], v[18:19], 1.0
	v_fmac_f64_e32 v[18:19], v[18:19], v[22:23]
	s_delay_alu instid0(VALU_DEP_1) | instskip(NEXT) | instid1(VALU_DEP_1)
	v_mul_f64_e32 v[22:23], v[24:25], v[18:19]
	v_fma_f64 v[16:17], -v[16:17], v[22:23], v[24:25]
	s_delay_alu instid0(VALU_DEP_1) | instskip(NEXT) | instid1(VALU_DEP_1)
	v_div_fmas_f64 v[16:17], v[16:17], v[18:19], v[22:23]
	v_div_fixup_f64 v[16:17], v[16:17], v[14:15], 1.0
	s_delay_alu instid0(VALU_DEP_1)
	v_dual_cndmask_b32 v17, v13, v17, s1 :: v_dual_cndmask_b32 v16, v12, v16, s1
.LBB63_24:                              ;   in Loop: Header=BB63_9 Depth=1
	s_mov_b32 s26, 4
	s_branch .LBB63_15
.LBB63_25:                              ;   in Loop: Header=BB63_9 Depth=1
	s_cmp_eq_u32 s5, 0
	s_cbranch_scc1 .LBB63_27
; %bb.26:                               ;   in Loop: Header=BB63_9 Depth=1
	s_mov_b32 s25, -1
	s_branch .LBB63_29
.LBB63_27:                              ;   in Loop: Header=BB63_9 Depth=1
	s_cmp_le_i32 s24, s16
	s_mov_b32 s25, 0
	s_cbranch_scc0 .LBB63_29
; %bb.28:                               ;   in Loop: Header=BB63_9 Depth=1
	s_cmp_lg_u32 s24, s16
	s_mov_b32 s13, -1
	s_cselect_b32 s25, -1, 0
.LBB63_29:                              ;   in Loop: Header=BB63_9 Depth=1
	v_mov_b64_e32 v[16:17], v[12:13]
	s_mov_b32 s26, 2
	v_mov_b64_e32 v[18:19], v[4:5]
	s_and_b32 vcc_lo, exec_lo, s25
	s_cbranch_vccz .LBB63_16
.LBB63_30:                              ;   in Loop: Header=BB63_9 Depth=1
	s_and_saveexec_b32 s13, s3
	s_cbranch_execz .LBB63_34
; %bb.31:                               ;   in Loop: Header=BB63_9 Depth=1
	s_add_co_i32 s26, s24, s7
	s_delay_alu instid0(SALU_CYCLE_1)
	v_mov_b32_e32 v7, s26
	global_load_b32 v7, v7, s[18:19] scale_offset scope:SCOPE_DEV
	s_wait_loadcnt 0x0
	v_cmp_ne_u32_e32 vcc_lo, 0, v7
	s_cbranch_vccnz .LBB63_34
; %bb.32:                               ;   in Loop: Header=BB63_9 Depth=1
	s_ashr_i32 s27, s26, 31
	s_delay_alu instid0(SALU_CYCLE_1) | instskip(NEXT) | instid1(SALU_CYCLE_1)
	s_lshl_b64 s[26:27], s[26:27], 2
	s_add_nc_u64 s[26:27], s[18:19], s[26:27]
.LBB63_33:                              ;   Parent Loop BB63_9 Depth=1
                                        ; =>  This Inner Loop Header: Depth=2
	global_load_b32 v7, v1, s[26:27] scope:SCOPE_DEV
	s_wait_loadcnt 0x0
	v_cmp_eq_u32_e32 vcc_lo, 0, v7
	s_cbranch_vccnz .LBB63_33
.LBB63_34:                              ;   in Loop: Header=BB63_9 Depth=1
	s_wait_xcnt 0x0
	s_or_b32 exec_lo, exec_lo, s13
	v_mov_b64_e32 v[18:19], 0
	s_wait_storecnt 0x0
	s_barrier_signal -1
	s_barrier_wait -1
	global_inv scope:SCOPE_DEV
	s_and_saveexec_b32 s13, s2
	s_cbranch_execz .LBB63_36
; %bb.35:                               ;   in Loop: Header=BB63_9 Depth=1
	s_ashr_i32 s25, s24, 31
	s_delay_alu instid0(SALU_CYCLE_1) | instskip(NEXT) | instid1(SALU_CYCLE_1)
	s_mul_u64 s[24:25], s[10:11], s[24:25]
	v_lshl_add_u64 v[16:17], s[24:25], 3, v[2:3]
	global_load_b64 v[16:17], v[16:17], off
	s_wait_loadcnt 0x0
	v_fma_f64 v[18:19], -v[14:15], v[16:17], v[4:5]
.LBB63_36:                              ;   in Loop: Header=BB63_9 Depth=1
	s_or_b32 exec_lo, exec_lo, s13
	v_mov_b64_e32 v[16:17], v[12:13]
	s_mov_b32 s26, 0
	s_branch .LBB63_17
.LBB63_37:                              ;   in Loop: Header=BB63_9 Depth=1
	v_div_scale_f64 v[16:17], null, v[14:15], v[14:15], 1.0
	v_div_scale_f64 v[24:25], vcc_lo, 1.0, v[14:15], 1.0
	s_mov_b32 s26, 2
	v_rcp_f64_e32 v[18:19], v[16:17]
	v_nop
	s_delay_alu instid0(TRANS32_DEP_1) | instskip(NEXT) | instid1(VALU_DEP_1)
	v_fma_f64 v[22:23], -v[16:17], v[18:19], 1.0
	v_fmac_f64_e32 v[18:19], v[18:19], v[22:23]
	s_delay_alu instid0(VALU_DEP_1) | instskip(NEXT) | instid1(VALU_DEP_1)
	v_fma_f64 v[22:23], -v[16:17], v[18:19], 1.0
	v_fmac_f64_e32 v[18:19], v[18:19], v[22:23]
	s_delay_alu instid0(VALU_DEP_1) | instskip(NEXT) | instid1(VALU_DEP_1)
	v_mul_f64_e32 v[22:23], v[24:25], v[18:19]
	v_fma_f64 v[16:17], -v[16:17], v[22:23], v[24:25]
	s_delay_alu instid0(VALU_DEP_1) | instskip(SKIP_1) | instid1(VALU_DEP_2)
	v_div_fmas_f64 v[16:17], v[16:17], v[18:19], v[22:23]
	v_mov_b64_e32 v[18:19], v[4:5]
	v_div_fixup_f64 v[14:15], v[16:17], v[14:15], 1.0
	s_delay_alu instid0(VALU_DEP_1)
	v_dual_cndmask_b32 v17, v13, v15, s1 :: v_dual_cndmask_b32 v16, v12, v14, s1
	s_mov_b32 s13, -1
	s_cmp_gt_i32 s26, 3
	s_mov_b32 s24, -1
	s_cbranch_scc1 .LBB63_18
.LBB63_38:                              ;   in Loop: Header=BB63_9 Depth=1
	s_cmp_eq_u32 s26, 0
	s_cselect_b32 s24, -1, 0
	s_delay_alu instid0(SALU_CYCLE_1)
	s_and_not1_b32 vcc_lo, exec_lo, s24
	s_cbranch_vccnz .LBB63_19
.LBB63_39:                              ;   in Loop: Header=BB63_9 Depth=1
	s_add_nc_u64 s[22:23], s[22:23], 1
	s_delay_alu instid0(SALU_CYCLE_1)
	v_cmp_ge_i64_e64 s13, s[22:23], s[14:15]
	s_and_not1_b32 vcc_lo, exec_lo, s13
	s_cbranch_vccz .LBB63_42
.LBB63_40:                              ;   in Loop: Header=BB63_9 Depth=1
	s_delay_alu instid0(VALU_DEP_1) | instskip(SKIP_2) | instid1(SALU_CYCLE_1)
	v_mov_b64_e32 v[4:5], v[18:19]
	v_mov_b64_e32 v[12:13], v[16:17]
	s_sub_co_i32 s13, s22, s12
	s_and_b32 s13, s13, 0x3ff
	s_delay_alu instid0(SALU_CYCLE_1)
	s_cmp_lg_u32 s13, 0
	s_cbranch_scc1 .LBB63_9
	s_branch .LBB63_6
.LBB63_41:
	v_mov_b64_e32 v[18:19], v[4:5]
.LBB63_42:
	s_and_saveexec_b32 s0, s2
	s_cbranch_execz .LBB63_44
; %bb.43:
	s_delay_alu instid0(VALU_DEP_1) | instskip(SKIP_3) | instid1(VALU_DEP_2)
	v_mul_f64_e32 v[4:5], v[16:17], v[18:19]
	s_cmp_eq_u32 s6, 0
	v_lshl_add_u64 v[2:3], s[20:21], 3, v[2:3]
	s_cselect_b32 vcc_lo, -1, 0
	v_dual_cndmask_b32 v5, v19, v5 :: v_dual_cndmask_b32 v4, v18, v4
	global_store_b64 v[2:3], v[4:5], off
.LBB63_44:
	s_wait_xcnt 0x0
	s_or_b32 exec_lo, exec_lo, s0
	global_wb scope:SCOPE_DEV
	s_wait_loadcnt 0x0
	s_wait_storecnt 0x0
	global_inv scope:SCOPE_DEV
	s_wait_loadcnt 0x0
	s_barrier_signal -1
	s_barrier_wait -1
	s_mov_b32 s0, exec_lo
	v_cmpx_eq_u32_e32 0, v0
	s_cbranch_execz .LBB63_46
; %bb.45:
	s_add_co_i32 s0, s16, s7
	s_delay_alu instid0(SALU_CYCLE_1)
	v_dual_mov_b32 v0, 1 :: v_dual_mov_b32 v1, s0
	global_store_b32 v1, v0, s[18:19] scale_offset scope:SCOPE_DEV
.LBB63_46:
	s_endpgm
	.section	.rodata,"a",@progbits
	.p2align	6, 0x0
	.amdhsa_kernel _ZN9rocsparseL5csrsmILj1024ELj64ELb0ElidEEv20rocsparse_operation_T3_S2_NS_24const_host_device_scalarIT4_EEPKT2_PKS2_PKS4_PS4_lPiSA_PS2_21rocsparse_index_base_20rocsparse_fill_mode_20rocsparse_diag_type_b
		.amdhsa_group_segment_fixed_size 12288
		.amdhsa_private_segment_fixed_size 0
		.amdhsa_kernarg_size 104
		.amdhsa_user_sgpr_count 2
		.amdhsa_user_sgpr_dispatch_ptr 0
		.amdhsa_user_sgpr_queue_ptr 0
		.amdhsa_user_sgpr_kernarg_segment_ptr 1
		.amdhsa_user_sgpr_dispatch_id 0
		.amdhsa_user_sgpr_kernarg_preload_length 0
		.amdhsa_user_sgpr_kernarg_preload_offset 0
		.amdhsa_user_sgpr_private_segment_size 0
		.amdhsa_wavefront_size32 1
		.amdhsa_uses_dynamic_stack 0
		.amdhsa_enable_private_segment 0
		.amdhsa_system_sgpr_workgroup_id_x 1
		.amdhsa_system_sgpr_workgroup_id_y 0
		.amdhsa_system_sgpr_workgroup_id_z 0
		.amdhsa_system_sgpr_workgroup_info 0
		.amdhsa_system_vgpr_workitem_id 0
		.amdhsa_next_free_vgpr 26
		.amdhsa_next_free_sgpr 29
		.amdhsa_named_barrier_count 0
		.amdhsa_reserve_vcc 1
		.amdhsa_float_round_mode_32 0
		.amdhsa_float_round_mode_16_64 0
		.amdhsa_float_denorm_mode_32 3
		.amdhsa_float_denorm_mode_16_64 3
		.amdhsa_fp16_overflow 0
		.amdhsa_memory_ordered 1
		.amdhsa_forward_progress 1
		.amdhsa_inst_pref_size 14
		.amdhsa_round_robin_scheduling 0
		.amdhsa_exception_fp_ieee_invalid_op 0
		.amdhsa_exception_fp_denorm_src 0
		.amdhsa_exception_fp_ieee_div_zero 0
		.amdhsa_exception_fp_ieee_overflow 0
		.amdhsa_exception_fp_ieee_underflow 0
		.amdhsa_exception_fp_ieee_inexact 0
		.amdhsa_exception_int_div_zero 0
	.end_amdhsa_kernel
	.section	.text._ZN9rocsparseL5csrsmILj1024ELj64ELb0ElidEEv20rocsparse_operation_T3_S2_NS_24const_host_device_scalarIT4_EEPKT2_PKS2_PKS4_PS4_lPiSA_PS2_21rocsparse_index_base_20rocsparse_fill_mode_20rocsparse_diag_type_b,"axG",@progbits,_ZN9rocsparseL5csrsmILj1024ELj64ELb0ElidEEv20rocsparse_operation_T3_S2_NS_24const_host_device_scalarIT4_EEPKT2_PKS2_PKS4_PS4_lPiSA_PS2_21rocsparse_index_base_20rocsparse_fill_mode_20rocsparse_diag_type_b,comdat
.Lfunc_end63:
	.size	_ZN9rocsparseL5csrsmILj1024ELj64ELb0ElidEEv20rocsparse_operation_T3_S2_NS_24const_host_device_scalarIT4_EEPKT2_PKS2_PKS4_PS4_lPiSA_PS2_21rocsparse_index_base_20rocsparse_fill_mode_20rocsparse_diag_type_b, .Lfunc_end63-_ZN9rocsparseL5csrsmILj1024ELj64ELb0ElidEEv20rocsparse_operation_T3_S2_NS_24const_host_device_scalarIT4_EEPKT2_PKS2_PKS4_PS4_lPiSA_PS2_21rocsparse_index_base_20rocsparse_fill_mode_20rocsparse_diag_type_b
                                        ; -- End function
	.set _ZN9rocsparseL5csrsmILj1024ELj64ELb0ElidEEv20rocsparse_operation_T3_S2_NS_24const_host_device_scalarIT4_EEPKT2_PKS2_PKS4_PS4_lPiSA_PS2_21rocsparse_index_base_20rocsparse_fill_mode_20rocsparse_diag_type_b.num_vgpr, 26
	.set _ZN9rocsparseL5csrsmILj1024ELj64ELb0ElidEEv20rocsparse_operation_T3_S2_NS_24const_host_device_scalarIT4_EEPKT2_PKS2_PKS4_PS4_lPiSA_PS2_21rocsparse_index_base_20rocsparse_fill_mode_20rocsparse_diag_type_b.num_agpr, 0
	.set _ZN9rocsparseL5csrsmILj1024ELj64ELb0ElidEEv20rocsparse_operation_T3_S2_NS_24const_host_device_scalarIT4_EEPKT2_PKS2_PKS4_PS4_lPiSA_PS2_21rocsparse_index_base_20rocsparse_fill_mode_20rocsparse_diag_type_b.numbered_sgpr, 29
	.set _ZN9rocsparseL5csrsmILj1024ELj64ELb0ElidEEv20rocsparse_operation_T3_S2_NS_24const_host_device_scalarIT4_EEPKT2_PKS2_PKS4_PS4_lPiSA_PS2_21rocsparse_index_base_20rocsparse_fill_mode_20rocsparse_diag_type_b.num_named_barrier, 0
	.set _ZN9rocsparseL5csrsmILj1024ELj64ELb0ElidEEv20rocsparse_operation_T3_S2_NS_24const_host_device_scalarIT4_EEPKT2_PKS2_PKS4_PS4_lPiSA_PS2_21rocsparse_index_base_20rocsparse_fill_mode_20rocsparse_diag_type_b.private_seg_size, 0
	.set _ZN9rocsparseL5csrsmILj1024ELj64ELb0ElidEEv20rocsparse_operation_T3_S2_NS_24const_host_device_scalarIT4_EEPKT2_PKS2_PKS4_PS4_lPiSA_PS2_21rocsparse_index_base_20rocsparse_fill_mode_20rocsparse_diag_type_b.uses_vcc, 1
	.set _ZN9rocsparseL5csrsmILj1024ELj64ELb0ElidEEv20rocsparse_operation_T3_S2_NS_24const_host_device_scalarIT4_EEPKT2_PKS2_PKS4_PS4_lPiSA_PS2_21rocsparse_index_base_20rocsparse_fill_mode_20rocsparse_diag_type_b.uses_flat_scratch, 0
	.set _ZN9rocsparseL5csrsmILj1024ELj64ELb0ElidEEv20rocsparse_operation_T3_S2_NS_24const_host_device_scalarIT4_EEPKT2_PKS2_PKS4_PS4_lPiSA_PS2_21rocsparse_index_base_20rocsparse_fill_mode_20rocsparse_diag_type_b.has_dyn_sized_stack, 0
	.set _ZN9rocsparseL5csrsmILj1024ELj64ELb0ElidEEv20rocsparse_operation_T3_S2_NS_24const_host_device_scalarIT4_EEPKT2_PKS2_PKS4_PS4_lPiSA_PS2_21rocsparse_index_base_20rocsparse_fill_mode_20rocsparse_diag_type_b.has_recursion, 0
	.set _ZN9rocsparseL5csrsmILj1024ELj64ELb0ElidEEv20rocsparse_operation_T3_S2_NS_24const_host_device_scalarIT4_EEPKT2_PKS2_PKS4_PS4_lPiSA_PS2_21rocsparse_index_base_20rocsparse_fill_mode_20rocsparse_diag_type_b.has_indirect_call, 0
	.section	.AMDGPU.csdata,"",@progbits
; Kernel info:
; codeLenInByte = 1712
; TotalNumSgprs: 31
; NumVgprs: 26
; ScratchSize: 0
; MemoryBound: 0
; FloatMode: 240
; IeeeMode: 1
; LDSByteSize: 12288 bytes/workgroup (compile time only)
; SGPRBlocks: 0
; VGPRBlocks: 1
; NumSGPRsForWavesPerEU: 31
; NumVGPRsForWavesPerEU: 26
; NamedBarCnt: 0
; Occupancy: 16
; WaveLimiterHint : 1
; COMPUTE_PGM_RSRC2:SCRATCH_EN: 0
; COMPUTE_PGM_RSRC2:USER_SGPR: 2
; COMPUTE_PGM_RSRC2:TRAP_HANDLER: 0
; COMPUTE_PGM_RSRC2:TGID_X_EN: 1
; COMPUTE_PGM_RSRC2:TGID_Y_EN: 0
; COMPUTE_PGM_RSRC2:TGID_Z_EN: 0
; COMPUTE_PGM_RSRC2:TIDIG_COMP_CNT: 0
	.section	.text._ZN9rocsparseL5csrsmILj64ELj64ELb1Eli21rocsparse_complex_numIfEEEv20rocsparse_operation_T3_S4_NS_24const_host_device_scalarIT4_EEPKT2_PKS4_PKS6_PS6_lPiSC_PS4_21rocsparse_index_base_20rocsparse_fill_mode_20rocsparse_diag_type_b,"axG",@progbits,_ZN9rocsparseL5csrsmILj64ELj64ELb1Eli21rocsparse_complex_numIfEEEv20rocsparse_operation_T3_S4_NS_24const_host_device_scalarIT4_EEPKT2_PKS4_PKS6_PS6_lPiSC_PS4_21rocsparse_index_base_20rocsparse_fill_mode_20rocsparse_diag_type_b,comdat
	.globl	_ZN9rocsparseL5csrsmILj64ELj64ELb1Eli21rocsparse_complex_numIfEEEv20rocsparse_operation_T3_S4_NS_24const_host_device_scalarIT4_EEPKT2_PKS4_PKS6_PS6_lPiSC_PS4_21rocsparse_index_base_20rocsparse_fill_mode_20rocsparse_diag_type_b ; -- Begin function _ZN9rocsparseL5csrsmILj64ELj64ELb1Eli21rocsparse_complex_numIfEEEv20rocsparse_operation_T3_S4_NS_24const_host_device_scalarIT4_EEPKT2_PKS4_PKS6_PS6_lPiSC_PS4_21rocsparse_index_base_20rocsparse_fill_mode_20rocsparse_diag_type_b
	.p2align	8
	.type	_ZN9rocsparseL5csrsmILj64ELj64ELb1Eli21rocsparse_complex_numIfEEEv20rocsparse_operation_T3_S4_NS_24const_host_device_scalarIT4_EEPKT2_PKS4_PKS6_PS6_lPiSC_PS4_21rocsparse_index_base_20rocsparse_fill_mode_20rocsparse_diag_type_b,@function
_ZN9rocsparseL5csrsmILj64ELj64ELb1Eli21rocsparse_complex_numIfEEEv20rocsparse_operation_T3_S4_NS_24const_host_device_scalarIT4_EEPKT2_PKS4_PKS6_PS6_lPiSC_PS4_21rocsparse_index_base_20rocsparse_fill_mode_20rocsparse_diag_type_b: ; @_ZN9rocsparseL5csrsmILj64ELj64ELb1Eli21rocsparse_complex_numIfEEEv20rocsparse_operation_T3_S4_NS_24const_host_device_scalarIT4_EEPKT2_PKS4_PKS6_PS6_lPiSC_PS4_21rocsparse_index_base_20rocsparse_fill_mode_20rocsparse_diag_type_b
; %bb.0:
	s_clause 0x1
	s_load_b128 s[4:7], s[0:1], 0x58
	s_load_b64 s[2:3], s[0:1], 0x10
	s_wait_kmcnt 0x0
	s_bitcmp1_b32 s7, 0
	s_mov_b32 s19, s2
	s_cselect_b32 s8, -1, 0
	s_delay_alu instid0(SALU_CYCLE_1)
	s_xor_b32 s7, s8, -1
	s_and_b32 vcc_lo, exec_lo, s8
	s_cbranch_vccnz .LBB64_2
; %bb.1:
	s_load_b32 s19, s[2:3], 0x0
.LBB64_2:
	s_clause 0x1
	s_load_b64 s[12:13], s[0:1], 0x18
	s_load_b64 s[8:9], s[0:1], 0x48
	s_and_not1_b32 vcc_lo, exec_lo, s7
	s_cbranch_vccnz .LBB64_4
; %bb.3:
	s_wait_xcnt 0x0
	s_load_b32 s3, s[2:3], 0x4
.LBB64_4:
	s_nop 0
	s_load_b96 s[16:18], s[0:1], 0x0
	s_bfe_u32 s10, ttmp6, 0x4000c
	s_and_b32 s7, ttmp6, 15
	s_add_co_i32 s10, s10, 1
	s_getreg_b32 s14, hwreg(HW_REG_IB_STS2, 6, 4)
	s_mul_i32 s10, ttmp9, s10
	s_delay_alu instid0(SALU_CYCLE_1) | instskip(SKIP_3) | instid1(SALU_CYCLE_2)
	s_add_co_i32 s7, s7, s10
	s_wait_kmcnt 0x0
	s_cvt_f32_u32 s2, s17
	s_sub_co_i32 s11, 0, s17
	v_rcp_iflag_f32_e32 v1, s2
	v_nop
	s_delay_alu instid0(TRANS32_DEP_1) | instskip(SKIP_1) | instid1(SALU_CYCLE_3)
	v_readfirstlane_b32 s2, v1
	s_mul_f32 s2, s2, 0x4f7ffffe
	s_cvt_u32_f32 s2, s2
	s_delay_alu instid0(SALU_CYCLE_3) | instskip(NEXT) | instid1(SALU_CYCLE_1)
	s_mul_i32 s11, s11, s2
	s_mul_hi_u32 s11, s2, s11
	s_delay_alu instid0(SALU_CYCLE_1) | instskip(SKIP_2) | instid1(SALU_CYCLE_1)
	s_add_co_i32 s2, s2, s11
	s_cmp_eq_u32 s14, 0
	s_cselect_b32 s10, ttmp9, s7
	s_mul_hi_u32 s2, s10, s2
	s_delay_alu instid0(SALU_CYCLE_1) | instskip(SKIP_2) | instid1(SALU_CYCLE_1)
	s_mul_i32 s7, s2, s17
	s_add_co_i32 s11, s2, 1
	s_sub_co_i32 s7, s10, s7
	s_sub_co_i32 s14, s7, s17
	s_cmp_ge_u32 s7, s17
	s_cselect_b32 s2, s11, s2
	s_cselect_b32 s7, s14, s7
	s_add_co_i32 s11, s2, 1
	s_cmp_ge_u32 s7, s17
	s_cselect_b32 s2, s11, s2
	s_delay_alu instid0(SALU_CYCLE_1) | instskip(SKIP_2) | instid1(SALU_CYCLE_1)
	s_mul_i32 s7, s2, s17
	v_lshl_or_b32 v2, s2, 6, v0
	s_sub_co_i32 s10, s10, s7
	s_ashr_i32 s11, s10, 31
	s_delay_alu instid0(VALU_DEP_1)
	v_ashrrev_i32_e32 v3, 31, v2
	s_lshl_b64 s[10:11], s[10:11], 2
	v_cmp_gt_i32_e64 s2, s18, v2
	s_add_nc_u64 s[14:15], s[8:9], s[10:11]
	s_load_b32 s20, s[14:15], 0x0
	s_load_b128 s[8:11], s[0:1], 0x30
	s_wait_kmcnt 0x0
	s_ashr_i32 s21, s20, 31
	s_delay_alu instid0(SALU_CYCLE_1)
	s_lshl_b64 s[14:15], s[20:21], 3
	s_cmp_lg_u32 s16, 0x71
	s_add_nc_u64 s[22:23], s[12:13], s[14:15]
	s_load_b128 s[12:15], s[22:23], 0x0
	s_wait_xcnt 0x0
	s_mul_u64 s[22:23], s[10:11], s[20:21]
	s_delay_alu instid0(SALU_CYCLE_1)
	v_add_nc_u64_e32 v[6:7], s[22:23], v[2:3]
	s_cbranch_scc0 .LBB64_8
; %bb.5:
	v_mov_b64_e32 v[4:5], 0
	s_and_saveexec_b32 s16, s2
	s_cbranch_execz .LBB64_7
; %bb.6:
	s_delay_alu instid0(VALU_DEP_2) | instskip(SKIP_1) | instid1(SALU_CYCLE_1)
	v_lshl_add_u64 v[4:5], v[6:7], 3, s[8:9]
	s_xor_b32 s17, s3, 0x80000000
	v_dual_mov_b32 v9, s19 :: v_dual_mov_b32 v11, s17
	v_dual_mov_b32 v10, s19 :: v_dual_mov_b32 v8, s3
	global_load_b64 v[4:5], v[4:5], off
	s_wait_loadcnt 0x0
	v_pk_mul_f32 v[10:11], v[4:5], v[10:11] op_sel:[1,0]
	s_delay_alu instid0(VALU_DEP_1)
	v_pk_fma_f32 v[4:5], v[8:9], v[4:5], v[10:11] op_sel_hi:[1,0,1]
.LBB64_7:
	s_or_b32 exec_lo, exec_lo, s16
	s_load_b64 s[16:17], s[0:1], 0x40
	s_cbranch_execz .LBB64_9
	s_branch .LBB64_12
.LBB64_8:
                                        ; implicit-def: $vgpr4_vgpr5
	s_load_b64 s[16:17], s[0:1], 0x40
.LBB64_9:
	v_mov_b64_e32 v[4:5], 0
	s_and_saveexec_b32 s21, s2
	s_cbranch_execz .LBB64_11
; %bb.10:
	s_delay_alu instid0(VALU_DEP_2) | instskip(SKIP_1) | instid1(SALU_CYCLE_1)
	v_lshl_add_u64 v[4:5], v[6:7], 3, s[8:9]
	s_mov_b32 s18, s3
	v_mov_b64_e32 v[6:7], s[18:19]
	global_load_b64 v[4:5], v[4:5], off
	s_wait_loadcnt 0x0
	v_pk_mul_f32 v[8:9], v[4:5], v[6:7] op_sel:[1,0] neg_hi:[1,0]
	s_delay_alu instid0(VALU_DEP_1)
	v_pk_fma_f32 v[4:5], v[6:7], v[4:5], v[8:9] op_sel:[0,0,1] op_sel_hi:[1,0,0]
.LBB64_11:
	s_or_b32 exec_lo, exec_lo, s21
.LBB64_12:
	s_wait_kmcnt 0x0
	v_cmp_ge_i64_e64 s3, s[12:13], s[14:15]
	s_delay_alu instid0(VALU_DEP_2) | instskip(SKIP_2) | instid1(VALU_DEP_3)
	v_dual_mov_b32 v9, 1.0 :: v_dual_mov_b32 v8, v4
	v_lshl_add_u64 v[2:3], v[2:3], 3, s[8:9]
	v_dual_mov_b32 v15, v5 :: v_dual_mov_b32 v20, 0
	v_mov_b32_e32 v14, v9
	s_and_b32 vcc_lo, exec_lo, s3
	v_cmp_eq_u32_e64 s3, 0, v0
	s_cbranch_vccnz .LBB64_55
; %bb.13:
	s_clause 0x1
	s_load_b128 s[24:27], s[0:1], 0x20
	s_load_b64 s[8:9], s[0:1], 0x50
	v_dual_mov_b32 v4, 0 :: v_dual_lshlrev_b32 v10, 2, v0
	v_lshlrev_b32_e32 v6, 3, v0
	s_mov_b32 s19, 0
	s_mov_b32 s18, s4
	s_delay_alu instid0(VALU_DEP_2)
	v_dual_mov_b32 v11, v4 :: v_dual_mov_b32 v7, v4
	v_mov_b32_e32 v1, v4
	v_or_b32_e32 v21, 0x200, v10
	s_cmp_eq_u32 s6, 0
	s_wait_xcnt 0x0
	s_sub_nc_u64 s[0:1], s[12:13], s[18:19]
	s_cselect_b32 s21, -1, 0
	s_sub_nc_u64 s[12:13], s[14:15], s[18:19]
	s_mov_b64 s[14:15], s[0:1]
	s_wait_kmcnt 0x0
	v_add_nc_u64_e32 v[10:11], s[24:25], v[10:11]
	v_add_nc_u64_e32 v[12:13], s[26:27], v[6:7]
	v_mov_b32_e32 v7, 0
	s_add_co_i32 s26, s20, s4
	s_sub_co_i32 s1, s14, s0
	s_delay_alu instid0(SALU_CYCLE_1) | instskip(NEXT) | instid1(SALU_CYCLE_1)
	s_and_b32 s1, s1, 63
	s_cmp_lg_u32 s1, 0
	s_cbranch_scc1 .LBB64_17
.LBB64_14:
	s_sub_nc_u64 s[18:19], s[12:13], s[14:15]
	v_dual_mov_b32 v17, 0 :: v_dual_mov_b32 v16, -1.0
	v_cmp_gt_i64_e32 vcc_lo, s[18:19], v[0:1]
	v_mov_b32_e32 v5, -1
	s_and_saveexec_b32 s18, vcc_lo
	s_cbranch_execz .LBB64_16
; %bb.15:
	v_lshl_add_u64 v[16:17], s[14:15], 2, v[10:11]
	global_load_b32 v5, v[16:17], off
	s_wait_xcnt 0x0
	v_lshl_add_u64 v[16:17], s[14:15], 3, v[12:13]
	global_load_b64 v[16:17], v[16:17], off
	s_wait_loadcnt 0x1
	v_subrev_nc_u32_e32 v5, s4, v5
.LBB64_16:
	s_wait_xcnt 0x0
	s_or_b32 exec_lo, exec_lo, s18
	ds_store_b32 v21, v5
	s_wait_loadcnt 0x0
	ds_store_b64 v6, v[16:17]
.LBB64_17:                              ; =>This Loop Header: Depth=1
                                        ;     Child Loop BB64_53 Depth 2
                                        ;       Child Loop BB64_54 Depth 3
	s_lshl_b32 s18, s1, 3
	s_wait_dscnt 0x0
	v_mov_b32_e32 v5, s18
	s_barrier_signal -1
	s_barrier_wait -1
	s_lshl_b32 s1, s1, 2
	ds_load_b64 v[16:17], v5
	v_mov_b32_e32 v5, s1
	ds_load_b32 v5, v5 offset:512
	s_wait_dscnt 0x1
	v_readfirstlane_b32 s1, v16
	v_readfirstlane_b32 s24, v17
	s_cmp_eq_f32 s1, 0
	s_wait_dscnt 0x0
	v_readfirstlane_b32 s18, v5
	s_cselect_b32 s19, -1, 0
	s_cmp_eq_f32 s24, 0
	s_cselect_b32 s25, -1, 0
	s_delay_alu instid0(SALU_CYCLE_1)
	s_and_b32 s27, s19, s25
	s_cmp_eq_u32 s18, s20
	s_cselect_b32 s25, -1, 0
	s_cmp_lg_u32 s18, s20
	s_cselect_b32 s19, -1, 0
	s_and_b32 s27, s27, s25
	s_delay_alu instid0(SALU_CYCLE_1) | instskip(NEXT) | instid1(SALU_CYCLE_1)
	s_and_b32 s27, s21, s27
	s_and_b32 s28, s3, s27
	s_and_b32 s27, s27, exec_lo
	s_cselect_b32 s24, 0, s24
	s_cselect_b32 s1, 1.0, s1
	s_delay_alu instid0(SALU_CYCLE_1)
	v_dual_mov_b32 v22, s24 :: v_dual_mov_b32 v23, s1
	s_and_saveexec_b32 s1, s28
	s_cbranch_execz .LBB64_21
; %bb.18:                               ;   in Loop: Header=BB64_17 Depth=1
	v_mbcnt_lo_u32_b32 v5, exec_lo, 0
	s_mov_b32 s24, exec_lo
	s_delay_alu instid0(VALU_DEP_1)
	v_cmpx_eq_u32_e32 0, v5
	s_cbranch_execz .LBB64_20
; %bb.19:                               ;   in Loop: Header=BB64_17 Depth=1
	v_mov_b32_e32 v5, s26
	global_atomic_min_i32 v4, v5, s[8:9] scope:SCOPE_DEV
.LBB64_20:                              ;   in Loop: Header=BB64_17 Depth=1
	s_wait_xcnt 0x0
	s_or_b32 exec_lo, exec_lo, s24
	v_dual_mov_b32 v23, 1.0 :: v_dual_mov_b32 v22, 0
.LBB64_21:                              ;   in Loop: Header=BB64_17 Depth=1
	s_or_b32 exec_lo, exec_lo, s1
	s_mov_b32 s27, -1
	s_mov_b32 s1, 0
	s_cmp_lt_i32 s5, 1
	s_mov_b32 s24, 0
                                        ; implicit-def: $vgpr16_vgpr17
                                        ; implicit-def: $vgpr18_vgpr19
                                        ; implicit-def: $vgpr20
	s_cbranch_scc0 .LBB64_28
; %bb.22:                               ;   in Loop: Header=BB64_17 Depth=1
	s_and_b32 vcc_lo, exec_lo, s27
	s_mov_b32 s25, 4
	s_cbranch_vccnz .LBB64_35
.LBB64_23:                              ;   in Loop: Header=BB64_17 Depth=1
	s_and_b32 vcc_lo, exec_lo, s24
	s_cbranch_vccnz .LBB64_40
.LBB64_24:                              ;   in Loop: Header=BB64_17 Depth=1
	s_and_b32 vcc_lo, exec_lo, s1
	s_cbranch_vccnz .LBB64_45
.LBB64_25:                              ;   in Loop: Header=BB64_17 Depth=1
	s_mov_b32 s1, -1
	s_cmp_gt_i32 s25, 3
	s_mov_b32 s18, -1
	s_cbranch_scc0 .LBB64_48
.LBB64_26:                              ;   in Loop: Header=BB64_17 Depth=1
	s_and_not1_b32 vcc_lo, exec_lo, s18
	s_cbranch_vccz .LBB64_49
.LBB64_27:                              ;   in Loop: Header=BB64_17 Depth=1
	s_and_not1_b32 vcc_lo, exec_lo, s1
	s_cbranch_vccnz .LBB64_50
	s_branch .LBB64_56
.LBB64_28:                              ;   in Loop: Header=BB64_17 Depth=1
	s_cmp_eq_u32 s5, 1
	s_mov_b32 s24, -1
                                        ; implicit-def: $vgpr16_vgpr17
                                        ; implicit-def: $vgpr18_vgpr19
                                        ; implicit-def: $vgpr20
	s_cbranch_scc0 .LBB64_34
; %bb.29:                               ;   in Loop: Header=BB64_17 Depth=1
	v_mov_b64_e32 v[16:17], v[14:15]
	v_mov_b64_e32 v[18:19], v[8:9]
	v_mov_b32_e32 v20, v7
	s_cmp_ge_i32 s18, s20
	s_mov_b32 s24, 0
	s_cbranch_scc0 .LBB64_34
; %bb.30:                               ;   in Loop: Header=BB64_17 Depth=1
	s_and_b32 vcc_lo, exec_lo, s25
	s_mov_b32 s24, -1
                                        ; implicit-def: $vgpr16_vgpr17
                                        ; implicit-def: $vgpr18_vgpr19
                                        ; implicit-def: $vgpr20
	s_cbranch_vccz .LBB64_34
; %bb.31:                               ;   in Loop: Header=BB64_17 Depth=1
	v_mov_b64_e32 v[16:17], v[14:15]
	v_mov_b64_e32 v[18:19], v[8:9]
	v_mov_b32_e32 v20, v7
	s_and_not1_b32 vcc_lo, exec_lo, s21
	s_cbranch_vccnz .LBB64_33
; %bb.32:                               ;   in Loop: Header=BB64_17 Depth=1
	v_mul_f32_e32 v5, v22, v22
	s_delay_alu instid0(VALU_DEP_1) | instskip(NEXT) | instid1(VALU_DEP_1)
	v_fmac_f32_e32 v5, v23, v23
	v_div_scale_f32 v16, null, v5, v5, 1.0
	v_div_scale_f32 v19, vcc_lo, 1.0, v5, 1.0
	s_delay_alu instid0(VALU_DEP_2) | instskip(SKIP_1) | instid1(TRANS32_DEP_1)
	v_rcp_f32_e32 v17, v16
	v_nop
	v_fma_f32 v18, -v16, v17, 1.0
	s_delay_alu instid0(VALU_DEP_1) | instskip(NEXT) | instid1(VALU_DEP_1)
	v_fmac_f32_e32 v17, v18, v17
	v_mul_f32_e32 v18, v19, v17
	s_delay_alu instid0(VALU_DEP_1) | instskip(NEXT) | instid1(VALU_DEP_1)
	v_fma_f32 v20, -v16, v18, v19
	v_fmac_f32_e32 v18, v20, v17
	s_delay_alu instid0(VALU_DEP_1) | instskip(NEXT) | instid1(VALU_DEP_1)
	v_fma_f32 v16, -v16, v18, v19
	v_div_fmas_f32 v16, v16, v17, v18
	v_dual_fma_f32 v17, 0, v22, v23 :: v_dual_mov_b32 v18, v8
	s_delay_alu instid0(VALU_DEP_2) | instskip(SKIP_1) | instid1(VALU_DEP_1)
	v_div_fixup_f32 v5, v16, v5, 1.0
	v_fma_f32 v16, v23, 0, -v22
	v_dual_mul_f32 v19, v17, v5 :: v_dual_mul_f32 v20, v16, v5
	s_delay_alu instid0(VALU_DEP_1)
	v_dual_mov_b32 v17, v15 :: v_dual_mov_b32 v16, v19
.LBB64_33:                              ;   in Loop: Header=BB64_17 Depth=1
	s_mov_b32 s24, 0
.LBB64_34:                              ;   in Loop: Header=BB64_17 Depth=1
	s_mov_b32 s25, 4
	s_branch .LBB64_23
.LBB64_35:                              ;   in Loop: Header=BB64_17 Depth=1
	s_cmp_eq_u32 s5, 0
	s_cbranch_scc1 .LBB64_37
; %bb.36:                               ;   in Loop: Header=BB64_17 Depth=1
	s_mov_b32 s24, -1
	s_branch .LBB64_39
.LBB64_37:                              ;   in Loop: Header=BB64_17 Depth=1
	s_cmp_le_i32 s18, s20
	s_mov_b32 s24, 0
	s_cbranch_scc0 .LBB64_39
; %bb.38:                               ;   in Loop: Header=BB64_17 Depth=1
	s_mov_b32 s1, -1
	s_mov_b32 s24, s19
.LBB64_39:                              ;   in Loop: Header=BB64_17 Depth=1
	v_mov_b64_e32 v[16:17], v[14:15]
	v_mov_b64_e32 v[18:19], v[8:9]
	v_mov_b32_e32 v20, v7
	s_mov_b32 s25, 2
	s_and_b32 vcc_lo, exec_lo, s24
	s_cbranch_vccz .LBB64_24
.LBB64_40:                              ;   in Loop: Header=BB64_17 Depth=1
	s_and_saveexec_b32 s1, s3
	s_cbranch_execz .LBB64_42
; %bb.41:                               ;   in Loop: Header=BB64_17 Depth=1
	s_add_co_i32 s24, s18, s7
	s_delay_alu instid0(SALU_CYCLE_1)
	v_mov_b32_e32 v5, s24
	global_load_b32 v5, v5, s[16:17] scale_offset scope:SCOPE_DEV
	s_wait_loadcnt 0x0
	v_cmp_ne_u32_e32 vcc_lo, 0, v5
	s_cbranch_vccz .LBB64_51
.LBB64_42:                              ;   in Loop: Header=BB64_17 Depth=1
	s_wait_xcnt 0x0
	s_or_b32 exec_lo, exec_lo, s1
	v_dual_mov_b32 v5, v9 :: v_dual_mov_b32 v16, v9
	v_mov_b32_e32 v17, v4
	s_wait_storecnt 0x0
	s_barrier_signal -1
	s_delay_alu instid0(VALU_DEP_2)
	v_mov_b64_e32 v[18:19], v[4:5]
	s_barrier_wait -1
	global_inv scope:SCOPE_DEV
	s_and_saveexec_b32 s1, s2
	s_cbranch_execz .LBB64_44
; %bb.43:                               ;   in Loop: Header=BB64_17 Depth=1
	s_ashr_i32 s19, s18, 31
	s_delay_alu instid0(SALU_CYCLE_1) | instskip(NEXT) | instid1(SALU_CYCLE_1)
	s_mul_u64 s[18:19], s[10:11], s[18:19]
	v_lshl_add_u64 v[16:17], s[18:19], 3, v[2:3]
	global_load_b64 v[24:25], v[16:17], off
	s_wait_loadcnt 0x0
	v_dual_mov_b32 v16, v9 :: v_dual_fma_f32 v17, -v23, v24, v15
	v_dual_fma_f32 v5, -v22, v24, v8 :: v_dual_mov_b32 v19, v9
	s_delay_alu instid0(VALU_DEP_2) | instskip(NEXT) | instid1(VALU_DEP_2)
	v_fmac_f32_e32 v17, v22, v25
	v_fma_f32 v18, -v23, v25, v5
.LBB64_44:                              ;   in Loop: Header=BB64_17 Depth=1
	s_or_b32 exec_lo, exec_lo, s1
	v_mov_b32_e32 v20, v7
	s_mov_b32 s25, 0
	s_branch .LBB64_25
.LBB64_45:                              ;   in Loop: Header=BB64_17 Depth=1
	s_and_not1_b32 vcc_lo, exec_lo, s21
	s_cbranch_vccnz .LBB64_47
; %bb.46:                               ;   in Loop: Header=BB64_17 Depth=1
	v_mul_f32_e32 v5, v22, v22
	s_delay_alu instid0(VALU_DEP_1) | instskip(NEXT) | instid1(VALU_DEP_1)
	v_fmac_f32_e32 v5, v23, v23
	v_div_scale_f32 v7, null, v5, v5, 1.0
	v_div_scale_f32 v16, vcc_lo, 1.0, v5, 1.0
	s_delay_alu instid0(VALU_DEP_2) | instskip(SKIP_1) | instid1(TRANS32_DEP_1)
	v_rcp_f32_e32 v9, v7
	v_nop
	v_fma_f32 v14, -v7, v9, 1.0
	s_delay_alu instid0(VALU_DEP_1) | instskip(NEXT) | instid1(VALU_DEP_1)
	v_fmac_f32_e32 v9, v14, v9
	v_mul_f32_e32 v14, v16, v9
	s_delay_alu instid0(VALU_DEP_1) | instskip(NEXT) | instid1(VALU_DEP_1)
	v_fma_f32 v17, -v7, v14, v16
	v_fmac_f32_e32 v14, v17, v9
	s_delay_alu instid0(VALU_DEP_1) | instskip(NEXT) | instid1(VALU_DEP_1)
	v_fma_f32 v7, -v7, v14, v16
	v_div_fmas_f32 v7, v7, v9, v14
	v_fma_f32 v14, v23, 0, -v22
	s_delay_alu instid0(VALU_DEP_2) | instskip(SKIP_1) | instid1(VALU_DEP_1)
	v_div_fixup_f32 v5, v7, v5, 1.0
	v_fma_f32 v7, 0, v22, v23
	v_dual_mul_f32 v9, v7, v5 :: v_dual_mul_f32 v7, v14, v5
	s_delay_alu instid0(VALU_DEP_1)
	v_mov_b32_e32 v14, v9
.LBB64_47:                              ;   in Loop: Header=BB64_17 Depth=1
	v_mov_b64_e32 v[18:19], v[8:9]
	s_delay_alu instid0(VALU_DEP_2) | instskip(NEXT) | instid1(VALU_DEP_4)
	v_mov_b64_e32 v[16:17], v[14:15]
	v_mov_b32_e32 v20, v7
	s_mov_b32 s25, 2
	s_mov_b32 s1, -1
	s_cmp_gt_i32 s25, 3
	s_mov_b32 s18, -1
	s_cbranch_scc1 .LBB64_26
.LBB64_48:                              ;   in Loop: Header=BB64_17 Depth=1
	s_cmp_eq_u32 s25, 0
	s_cselect_b32 s18, -1, 0
	s_delay_alu instid0(SALU_CYCLE_1)
	s_and_not1_b32 vcc_lo, exec_lo, s18
	s_cbranch_vccnz .LBB64_27
.LBB64_49:                              ;   in Loop: Header=BB64_17 Depth=1
	s_add_nc_u64 s[14:15], s[14:15], 1
	s_delay_alu instid0(SALU_CYCLE_1)
	v_cmp_ge_i64_e64 s1, s[14:15], s[12:13]
	s_and_not1_b32 vcc_lo, exec_lo, s1
	s_cbranch_vccz .LBB64_56
.LBB64_50:                              ;   in Loop: Header=BB64_17 Depth=1
	v_mov_b32_e32 v7, v20
	v_mov_b64_e32 v[8:9], v[18:19]
	v_mov_b64_e32 v[14:15], v[16:17]
	s_sub_co_i32 s1, s14, s0
	s_delay_alu instid0(SALU_CYCLE_1) | instskip(NEXT) | instid1(SALU_CYCLE_1)
	s_and_b32 s1, s1, 63
	s_cmp_lg_u32 s1, 0
	s_cbranch_scc1 .LBB64_17
	s_branch .LBB64_14
.LBB64_51:                              ;   in Loop: Header=BB64_17 Depth=1
	s_ashr_i32 s25, s24, 31
	s_mov_b32 s19, 0
	s_lshl_b64 s[24:25], s[24:25], 2
	s_delay_alu instid0(SALU_CYCLE_1)
	s_add_nc_u64 s[24:25], s[16:17], s[24:25]
	s_branch .LBB64_53
.LBB64_52:                              ;   in Loop: Header=BB64_53 Depth=2
	global_load_b32 v5, v4, s[24:25] scope:SCOPE_DEV
	s_cmp_lt_u32 s19, 0xf43
	s_cselect_b32 s27, -1, 0
	s_delay_alu instid0(SALU_CYCLE_1)
	s_cmp_lg_u32 s27, 0
	s_add_co_ci_u32 s19, s19, 0
	s_wait_loadcnt 0x0
	v_cmp_ne_u32_e32 vcc_lo, 0, v5
	s_cbranch_vccnz .LBB64_42
.LBB64_53:                              ;   Parent Loop BB64_17 Depth=1
                                        ; =>  This Loop Header: Depth=2
                                        ;       Child Loop BB64_54 Depth 3
	s_cmp_eq_u32 s19, 0
	s_mov_b32 s27, s19
	s_cbranch_scc1 .LBB64_52
.LBB64_54:                              ;   Parent Loop BB64_17 Depth=1
                                        ;     Parent Loop BB64_53 Depth=2
                                        ; =>    This Inner Loop Header: Depth=3
	s_add_co_i32 s27, s27, -1
	s_sleep 1
	s_cmp_eq_u32 s27, 0
	s_cbranch_scc0 .LBB64_54
	s_branch .LBB64_52
.LBB64_55:
	v_mov_b64_e32 v[16:17], v[14:15]
	v_mov_b64_e32 v[18:19], v[8:9]
	s_and_saveexec_b32 s0, s2
	s_cbranch_execnz .LBB64_57
	s_branch .LBB64_58
.LBB64_56:
	v_dual_mov_b32 v4, v18 :: v_dual_mov_b32 v5, v17
	s_and_saveexec_b32 s0, s2
	s_cbranch_execz .LBB64_58
.LBB64_57:
	s_delay_alu instid0(VALU_DEP_1) | instskip(NEXT) | instid1(VALU_DEP_3)
	v_xor_b32_e32 v7, 0x80000000, v18
	v_mov_b32_e32 v6, v17
	s_cmp_eq_u32 s6, 0
	v_lshl_add_u64 v[2:3], s[22:23], 3, v[2:3]
	s_cselect_b32 vcc_lo, -1, 0
	s_delay_alu instid0(VALU_DEP_2) | instskip(NEXT) | instid1(VALU_DEP_1)
	v_pk_mul_f32 v[6:7], v[20:21], v[6:7] op_sel_hi:[0,1]
	v_pk_fma_f32 v[6:7], v[18:19], v[16:17], v[6:7]
	s_delay_alu instid0(VALU_DEP_1)
	v_dual_cndmask_b32 v9, v4, v6 :: v_dual_cndmask_b32 v8, v5, v7
	global_store_b64 v[2:3], v[8:9], off
.LBB64_58:
	s_wait_xcnt 0x0
	s_or_b32 exec_lo, exec_lo, s0
	global_wb scope:SCOPE_DEV
	s_wait_loadcnt 0x0
	s_wait_storecnt 0x0
	global_inv scope:SCOPE_DEV
	s_wait_loadcnt 0x0
	s_barrier_signal -1
	s_barrier_wait -1
	s_mov_b32 s0, exec_lo
	v_cmpx_eq_u32_e32 0, v0
	s_cbranch_execz .LBB64_60
; %bb.59:
	s_add_co_i32 s0, s20, s7
	s_delay_alu instid0(SALU_CYCLE_1)
	v_dual_mov_b32 v0, 1 :: v_dual_mov_b32 v1, s0
	global_store_b32 v1, v0, s[16:17] scale_offset scope:SCOPE_DEV
.LBB64_60:
	s_endpgm
	.section	.rodata,"a",@progbits
	.p2align	6, 0x0
	.amdhsa_kernel _ZN9rocsparseL5csrsmILj64ELj64ELb1Eli21rocsparse_complex_numIfEEEv20rocsparse_operation_T3_S4_NS_24const_host_device_scalarIT4_EEPKT2_PKS4_PKS6_PS6_lPiSC_PS4_21rocsparse_index_base_20rocsparse_fill_mode_20rocsparse_diag_type_b
		.amdhsa_group_segment_fixed_size 768
		.amdhsa_private_segment_fixed_size 0
		.amdhsa_kernarg_size 104
		.amdhsa_user_sgpr_count 2
		.amdhsa_user_sgpr_dispatch_ptr 0
		.amdhsa_user_sgpr_queue_ptr 0
		.amdhsa_user_sgpr_kernarg_segment_ptr 1
		.amdhsa_user_sgpr_dispatch_id 0
		.amdhsa_user_sgpr_kernarg_preload_length 0
		.amdhsa_user_sgpr_kernarg_preload_offset 0
		.amdhsa_user_sgpr_private_segment_size 0
		.amdhsa_wavefront_size32 1
		.amdhsa_uses_dynamic_stack 0
		.amdhsa_enable_private_segment 0
		.amdhsa_system_sgpr_workgroup_id_x 1
		.amdhsa_system_sgpr_workgroup_id_y 0
		.amdhsa_system_sgpr_workgroup_id_z 0
		.amdhsa_system_sgpr_workgroup_info 0
		.amdhsa_system_vgpr_workitem_id 0
		.amdhsa_next_free_vgpr 26
		.amdhsa_next_free_sgpr 29
		.amdhsa_named_barrier_count 0
		.amdhsa_reserve_vcc 1
		.amdhsa_float_round_mode_32 0
		.amdhsa_float_round_mode_16_64 0
		.amdhsa_float_denorm_mode_32 3
		.amdhsa_float_denorm_mode_16_64 3
		.amdhsa_fp16_overflow 0
		.amdhsa_memory_ordered 1
		.amdhsa_forward_progress 1
		.amdhsa_inst_pref_size 18
		.amdhsa_round_robin_scheduling 0
		.amdhsa_exception_fp_ieee_invalid_op 0
		.amdhsa_exception_fp_denorm_src 0
		.amdhsa_exception_fp_ieee_div_zero 0
		.amdhsa_exception_fp_ieee_overflow 0
		.amdhsa_exception_fp_ieee_underflow 0
		.amdhsa_exception_fp_ieee_inexact 0
		.amdhsa_exception_int_div_zero 0
	.end_amdhsa_kernel
	.section	.text._ZN9rocsparseL5csrsmILj64ELj64ELb1Eli21rocsparse_complex_numIfEEEv20rocsparse_operation_T3_S4_NS_24const_host_device_scalarIT4_EEPKT2_PKS4_PKS6_PS6_lPiSC_PS4_21rocsparse_index_base_20rocsparse_fill_mode_20rocsparse_diag_type_b,"axG",@progbits,_ZN9rocsparseL5csrsmILj64ELj64ELb1Eli21rocsparse_complex_numIfEEEv20rocsparse_operation_T3_S4_NS_24const_host_device_scalarIT4_EEPKT2_PKS4_PKS6_PS6_lPiSC_PS4_21rocsparse_index_base_20rocsparse_fill_mode_20rocsparse_diag_type_b,comdat
.Lfunc_end64:
	.size	_ZN9rocsparseL5csrsmILj64ELj64ELb1Eli21rocsparse_complex_numIfEEEv20rocsparse_operation_T3_S4_NS_24const_host_device_scalarIT4_EEPKT2_PKS4_PKS6_PS6_lPiSC_PS4_21rocsparse_index_base_20rocsparse_fill_mode_20rocsparse_diag_type_b, .Lfunc_end64-_ZN9rocsparseL5csrsmILj64ELj64ELb1Eli21rocsparse_complex_numIfEEEv20rocsparse_operation_T3_S4_NS_24const_host_device_scalarIT4_EEPKT2_PKS4_PKS6_PS6_lPiSC_PS4_21rocsparse_index_base_20rocsparse_fill_mode_20rocsparse_diag_type_b
                                        ; -- End function
	.set _ZN9rocsparseL5csrsmILj64ELj64ELb1Eli21rocsparse_complex_numIfEEEv20rocsparse_operation_T3_S4_NS_24const_host_device_scalarIT4_EEPKT2_PKS4_PKS6_PS6_lPiSC_PS4_21rocsparse_index_base_20rocsparse_fill_mode_20rocsparse_diag_type_b.num_vgpr, 26
	.set _ZN9rocsparseL5csrsmILj64ELj64ELb1Eli21rocsparse_complex_numIfEEEv20rocsparse_operation_T3_S4_NS_24const_host_device_scalarIT4_EEPKT2_PKS4_PKS6_PS6_lPiSC_PS4_21rocsparse_index_base_20rocsparse_fill_mode_20rocsparse_diag_type_b.num_agpr, 0
	.set _ZN9rocsparseL5csrsmILj64ELj64ELb1Eli21rocsparse_complex_numIfEEEv20rocsparse_operation_T3_S4_NS_24const_host_device_scalarIT4_EEPKT2_PKS4_PKS6_PS6_lPiSC_PS4_21rocsparse_index_base_20rocsparse_fill_mode_20rocsparse_diag_type_b.numbered_sgpr, 29
	.set _ZN9rocsparseL5csrsmILj64ELj64ELb1Eli21rocsparse_complex_numIfEEEv20rocsparse_operation_T3_S4_NS_24const_host_device_scalarIT4_EEPKT2_PKS4_PKS6_PS6_lPiSC_PS4_21rocsparse_index_base_20rocsparse_fill_mode_20rocsparse_diag_type_b.num_named_barrier, 0
	.set _ZN9rocsparseL5csrsmILj64ELj64ELb1Eli21rocsparse_complex_numIfEEEv20rocsparse_operation_T3_S4_NS_24const_host_device_scalarIT4_EEPKT2_PKS4_PKS6_PS6_lPiSC_PS4_21rocsparse_index_base_20rocsparse_fill_mode_20rocsparse_diag_type_b.private_seg_size, 0
	.set _ZN9rocsparseL5csrsmILj64ELj64ELb1Eli21rocsparse_complex_numIfEEEv20rocsparse_operation_T3_S4_NS_24const_host_device_scalarIT4_EEPKT2_PKS4_PKS6_PS6_lPiSC_PS4_21rocsparse_index_base_20rocsparse_fill_mode_20rocsparse_diag_type_b.uses_vcc, 1
	.set _ZN9rocsparseL5csrsmILj64ELj64ELb1Eli21rocsparse_complex_numIfEEEv20rocsparse_operation_T3_S4_NS_24const_host_device_scalarIT4_EEPKT2_PKS4_PKS6_PS6_lPiSC_PS4_21rocsparse_index_base_20rocsparse_fill_mode_20rocsparse_diag_type_b.uses_flat_scratch, 0
	.set _ZN9rocsparseL5csrsmILj64ELj64ELb1Eli21rocsparse_complex_numIfEEEv20rocsparse_operation_T3_S4_NS_24const_host_device_scalarIT4_EEPKT2_PKS4_PKS6_PS6_lPiSC_PS4_21rocsparse_index_base_20rocsparse_fill_mode_20rocsparse_diag_type_b.has_dyn_sized_stack, 0
	.set _ZN9rocsparseL5csrsmILj64ELj64ELb1Eli21rocsparse_complex_numIfEEEv20rocsparse_operation_T3_S4_NS_24const_host_device_scalarIT4_EEPKT2_PKS4_PKS6_PS6_lPiSC_PS4_21rocsparse_index_base_20rocsparse_fill_mode_20rocsparse_diag_type_b.has_recursion, 0
	.set _ZN9rocsparseL5csrsmILj64ELj64ELb1Eli21rocsparse_complex_numIfEEEv20rocsparse_operation_T3_S4_NS_24const_host_device_scalarIT4_EEPKT2_PKS4_PKS6_PS6_lPiSC_PS4_21rocsparse_index_base_20rocsparse_fill_mode_20rocsparse_diag_type_b.has_indirect_call, 0
	.section	.AMDGPU.csdata,"",@progbits
; Kernel info:
; codeLenInByte = 2236
; TotalNumSgprs: 31
; NumVgprs: 26
; ScratchSize: 0
; MemoryBound: 0
; FloatMode: 240
; IeeeMode: 1
; LDSByteSize: 768 bytes/workgroup (compile time only)
; SGPRBlocks: 0
; VGPRBlocks: 1
; NumSGPRsForWavesPerEU: 31
; NumVGPRsForWavesPerEU: 26
; NamedBarCnt: 0
; Occupancy: 16
; WaveLimiterHint : 1
; COMPUTE_PGM_RSRC2:SCRATCH_EN: 0
; COMPUTE_PGM_RSRC2:USER_SGPR: 2
; COMPUTE_PGM_RSRC2:TRAP_HANDLER: 0
; COMPUTE_PGM_RSRC2:TGID_X_EN: 1
; COMPUTE_PGM_RSRC2:TGID_Y_EN: 0
; COMPUTE_PGM_RSRC2:TGID_Z_EN: 0
; COMPUTE_PGM_RSRC2:TIDIG_COMP_CNT: 0
	.section	.text._ZN9rocsparseL5csrsmILj64ELj64ELb0Eli21rocsparse_complex_numIfEEEv20rocsparse_operation_T3_S4_NS_24const_host_device_scalarIT4_EEPKT2_PKS4_PKS6_PS6_lPiSC_PS4_21rocsparse_index_base_20rocsparse_fill_mode_20rocsparse_diag_type_b,"axG",@progbits,_ZN9rocsparseL5csrsmILj64ELj64ELb0Eli21rocsparse_complex_numIfEEEv20rocsparse_operation_T3_S4_NS_24const_host_device_scalarIT4_EEPKT2_PKS4_PKS6_PS6_lPiSC_PS4_21rocsparse_index_base_20rocsparse_fill_mode_20rocsparse_diag_type_b,comdat
	.globl	_ZN9rocsparseL5csrsmILj64ELj64ELb0Eli21rocsparse_complex_numIfEEEv20rocsparse_operation_T3_S4_NS_24const_host_device_scalarIT4_EEPKT2_PKS4_PKS6_PS6_lPiSC_PS4_21rocsparse_index_base_20rocsparse_fill_mode_20rocsparse_diag_type_b ; -- Begin function _ZN9rocsparseL5csrsmILj64ELj64ELb0Eli21rocsparse_complex_numIfEEEv20rocsparse_operation_T3_S4_NS_24const_host_device_scalarIT4_EEPKT2_PKS4_PKS6_PS6_lPiSC_PS4_21rocsparse_index_base_20rocsparse_fill_mode_20rocsparse_diag_type_b
	.p2align	8
	.type	_ZN9rocsparseL5csrsmILj64ELj64ELb0Eli21rocsparse_complex_numIfEEEv20rocsparse_operation_T3_S4_NS_24const_host_device_scalarIT4_EEPKT2_PKS4_PKS6_PS6_lPiSC_PS4_21rocsparse_index_base_20rocsparse_fill_mode_20rocsparse_diag_type_b,@function
_ZN9rocsparseL5csrsmILj64ELj64ELb0Eli21rocsparse_complex_numIfEEEv20rocsparse_operation_T3_S4_NS_24const_host_device_scalarIT4_EEPKT2_PKS4_PKS6_PS6_lPiSC_PS4_21rocsparse_index_base_20rocsparse_fill_mode_20rocsparse_diag_type_b: ; @_ZN9rocsparseL5csrsmILj64ELj64ELb0Eli21rocsparse_complex_numIfEEEv20rocsparse_operation_T3_S4_NS_24const_host_device_scalarIT4_EEPKT2_PKS4_PKS6_PS6_lPiSC_PS4_21rocsparse_index_base_20rocsparse_fill_mode_20rocsparse_diag_type_b
; %bb.0:
	s_clause 0x1
	s_load_b128 s[4:7], s[0:1], 0x58
	s_load_b64 s[2:3], s[0:1], 0x10
	s_wait_kmcnt 0x0
	s_bitcmp1_b32 s7, 0
	s_mov_b32 s19, s2
	s_cselect_b32 s8, -1, 0
	s_delay_alu instid0(SALU_CYCLE_1)
	s_xor_b32 s7, s8, -1
	s_and_b32 vcc_lo, exec_lo, s8
	s_cbranch_vccnz .LBB65_2
; %bb.1:
	s_load_b32 s19, s[2:3], 0x0
.LBB65_2:
	s_clause 0x1
	s_load_b64 s[12:13], s[0:1], 0x18
	s_load_b64 s[8:9], s[0:1], 0x48
	s_and_not1_b32 vcc_lo, exec_lo, s7
	s_cbranch_vccnz .LBB65_4
; %bb.3:
	s_wait_xcnt 0x0
	s_load_b32 s3, s[2:3], 0x4
.LBB65_4:
	s_nop 0
	s_load_b96 s[16:18], s[0:1], 0x0
	s_bfe_u32 s10, ttmp6, 0x4000c
	s_and_b32 s7, ttmp6, 15
	s_add_co_i32 s10, s10, 1
	s_getreg_b32 s14, hwreg(HW_REG_IB_STS2, 6, 4)
	s_mul_i32 s10, ttmp9, s10
	s_delay_alu instid0(SALU_CYCLE_1) | instskip(SKIP_3) | instid1(SALU_CYCLE_2)
	s_add_co_i32 s7, s7, s10
	s_wait_kmcnt 0x0
	s_cvt_f32_u32 s2, s17
	s_sub_co_i32 s11, 0, s17
	v_rcp_iflag_f32_e32 v1, s2
	v_nop
	s_delay_alu instid0(TRANS32_DEP_1) | instskip(SKIP_1) | instid1(SALU_CYCLE_3)
	v_readfirstlane_b32 s2, v1
	s_mul_f32 s2, s2, 0x4f7ffffe
	s_cvt_u32_f32 s2, s2
	s_delay_alu instid0(SALU_CYCLE_3) | instskip(NEXT) | instid1(SALU_CYCLE_1)
	s_mul_i32 s11, s11, s2
	s_mul_hi_u32 s11, s2, s11
	s_delay_alu instid0(SALU_CYCLE_1) | instskip(SKIP_2) | instid1(SALU_CYCLE_1)
	s_add_co_i32 s2, s2, s11
	s_cmp_eq_u32 s14, 0
	s_cselect_b32 s10, ttmp9, s7
	s_mul_hi_u32 s2, s10, s2
	s_delay_alu instid0(SALU_CYCLE_1) | instskip(SKIP_2) | instid1(SALU_CYCLE_1)
	s_mul_i32 s7, s2, s17
	s_add_co_i32 s11, s2, 1
	s_sub_co_i32 s7, s10, s7
	s_sub_co_i32 s14, s7, s17
	s_cmp_ge_u32 s7, s17
	s_cselect_b32 s2, s11, s2
	s_cselect_b32 s7, s14, s7
	s_add_co_i32 s11, s2, 1
	s_cmp_ge_u32 s7, s17
	s_cselect_b32 s2, s11, s2
	s_delay_alu instid0(SALU_CYCLE_1) | instskip(SKIP_2) | instid1(SALU_CYCLE_1)
	s_mul_i32 s7, s2, s17
	v_lshl_or_b32 v2, s2, 6, v0
	s_sub_co_i32 s10, s10, s7
	s_ashr_i32 s11, s10, 31
	s_delay_alu instid0(VALU_DEP_1)
	v_ashrrev_i32_e32 v3, 31, v2
	s_lshl_b64 s[10:11], s[10:11], 2
	v_cmp_gt_i32_e64 s2, s18, v2
	s_add_nc_u64 s[14:15], s[8:9], s[10:11]
	s_load_b32 s20, s[14:15], 0x0
	s_load_b128 s[8:11], s[0:1], 0x30
	s_wait_kmcnt 0x0
	s_ashr_i32 s21, s20, 31
	s_delay_alu instid0(SALU_CYCLE_1)
	s_lshl_b64 s[14:15], s[20:21], 3
	s_cmp_lg_u32 s16, 0x71
	s_add_nc_u64 s[22:23], s[12:13], s[14:15]
	s_load_b128 s[12:15], s[22:23], 0x0
	s_wait_xcnt 0x0
	s_mul_u64 s[22:23], s[10:11], s[20:21]
	s_delay_alu instid0(SALU_CYCLE_1)
	v_add_nc_u64_e32 v[6:7], s[22:23], v[2:3]
	s_cbranch_scc0 .LBB65_8
; %bb.5:
	v_mov_b64_e32 v[4:5], 0
	s_and_saveexec_b32 s16, s2
	s_cbranch_execz .LBB65_7
; %bb.6:
	s_delay_alu instid0(VALU_DEP_2) | instskip(SKIP_1) | instid1(SALU_CYCLE_1)
	v_lshl_add_u64 v[4:5], v[6:7], 3, s[8:9]
	s_xor_b32 s17, s3, 0x80000000
	v_dual_mov_b32 v9, s19 :: v_dual_mov_b32 v11, s17
	v_dual_mov_b32 v10, s19 :: v_dual_mov_b32 v8, s3
	global_load_b64 v[4:5], v[4:5], off
	s_wait_loadcnt 0x0
	v_pk_mul_f32 v[10:11], v[4:5], v[10:11] op_sel:[1,0]
	s_delay_alu instid0(VALU_DEP_1)
	v_pk_fma_f32 v[4:5], v[8:9], v[4:5], v[10:11] op_sel_hi:[1,0,1]
.LBB65_7:
	s_or_b32 exec_lo, exec_lo, s16
	s_load_b64 s[16:17], s[0:1], 0x40
	s_cbranch_execz .LBB65_9
	s_branch .LBB65_12
.LBB65_8:
                                        ; implicit-def: $vgpr4_vgpr5
	s_load_b64 s[16:17], s[0:1], 0x40
.LBB65_9:
	v_mov_b64_e32 v[4:5], 0
	s_and_saveexec_b32 s21, s2
	s_cbranch_execz .LBB65_11
; %bb.10:
	s_delay_alu instid0(VALU_DEP_2) | instskip(SKIP_1) | instid1(SALU_CYCLE_1)
	v_lshl_add_u64 v[4:5], v[6:7], 3, s[8:9]
	s_mov_b32 s18, s3
	v_mov_b64_e32 v[6:7], s[18:19]
	global_load_b64 v[4:5], v[4:5], off
	s_wait_loadcnt 0x0
	v_pk_mul_f32 v[8:9], v[4:5], v[6:7] op_sel:[1,0] neg_hi:[1,0]
	s_delay_alu instid0(VALU_DEP_1)
	v_pk_fma_f32 v[4:5], v[6:7], v[4:5], v[8:9] op_sel:[0,0,1] op_sel_hi:[1,0,0]
.LBB65_11:
	s_or_b32 exec_lo, exec_lo, s21
.LBB65_12:
	s_wait_kmcnt 0x0
	v_cmp_ge_i64_e64 s3, s[12:13], s[14:15]
	s_delay_alu instid0(VALU_DEP_2) | instskip(SKIP_2) | instid1(VALU_DEP_3)
	v_dual_mov_b32 v9, 1.0 :: v_dual_mov_b32 v8, v4
	v_lshl_add_u64 v[2:3], v[2:3], 3, s[8:9]
	v_dual_mov_b32 v15, v5 :: v_dual_mov_b32 v20, 0
	v_mov_b32_e32 v14, v9
	s_and_b32 vcc_lo, exec_lo, s3
	v_cmp_eq_u32_e64 s3, 0, v0
	s_cbranch_vccnz .LBB65_53
; %bb.13:
	s_clause 0x1
	s_load_b128 s[24:27], s[0:1], 0x20
	s_load_b64 s[8:9], s[0:1], 0x50
	v_dual_mov_b32 v4, 0 :: v_dual_lshlrev_b32 v10, 2, v0
	v_lshlrev_b32_e32 v6, 3, v0
	s_mov_b32 s19, 0
	s_mov_b32 s18, s4
	s_delay_alu instid0(VALU_DEP_2)
	v_dual_mov_b32 v11, v4 :: v_dual_mov_b32 v7, v4
	v_mov_b32_e32 v1, v4
	v_or_b32_e32 v21, 0x200, v10
	s_cmp_eq_u32 s6, 0
	s_wait_xcnt 0x0
	s_sub_nc_u64 s[0:1], s[12:13], s[18:19]
	s_cselect_b32 s21, -1, 0
	s_sub_nc_u64 s[12:13], s[14:15], s[18:19]
	s_mov_b64 s[14:15], s[0:1]
	s_wait_kmcnt 0x0
	v_add_nc_u64_e32 v[10:11], s[24:25], v[10:11]
	v_add_nc_u64_e32 v[12:13], s[26:27], v[6:7]
	v_mov_b32_e32 v7, 0
	s_add_co_i32 s26, s20, s4
	s_sub_co_i32 s1, s14, s0
	s_delay_alu instid0(SALU_CYCLE_1) | instskip(NEXT) | instid1(SALU_CYCLE_1)
	s_and_b32 s1, s1, 63
	s_cmp_lg_u32 s1, 0
	s_cbranch_scc1 .LBB65_17
.LBB65_14:
	s_sub_nc_u64 s[18:19], s[12:13], s[14:15]
	v_dual_mov_b32 v17, 0 :: v_dual_mov_b32 v16, -1.0
	v_cmp_gt_i64_e32 vcc_lo, s[18:19], v[0:1]
	v_mov_b32_e32 v5, -1
	s_and_saveexec_b32 s18, vcc_lo
	s_cbranch_execz .LBB65_16
; %bb.15:
	v_lshl_add_u64 v[16:17], s[14:15], 2, v[10:11]
	global_load_b32 v5, v[16:17], off
	s_wait_xcnt 0x0
	v_lshl_add_u64 v[16:17], s[14:15], 3, v[12:13]
	global_load_b64 v[16:17], v[16:17], off
	s_wait_loadcnt 0x1
	v_subrev_nc_u32_e32 v5, s4, v5
.LBB65_16:
	s_wait_xcnt 0x0
	s_or_b32 exec_lo, exec_lo, s18
	ds_store_b32 v21, v5
	s_wait_loadcnt 0x0
	ds_store_b64 v6, v[16:17]
.LBB65_17:                              ; =>This Loop Header: Depth=1
                                        ;     Child Loop BB65_43 Depth 2
	s_lshl_b32 s18, s1, 3
	s_wait_dscnt 0x0
	v_mov_b32_e32 v5, s18
	s_barrier_signal -1
	s_barrier_wait -1
	s_lshl_b32 s1, s1, 2
	ds_load_b64 v[16:17], v5
	v_mov_b32_e32 v5, s1
	ds_load_b32 v5, v5 offset:512
	s_wait_dscnt 0x1
	v_readfirstlane_b32 s1, v16
	v_readfirstlane_b32 s24, v17
	s_cmp_eq_f32 s1, 0
	s_wait_dscnt 0x0
	v_readfirstlane_b32 s18, v5
	s_cselect_b32 s19, -1, 0
	s_cmp_eq_f32 s24, 0
	s_cselect_b32 s25, -1, 0
	s_delay_alu instid0(SALU_CYCLE_1)
	s_and_b32 s27, s19, s25
	s_cmp_eq_u32 s18, s20
	s_cselect_b32 s25, -1, 0
	s_cmp_lg_u32 s18, s20
	s_cselect_b32 s19, -1, 0
	s_and_b32 s27, s27, s25
	s_delay_alu instid0(SALU_CYCLE_1) | instskip(NEXT) | instid1(SALU_CYCLE_1)
	s_and_b32 s27, s21, s27
	s_and_b32 s28, s3, s27
	s_and_b32 s27, s27, exec_lo
	s_cselect_b32 s24, 0, s24
	s_cselect_b32 s1, 1.0, s1
	s_delay_alu instid0(SALU_CYCLE_1)
	v_dual_mov_b32 v22, s24 :: v_dual_mov_b32 v23, s1
	s_and_saveexec_b32 s1, s28
	s_cbranch_execz .LBB65_21
; %bb.18:                               ;   in Loop: Header=BB65_17 Depth=1
	v_mbcnt_lo_u32_b32 v5, exec_lo, 0
	s_mov_b32 s24, exec_lo
	s_delay_alu instid0(VALU_DEP_1)
	v_cmpx_eq_u32_e32 0, v5
	s_cbranch_execz .LBB65_20
; %bb.19:                               ;   in Loop: Header=BB65_17 Depth=1
	v_mov_b32_e32 v5, s26
	global_atomic_min_i32 v4, v5, s[8:9] scope:SCOPE_DEV
.LBB65_20:                              ;   in Loop: Header=BB65_17 Depth=1
	s_wait_xcnt 0x0
	s_or_b32 exec_lo, exec_lo, s24
	v_dual_mov_b32 v23, 1.0 :: v_dual_mov_b32 v22, 0
.LBB65_21:                              ;   in Loop: Header=BB65_17 Depth=1
	s_or_b32 exec_lo, exec_lo, s1
	s_mov_b32 s27, -1
	s_mov_b32 s1, 0
	s_cmp_lt_i32 s5, 1
	s_mov_b32 s24, 0
                                        ; implicit-def: $vgpr16_vgpr17
                                        ; implicit-def: $vgpr18_vgpr19
                                        ; implicit-def: $vgpr20
	s_cbranch_scc0 .LBB65_28
; %bb.22:                               ;   in Loop: Header=BB65_17 Depth=1
	s_and_b32 vcc_lo, exec_lo, s27
	s_mov_b32 s25, 4
	s_cbranch_vccnz .LBB65_35
.LBB65_23:                              ;   in Loop: Header=BB65_17 Depth=1
	s_and_b32 vcc_lo, exec_lo, s24
	s_cbranch_vccnz .LBB65_40
.LBB65_24:                              ;   in Loop: Header=BB65_17 Depth=1
	s_and_b32 vcc_lo, exec_lo, s1
	s_cbranch_vccnz .LBB65_47
.LBB65_25:                              ;   in Loop: Header=BB65_17 Depth=1
	s_mov_b32 s1, -1
	s_cmp_gt_i32 s25, 3
	s_mov_b32 s18, -1
	s_cbranch_scc0 .LBB65_50
.LBB65_26:                              ;   in Loop: Header=BB65_17 Depth=1
	s_and_not1_b32 vcc_lo, exec_lo, s18
	s_cbranch_vccz .LBB65_51
.LBB65_27:                              ;   in Loop: Header=BB65_17 Depth=1
	s_and_not1_b32 vcc_lo, exec_lo, s1
	s_cbranch_vccnz .LBB65_52
	s_branch .LBB65_54
.LBB65_28:                              ;   in Loop: Header=BB65_17 Depth=1
	s_cmp_eq_u32 s5, 1
	s_mov_b32 s24, -1
                                        ; implicit-def: $vgpr16_vgpr17
                                        ; implicit-def: $vgpr18_vgpr19
                                        ; implicit-def: $vgpr20
	s_cbranch_scc0 .LBB65_34
; %bb.29:                               ;   in Loop: Header=BB65_17 Depth=1
	v_mov_b64_e32 v[16:17], v[14:15]
	v_mov_b64_e32 v[18:19], v[8:9]
	v_mov_b32_e32 v20, v7
	s_cmp_ge_i32 s18, s20
	s_mov_b32 s24, 0
	s_cbranch_scc0 .LBB65_34
; %bb.30:                               ;   in Loop: Header=BB65_17 Depth=1
	s_and_b32 vcc_lo, exec_lo, s25
	s_mov_b32 s24, -1
                                        ; implicit-def: $vgpr16_vgpr17
                                        ; implicit-def: $vgpr18_vgpr19
                                        ; implicit-def: $vgpr20
	s_cbranch_vccz .LBB65_34
; %bb.31:                               ;   in Loop: Header=BB65_17 Depth=1
	v_mov_b64_e32 v[16:17], v[14:15]
	v_mov_b64_e32 v[18:19], v[8:9]
	v_mov_b32_e32 v20, v7
	s_and_not1_b32 vcc_lo, exec_lo, s21
	s_cbranch_vccnz .LBB65_33
; %bb.32:                               ;   in Loop: Header=BB65_17 Depth=1
	v_mul_f32_e32 v5, v22, v22
	s_delay_alu instid0(VALU_DEP_1) | instskip(NEXT) | instid1(VALU_DEP_1)
	v_fmac_f32_e32 v5, v23, v23
	v_div_scale_f32 v16, null, v5, v5, 1.0
	v_div_scale_f32 v19, vcc_lo, 1.0, v5, 1.0
	s_delay_alu instid0(VALU_DEP_2) | instskip(SKIP_1) | instid1(TRANS32_DEP_1)
	v_rcp_f32_e32 v17, v16
	v_nop
	v_fma_f32 v18, -v16, v17, 1.0
	s_delay_alu instid0(VALU_DEP_1) | instskip(NEXT) | instid1(VALU_DEP_1)
	v_fmac_f32_e32 v17, v18, v17
	v_mul_f32_e32 v18, v19, v17
	s_delay_alu instid0(VALU_DEP_1) | instskip(NEXT) | instid1(VALU_DEP_1)
	v_fma_f32 v20, -v16, v18, v19
	v_fmac_f32_e32 v18, v20, v17
	s_delay_alu instid0(VALU_DEP_1) | instskip(NEXT) | instid1(VALU_DEP_1)
	v_fma_f32 v16, -v16, v18, v19
	v_div_fmas_f32 v16, v16, v17, v18
	v_dual_fma_f32 v17, 0, v22, v23 :: v_dual_mov_b32 v18, v8
	s_delay_alu instid0(VALU_DEP_2) | instskip(SKIP_1) | instid1(VALU_DEP_1)
	v_div_fixup_f32 v5, v16, v5, 1.0
	v_fma_f32 v16, v23, 0, -v22
	v_dual_mul_f32 v19, v17, v5 :: v_dual_mul_f32 v20, v16, v5
	s_delay_alu instid0(VALU_DEP_1)
	v_dual_mov_b32 v17, v15 :: v_dual_mov_b32 v16, v19
.LBB65_33:                              ;   in Loop: Header=BB65_17 Depth=1
	s_mov_b32 s24, 0
.LBB65_34:                              ;   in Loop: Header=BB65_17 Depth=1
	s_mov_b32 s25, 4
	s_branch .LBB65_23
.LBB65_35:                              ;   in Loop: Header=BB65_17 Depth=1
	s_cmp_eq_u32 s5, 0
	s_cbranch_scc1 .LBB65_37
; %bb.36:                               ;   in Loop: Header=BB65_17 Depth=1
	s_mov_b32 s24, -1
	s_branch .LBB65_39
.LBB65_37:                              ;   in Loop: Header=BB65_17 Depth=1
	s_cmp_le_i32 s18, s20
	s_mov_b32 s24, 0
	s_cbranch_scc0 .LBB65_39
; %bb.38:                               ;   in Loop: Header=BB65_17 Depth=1
	s_mov_b32 s1, -1
	s_mov_b32 s24, s19
.LBB65_39:                              ;   in Loop: Header=BB65_17 Depth=1
	v_mov_b64_e32 v[16:17], v[14:15]
	v_mov_b64_e32 v[18:19], v[8:9]
	v_mov_b32_e32 v20, v7
	s_mov_b32 s25, 2
	s_and_b32 vcc_lo, exec_lo, s24
	s_cbranch_vccz .LBB65_24
.LBB65_40:                              ;   in Loop: Header=BB65_17 Depth=1
	s_and_saveexec_b32 s1, s3
	s_cbranch_execz .LBB65_44
; %bb.41:                               ;   in Loop: Header=BB65_17 Depth=1
	s_add_co_i32 s24, s18, s7
	s_delay_alu instid0(SALU_CYCLE_1)
	v_mov_b32_e32 v5, s24
	global_load_b32 v5, v5, s[16:17] scale_offset scope:SCOPE_DEV
	s_wait_loadcnt 0x0
	v_cmp_ne_u32_e32 vcc_lo, 0, v5
	s_cbranch_vccnz .LBB65_44
; %bb.42:                               ;   in Loop: Header=BB65_17 Depth=1
	s_ashr_i32 s25, s24, 31
	s_delay_alu instid0(SALU_CYCLE_1) | instskip(NEXT) | instid1(SALU_CYCLE_1)
	s_lshl_b64 s[24:25], s[24:25], 2
	s_add_nc_u64 s[24:25], s[16:17], s[24:25]
.LBB65_43:                              ;   Parent Loop BB65_17 Depth=1
                                        ; =>  This Inner Loop Header: Depth=2
	global_load_b32 v5, v4, s[24:25] scope:SCOPE_DEV
	s_wait_loadcnt 0x0
	v_cmp_eq_u32_e32 vcc_lo, 0, v5
	s_cbranch_vccnz .LBB65_43
.LBB65_44:                              ;   in Loop: Header=BB65_17 Depth=1
	s_wait_xcnt 0x0
	s_or_b32 exec_lo, exec_lo, s1
	v_dual_mov_b32 v5, v9 :: v_dual_mov_b32 v16, v9
	v_mov_b32_e32 v17, v4
	s_wait_storecnt 0x0
	s_barrier_signal -1
	s_delay_alu instid0(VALU_DEP_2)
	v_mov_b64_e32 v[18:19], v[4:5]
	s_barrier_wait -1
	global_inv scope:SCOPE_DEV
	s_and_saveexec_b32 s1, s2
	s_cbranch_execz .LBB65_46
; %bb.45:                               ;   in Loop: Header=BB65_17 Depth=1
	s_ashr_i32 s19, s18, 31
	s_delay_alu instid0(SALU_CYCLE_1) | instskip(NEXT) | instid1(SALU_CYCLE_1)
	s_mul_u64 s[18:19], s[10:11], s[18:19]
	v_lshl_add_u64 v[16:17], s[18:19], 3, v[2:3]
	global_load_b64 v[24:25], v[16:17], off
	s_wait_loadcnt 0x0
	v_dual_mov_b32 v16, v9 :: v_dual_fma_f32 v17, -v23, v24, v15
	v_dual_fma_f32 v5, -v22, v24, v8 :: v_dual_mov_b32 v19, v9
	s_delay_alu instid0(VALU_DEP_2) | instskip(NEXT) | instid1(VALU_DEP_2)
	v_fmac_f32_e32 v17, v22, v25
	v_fma_f32 v18, -v23, v25, v5
.LBB65_46:                              ;   in Loop: Header=BB65_17 Depth=1
	s_or_b32 exec_lo, exec_lo, s1
	v_mov_b32_e32 v20, v7
	s_mov_b32 s25, 0
	s_branch .LBB65_25
.LBB65_47:                              ;   in Loop: Header=BB65_17 Depth=1
	s_and_not1_b32 vcc_lo, exec_lo, s21
	s_cbranch_vccnz .LBB65_49
; %bb.48:                               ;   in Loop: Header=BB65_17 Depth=1
	v_mul_f32_e32 v5, v22, v22
	s_delay_alu instid0(VALU_DEP_1) | instskip(NEXT) | instid1(VALU_DEP_1)
	v_fmac_f32_e32 v5, v23, v23
	v_div_scale_f32 v7, null, v5, v5, 1.0
	v_div_scale_f32 v16, vcc_lo, 1.0, v5, 1.0
	s_delay_alu instid0(VALU_DEP_2) | instskip(SKIP_1) | instid1(TRANS32_DEP_1)
	v_rcp_f32_e32 v9, v7
	v_nop
	v_fma_f32 v14, -v7, v9, 1.0
	s_delay_alu instid0(VALU_DEP_1) | instskip(NEXT) | instid1(VALU_DEP_1)
	v_fmac_f32_e32 v9, v14, v9
	v_mul_f32_e32 v14, v16, v9
	s_delay_alu instid0(VALU_DEP_1) | instskip(NEXT) | instid1(VALU_DEP_1)
	v_fma_f32 v17, -v7, v14, v16
	v_fmac_f32_e32 v14, v17, v9
	s_delay_alu instid0(VALU_DEP_1) | instskip(NEXT) | instid1(VALU_DEP_1)
	v_fma_f32 v7, -v7, v14, v16
	v_div_fmas_f32 v7, v7, v9, v14
	v_fma_f32 v14, v23, 0, -v22
	s_delay_alu instid0(VALU_DEP_2) | instskip(SKIP_1) | instid1(VALU_DEP_1)
	v_div_fixup_f32 v5, v7, v5, 1.0
	v_fma_f32 v7, 0, v22, v23
	v_dual_mul_f32 v9, v7, v5 :: v_dual_mul_f32 v7, v14, v5
	s_delay_alu instid0(VALU_DEP_1)
	v_mov_b32_e32 v14, v9
.LBB65_49:                              ;   in Loop: Header=BB65_17 Depth=1
	v_mov_b64_e32 v[18:19], v[8:9]
	s_delay_alu instid0(VALU_DEP_2) | instskip(NEXT) | instid1(VALU_DEP_4)
	v_mov_b64_e32 v[16:17], v[14:15]
	v_mov_b32_e32 v20, v7
	s_mov_b32 s25, 2
	s_mov_b32 s1, -1
	s_cmp_gt_i32 s25, 3
	s_mov_b32 s18, -1
	s_cbranch_scc1 .LBB65_26
.LBB65_50:                              ;   in Loop: Header=BB65_17 Depth=1
	s_cmp_eq_u32 s25, 0
	s_cselect_b32 s18, -1, 0
	s_delay_alu instid0(SALU_CYCLE_1)
	s_and_not1_b32 vcc_lo, exec_lo, s18
	s_cbranch_vccnz .LBB65_27
.LBB65_51:                              ;   in Loop: Header=BB65_17 Depth=1
	s_add_nc_u64 s[14:15], s[14:15], 1
	s_delay_alu instid0(SALU_CYCLE_1)
	v_cmp_ge_i64_e64 s1, s[14:15], s[12:13]
	s_and_not1_b32 vcc_lo, exec_lo, s1
	s_cbranch_vccz .LBB65_54
.LBB65_52:                              ;   in Loop: Header=BB65_17 Depth=1
	v_mov_b32_e32 v7, v20
	v_mov_b64_e32 v[8:9], v[18:19]
	v_mov_b64_e32 v[14:15], v[16:17]
	s_sub_co_i32 s1, s14, s0
	s_delay_alu instid0(SALU_CYCLE_1) | instskip(NEXT) | instid1(SALU_CYCLE_1)
	s_and_b32 s1, s1, 63
	s_cmp_lg_u32 s1, 0
	s_cbranch_scc1 .LBB65_17
	s_branch .LBB65_14
.LBB65_53:
	v_mov_b64_e32 v[16:17], v[14:15]
	v_mov_b64_e32 v[18:19], v[8:9]
	s_and_saveexec_b32 s0, s2
	s_cbranch_execnz .LBB65_55
	s_branch .LBB65_56
.LBB65_54:
	v_dual_mov_b32 v4, v18 :: v_dual_mov_b32 v5, v17
	s_and_saveexec_b32 s0, s2
	s_cbranch_execz .LBB65_56
.LBB65_55:
	s_delay_alu instid0(VALU_DEP_1) | instskip(NEXT) | instid1(VALU_DEP_3)
	v_xor_b32_e32 v7, 0x80000000, v18
	v_mov_b32_e32 v6, v17
	s_cmp_eq_u32 s6, 0
	v_lshl_add_u64 v[2:3], s[22:23], 3, v[2:3]
	s_cselect_b32 vcc_lo, -1, 0
	s_delay_alu instid0(VALU_DEP_2) | instskip(NEXT) | instid1(VALU_DEP_1)
	v_pk_mul_f32 v[6:7], v[20:21], v[6:7] op_sel_hi:[0,1]
	v_pk_fma_f32 v[6:7], v[18:19], v[16:17], v[6:7]
	s_delay_alu instid0(VALU_DEP_1)
	v_dual_cndmask_b32 v9, v4, v6 :: v_dual_cndmask_b32 v8, v5, v7
	global_store_b64 v[2:3], v[8:9], off
.LBB65_56:
	s_wait_xcnt 0x0
	s_or_b32 exec_lo, exec_lo, s0
	global_wb scope:SCOPE_DEV
	s_wait_loadcnt 0x0
	s_wait_storecnt 0x0
	global_inv scope:SCOPE_DEV
	s_wait_loadcnt 0x0
	s_barrier_signal -1
	s_barrier_wait -1
	s_mov_b32 s0, exec_lo
	v_cmpx_eq_u32_e32 0, v0
	s_cbranch_execz .LBB65_58
; %bb.57:
	s_add_co_i32 s0, s20, s7
	s_delay_alu instid0(SALU_CYCLE_1)
	v_dual_mov_b32 v0, 1 :: v_dual_mov_b32 v1, s0
	global_store_b32 v1, v0, s[16:17] scale_offset scope:SCOPE_DEV
.LBB65_58:
	s_endpgm
	.section	.rodata,"a",@progbits
	.p2align	6, 0x0
	.amdhsa_kernel _ZN9rocsparseL5csrsmILj64ELj64ELb0Eli21rocsparse_complex_numIfEEEv20rocsparse_operation_T3_S4_NS_24const_host_device_scalarIT4_EEPKT2_PKS4_PKS6_PS6_lPiSC_PS4_21rocsparse_index_base_20rocsparse_fill_mode_20rocsparse_diag_type_b
		.amdhsa_group_segment_fixed_size 768
		.amdhsa_private_segment_fixed_size 0
		.amdhsa_kernarg_size 104
		.amdhsa_user_sgpr_count 2
		.amdhsa_user_sgpr_dispatch_ptr 0
		.amdhsa_user_sgpr_queue_ptr 0
		.amdhsa_user_sgpr_kernarg_segment_ptr 1
		.amdhsa_user_sgpr_dispatch_id 0
		.amdhsa_user_sgpr_kernarg_preload_length 0
		.amdhsa_user_sgpr_kernarg_preload_offset 0
		.amdhsa_user_sgpr_private_segment_size 0
		.amdhsa_wavefront_size32 1
		.amdhsa_uses_dynamic_stack 0
		.amdhsa_enable_private_segment 0
		.amdhsa_system_sgpr_workgroup_id_x 1
		.amdhsa_system_sgpr_workgroup_id_y 0
		.amdhsa_system_sgpr_workgroup_id_z 0
		.amdhsa_system_sgpr_workgroup_info 0
		.amdhsa_system_vgpr_workitem_id 0
		.amdhsa_next_free_vgpr 26
		.amdhsa_next_free_sgpr 29
		.amdhsa_named_barrier_count 0
		.amdhsa_reserve_vcc 1
		.amdhsa_float_round_mode_32 0
		.amdhsa_float_round_mode_16_64 0
		.amdhsa_float_denorm_mode_32 3
		.amdhsa_float_denorm_mode_16_64 3
		.amdhsa_fp16_overflow 0
		.amdhsa_memory_ordered 1
		.amdhsa_forward_progress 1
		.amdhsa_inst_pref_size 17
		.amdhsa_round_robin_scheduling 0
		.amdhsa_exception_fp_ieee_invalid_op 0
		.amdhsa_exception_fp_denorm_src 0
		.amdhsa_exception_fp_ieee_div_zero 0
		.amdhsa_exception_fp_ieee_overflow 0
		.amdhsa_exception_fp_ieee_underflow 0
		.amdhsa_exception_fp_ieee_inexact 0
		.amdhsa_exception_int_div_zero 0
	.end_amdhsa_kernel
	.section	.text._ZN9rocsparseL5csrsmILj64ELj64ELb0Eli21rocsparse_complex_numIfEEEv20rocsparse_operation_T3_S4_NS_24const_host_device_scalarIT4_EEPKT2_PKS4_PKS6_PS6_lPiSC_PS4_21rocsparse_index_base_20rocsparse_fill_mode_20rocsparse_diag_type_b,"axG",@progbits,_ZN9rocsparseL5csrsmILj64ELj64ELb0Eli21rocsparse_complex_numIfEEEv20rocsparse_operation_T3_S4_NS_24const_host_device_scalarIT4_EEPKT2_PKS4_PKS6_PS6_lPiSC_PS4_21rocsparse_index_base_20rocsparse_fill_mode_20rocsparse_diag_type_b,comdat
.Lfunc_end65:
	.size	_ZN9rocsparseL5csrsmILj64ELj64ELb0Eli21rocsparse_complex_numIfEEEv20rocsparse_operation_T3_S4_NS_24const_host_device_scalarIT4_EEPKT2_PKS4_PKS6_PS6_lPiSC_PS4_21rocsparse_index_base_20rocsparse_fill_mode_20rocsparse_diag_type_b, .Lfunc_end65-_ZN9rocsparseL5csrsmILj64ELj64ELb0Eli21rocsparse_complex_numIfEEEv20rocsparse_operation_T3_S4_NS_24const_host_device_scalarIT4_EEPKT2_PKS4_PKS6_PS6_lPiSC_PS4_21rocsparse_index_base_20rocsparse_fill_mode_20rocsparse_diag_type_b
                                        ; -- End function
	.set _ZN9rocsparseL5csrsmILj64ELj64ELb0Eli21rocsparse_complex_numIfEEEv20rocsparse_operation_T3_S4_NS_24const_host_device_scalarIT4_EEPKT2_PKS4_PKS6_PS6_lPiSC_PS4_21rocsparse_index_base_20rocsparse_fill_mode_20rocsparse_diag_type_b.num_vgpr, 26
	.set _ZN9rocsparseL5csrsmILj64ELj64ELb0Eli21rocsparse_complex_numIfEEEv20rocsparse_operation_T3_S4_NS_24const_host_device_scalarIT4_EEPKT2_PKS4_PKS6_PS6_lPiSC_PS4_21rocsparse_index_base_20rocsparse_fill_mode_20rocsparse_diag_type_b.num_agpr, 0
	.set _ZN9rocsparseL5csrsmILj64ELj64ELb0Eli21rocsparse_complex_numIfEEEv20rocsparse_operation_T3_S4_NS_24const_host_device_scalarIT4_EEPKT2_PKS4_PKS6_PS6_lPiSC_PS4_21rocsparse_index_base_20rocsparse_fill_mode_20rocsparse_diag_type_b.numbered_sgpr, 29
	.set _ZN9rocsparseL5csrsmILj64ELj64ELb0Eli21rocsparse_complex_numIfEEEv20rocsparse_operation_T3_S4_NS_24const_host_device_scalarIT4_EEPKT2_PKS4_PKS6_PS6_lPiSC_PS4_21rocsparse_index_base_20rocsparse_fill_mode_20rocsparse_diag_type_b.num_named_barrier, 0
	.set _ZN9rocsparseL5csrsmILj64ELj64ELb0Eli21rocsparse_complex_numIfEEEv20rocsparse_operation_T3_S4_NS_24const_host_device_scalarIT4_EEPKT2_PKS4_PKS6_PS6_lPiSC_PS4_21rocsparse_index_base_20rocsparse_fill_mode_20rocsparse_diag_type_b.private_seg_size, 0
	.set _ZN9rocsparseL5csrsmILj64ELj64ELb0Eli21rocsparse_complex_numIfEEEv20rocsparse_operation_T3_S4_NS_24const_host_device_scalarIT4_EEPKT2_PKS4_PKS6_PS6_lPiSC_PS4_21rocsparse_index_base_20rocsparse_fill_mode_20rocsparse_diag_type_b.uses_vcc, 1
	.set _ZN9rocsparseL5csrsmILj64ELj64ELb0Eli21rocsparse_complex_numIfEEEv20rocsparse_operation_T3_S4_NS_24const_host_device_scalarIT4_EEPKT2_PKS4_PKS6_PS6_lPiSC_PS4_21rocsparse_index_base_20rocsparse_fill_mode_20rocsparse_diag_type_b.uses_flat_scratch, 0
	.set _ZN9rocsparseL5csrsmILj64ELj64ELb0Eli21rocsparse_complex_numIfEEEv20rocsparse_operation_T3_S4_NS_24const_host_device_scalarIT4_EEPKT2_PKS4_PKS6_PS6_lPiSC_PS4_21rocsparse_index_base_20rocsparse_fill_mode_20rocsparse_diag_type_b.has_dyn_sized_stack, 0
	.set _ZN9rocsparseL5csrsmILj64ELj64ELb0Eli21rocsparse_complex_numIfEEEv20rocsparse_operation_T3_S4_NS_24const_host_device_scalarIT4_EEPKT2_PKS4_PKS6_PS6_lPiSC_PS4_21rocsparse_index_base_20rocsparse_fill_mode_20rocsparse_diag_type_b.has_recursion, 0
	.set _ZN9rocsparseL5csrsmILj64ELj64ELb0Eli21rocsparse_complex_numIfEEEv20rocsparse_operation_T3_S4_NS_24const_host_device_scalarIT4_EEPKT2_PKS4_PKS6_PS6_lPiSC_PS4_21rocsparse_index_base_20rocsparse_fill_mode_20rocsparse_diag_type_b.has_indirect_call, 0
	.section	.AMDGPU.csdata,"",@progbits
; Kernel info:
; codeLenInByte = 2172
; TotalNumSgprs: 31
; NumVgprs: 26
; ScratchSize: 0
; MemoryBound: 0
; FloatMode: 240
; IeeeMode: 1
; LDSByteSize: 768 bytes/workgroup (compile time only)
; SGPRBlocks: 0
; VGPRBlocks: 1
; NumSGPRsForWavesPerEU: 31
; NumVGPRsForWavesPerEU: 26
; NamedBarCnt: 0
; Occupancy: 16
; WaveLimiterHint : 1
; COMPUTE_PGM_RSRC2:SCRATCH_EN: 0
; COMPUTE_PGM_RSRC2:USER_SGPR: 2
; COMPUTE_PGM_RSRC2:TRAP_HANDLER: 0
; COMPUTE_PGM_RSRC2:TGID_X_EN: 1
; COMPUTE_PGM_RSRC2:TGID_Y_EN: 0
; COMPUTE_PGM_RSRC2:TGID_Z_EN: 0
; COMPUTE_PGM_RSRC2:TIDIG_COMP_CNT: 0
	.section	.text._ZN9rocsparseL5csrsmILj128ELj64ELb1Eli21rocsparse_complex_numIfEEEv20rocsparse_operation_T3_S4_NS_24const_host_device_scalarIT4_EEPKT2_PKS4_PKS6_PS6_lPiSC_PS4_21rocsparse_index_base_20rocsparse_fill_mode_20rocsparse_diag_type_b,"axG",@progbits,_ZN9rocsparseL5csrsmILj128ELj64ELb1Eli21rocsparse_complex_numIfEEEv20rocsparse_operation_T3_S4_NS_24const_host_device_scalarIT4_EEPKT2_PKS4_PKS6_PS6_lPiSC_PS4_21rocsparse_index_base_20rocsparse_fill_mode_20rocsparse_diag_type_b,comdat
	.globl	_ZN9rocsparseL5csrsmILj128ELj64ELb1Eli21rocsparse_complex_numIfEEEv20rocsparse_operation_T3_S4_NS_24const_host_device_scalarIT4_EEPKT2_PKS4_PKS6_PS6_lPiSC_PS4_21rocsparse_index_base_20rocsparse_fill_mode_20rocsparse_diag_type_b ; -- Begin function _ZN9rocsparseL5csrsmILj128ELj64ELb1Eli21rocsparse_complex_numIfEEEv20rocsparse_operation_T3_S4_NS_24const_host_device_scalarIT4_EEPKT2_PKS4_PKS6_PS6_lPiSC_PS4_21rocsparse_index_base_20rocsparse_fill_mode_20rocsparse_diag_type_b
	.p2align	8
	.type	_ZN9rocsparseL5csrsmILj128ELj64ELb1Eli21rocsparse_complex_numIfEEEv20rocsparse_operation_T3_S4_NS_24const_host_device_scalarIT4_EEPKT2_PKS4_PKS6_PS6_lPiSC_PS4_21rocsparse_index_base_20rocsparse_fill_mode_20rocsparse_diag_type_b,@function
_ZN9rocsparseL5csrsmILj128ELj64ELb1Eli21rocsparse_complex_numIfEEEv20rocsparse_operation_T3_S4_NS_24const_host_device_scalarIT4_EEPKT2_PKS4_PKS6_PS6_lPiSC_PS4_21rocsparse_index_base_20rocsparse_fill_mode_20rocsparse_diag_type_b: ; @_ZN9rocsparseL5csrsmILj128ELj64ELb1Eli21rocsparse_complex_numIfEEEv20rocsparse_operation_T3_S4_NS_24const_host_device_scalarIT4_EEPKT2_PKS4_PKS6_PS6_lPiSC_PS4_21rocsparse_index_base_20rocsparse_fill_mode_20rocsparse_diag_type_b
; %bb.0:
	s_clause 0x1
	s_load_b128 s[4:7], s[0:1], 0x58
	s_load_b64 s[2:3], s[0:1], 0x10
	s_wait_kmcnt 0x0
	s_bitcmp1_b32 s7, 0
	s_mov_b32 s19, s2
	s_cselect_b32 s8, -1, 0
	s_delay_alu instid0(SALU_CYCLE_1)
	s_xor_b32 s7, s8, -1
	s_and_b32 vcc_lo, exec_lo, s8
	s_cbranch_vccnz .LBB66_2
; %bb.1:
	s_load_b32 s19, s[2:3], 0x0
.LBB66_2:
	s_clause 0x1
	s_load_b64 s[12:13], s[0:1], 0x18
	s_load_b64 s[8:9], s[0:1], 0x48
	s_and_not1_b32 vcc_lo, exec_lo, s7
	s_cbranch_vccnz .LBB66_4
; %bb.3:
	s_wait_xcnt 0x0
	s_load_b32 s3, s[2:3], 0x4
.LBB66_4:
	s_nop 0
	s_load_b96 s[16:18], s[0:1], 0x0
	s_bfe_u32 s10, ttmp6, 0x4000c
	s_and_b32 s7, ttmp6, 15
	s_add_co_i32 s10, s10, 1
	s_getreg_b32 s14, hwreg(HW_REG_IB_STS2, 6, 4)
	s_mul_i32 s10, ttmp9, s10
	s_delay_alu instid0(SALU_CYCLE_1) | instskip(SKIP_3) | instid1(SALU_CYCLE_2)
	s_add_co_i32 s7, s7, s10
	s_wait_kmcnt 0x0
	s_cvt_f32_u32 s2, s17
	s_sub_co_i32 s11, 0, s17
	v_rcp_iflag_f32_e32 v1, s2
	v_nop
	s_delay_alu instid0(TRANS32_DEP_1) | instskip(SKIP_1) | instid1(SALU_CYCLE_3)
	v_readfirstlane_b32 s2, v1
	s_mul_f32 s2, s2, 0x4f7ffffe
	s_cvt_u32_f32 s2, s2
	s_delay_alu instid0(SALU_CYCLE_3) | instskip(NEXT) | instid1(SALU_CYCLE_1)
	s_mul_i32 s11, s11, s2
	s_mul_hi_u32 s11, s2, s11
	s_delay_alu instid0(SALU_CYCLE_1) | instskip(SKIP_2) | instid1(SALU_CYCLE_1)
	s_add_co_i32 s2, s2, s11
	s_cmp_eq_u32 s14, 0
	s_cselect_b32 s10, ttmp9, s7
	s_mul_hi_u32 s2, s10, s2
	s_delay_alu instid0(SALU_CYCLE_1) | instskip(SKIP_2) | instid1(SALU_CYCLE_1)
	s_mul_i32 s7, s2, s17
	s_add_co_i32 s11, s2, 1
	s_sub_co_i32 s7, s10, s7
	s_sub_co_i32 s14, s7, s17
	s_cmp_ge_u32 s7, s17
	s_cselect_b32 s2, s11, s2
	s_cselect_b32 s7, s14, s7
	s_add_co_i32 s11, s2, 1
	s_cmp_ge_u32 s7, s17
	s_cselect_b32 s2, s11, s2
	s_delay_alu instid0(SALU_CYCLE_1) | instskip(SKIP_2) | instid1(SALU_CYCLE_1)
	s_mul_i32 s7, s2, s17
	v_lshl_or_b32 v2, s2, 7, v0
	s_sub_co_i32 s10, s10, s7
	s_ashr_i32 s11, s10, 31
	s_delay_alu instid0(VALU_DEP_1)
	v_ashrrev_i32_e32 v3, 31, v2
	s_lshl_b64 s[10:11], s[10:11], 2
	v_cmp_gt_i32_e64 s2, s18, v2
	s_add_nc_u64 s[14:15], s[8:9], s[10:11]
	s_load_b32 s20, s[14:15], 0x0
	s_load_b128 s[8:11], s[0:1], 0x30
	s_wait_kmcnt 0x0
	s_ashr_i32 s21, s20, 31
	s_delay_alu instid0(SALU_CYCLE_1)
	s_lshl_b64 s[14:15], s[20:21], 3
	s_cmp_lg_u32 s16, 0x71
	s_add_nc_u64 s[22:23], s[12:13], s[14:15]
	s_load_b128 s[12:15], s[22:23], 0x0
	s_wait_xcnt 0x0
	s_mul_u64 s[22:23], s[10:11], s[20:21]
	s_delay_alu instid0(SALU_CYCLE_1)
	v_add_nc_u64_e32 v[6:7], s[22:23], v[2:3]
	s_cbranch_scc0 .LBB66_8
; %bb.5:
	v_mov_b64_e32 v[4:5], 0
	s_and_saveexec_b32 s16, s2
	s_cbranch_execz .LBB66_7
; %bb.6:
	s_delay_alu instid0(VALU_DEP_2) | instskip(SKIP_1) | instid1(SALU_CYCLE_1)
	v_lshl_add_u64 v[4:5], v[6:7], 3, s[8:9]
	s_xor_b32 s17, s3, 0x80000000
	v_dual_mov_b32 v9, s19 :: v_dual_mov_b32 v11, s17
	v_dual_mov_b32 v10, s19 :: v_dual_mov_b32 v8, s3
	global_load_b64 v[4:5], v[4:5], off
	s_wait_loadcnt 0x0
	v_pk_mul_f32 v[10:11], v[4:5], v[10:11] op_sel:[1,0]
	s_delay_alu instid0(VALU_DEP_1)
	v_pk_fma_f32 v[4:5], v[8:9], v[4:5], v[10:11] op_sel_hi:[1,0,1]
.LBB66_7:
	s_or_b32 exec_lo, exec_lo, s16
	s_load_b64 s[16:17], s[0:1], 0x40
	s_cbranch_execz .LBB66_9
	s_branch .LBB66_12
.LBB66_8:
                                        ; implicit-def: $vgpr4_vgpr5
	s_load_b64 s[16:17], s[0:1], 0x40
.LBB66_9:
	v_mov_b64_e32 v[4:5], 0
	s_and_saveexec_b32 s21, s2
	s_cbranch_execz .LBB66_11
; %bb.10:
	s_delay_alu instid0(VALU_DEP_2) | instskip(SKIP_1) | instid1(SALU_CYCLE_1)
	v_lshl_add_u64 v[4:5], v[6:7], 3, s[8:9]
	s_mov_b32 s18, s3
	v_mov_b64_e32 v[6:7], s[18:19]
	global_load_b64 v[4:5], v[4:5], off
	s_wait_loadcnt 0x0
	v_pk_mul_f32 v[8:9], v[4:5], v[6:7] op_sel:[1,0] neg_hi:[1,0]
	s_delay_alu instid0(VALU_DEP_1)
	v_pk_fma_f32 v[4:5], v[6:7], v[4:5], v[8:9] op_sel:[0,0,1] op_sel_hi:[1,0,0]
.LBB66_11:
	s_or_b32 exec_lo, exec_lo, s21
.LBB66_12:
	s_wait_kmcnt 0x0
	v_cmp_ge_i64_e64 s3, s[12:13], s[14:15]
	s_delay_alu instid0(VALU_DEP_2) | instskip(SKIP_2) | instid1(VALU_DEP_3)
	v_dual_mov_b32 v9, 1.0 :: v_dual_mov_b32 v8, v4
	v_lshl_add_u64 v[2:3], v[2:3], 3, s[8:9]
	v_dual_mov_b32 v15, v5 :: v_dual_mov_b32 v20, 0
	v_mov_b32_e32 v14, v9
	s_and_b32 vcc_lo, exec_lo, s3
	v_cmp_eq_u32_e64 s3, 0, v0
	s_cbranch_vccnz .LBB66_55
; %bb.13:
	s_clause 0x1
	s_load_b128 s[24:27], s[0:1], 0x20
	s_load_b64 s[8:9], s[0:1], 0x50
	v_dual_mov_b32 v4, 0 :: v_dual_lshlrev_b32 v10, 2, v0
	v_lshlrev_b32_e32 v6, 3, v0
	s_mov_b32 s19, 0
	s_mov_b32 s18, s4
	s_delay_alu instid0(VALU_DEP_2)
	v_dual_mov_b32 v11, v4 :: v_dual_mov_b32 v7, v4
	v_mov_b32_e32 v1, v4
	v_or_b32_e32 v21, 0x400, v10
	s_cmp_eq_u32 s6, 0
	s_wait_xcnt 0x0
	s_sub_nc_u64 s[0:1], s[12:13], s[18:19]
	s_cselect_b32 s21, -1, 0
	s_sub_nc_u64 s[12:13], s[14:15], s[18:19]
	s_mov_b64 s[14:15], s[0:1]
	s_wait_kmcnt 0x0
	v_add_nc_u64_e32 v[10:11], s[24:25], v[10:11]
	v_add_nc_u64_e32 v[12:13], s[26:27], v[6:7]
	v_mov_b32_e32 v7, 0
	s_add_co_i32 s26, s20, s4
	s_sub_co_i32 s1, s14, s0
	s_delay_alu instid0(SALU_CYCLE_1) | instskip(NEXT) | instid1(SALU_CYCLE_1)
	s_and_b32 s1, s1, 0x7f
	s_cmp_lg_u32 s1, 0
	s_cbranch_scc1 .LBB66_17
.LBB66_14:
	s_sub_nc_u64 s[18:19], s[12:13], s[14:15]
	v_dual_mov_b32 v17, 0 :: v_dual_mov_b32 v16, -1.0
	v_cmp_gt_i64_e32 vcc_lo, s[18:19], v[0:1]
	v_mov_b32_e32 v5, -1
	s_and_saveexec_b32 s18, vcc_lo
	s_cbranch_execz .LBB66_16
; %bb.15:
	v_lshl_add_u64 v[16:17], s[14:15], 2, v[10:11]
	global_load_b32 v5, v[16:17], off
	s_wait_xcnt 0x0
	v_lshl_add_u64 v[16:17], s[14:15], 3, v[12:13]
	global_load_b64 v[16:17], v[16:17], off
	s_wait_loadcnt 0x1
	v_subrev_nc_u32_e32 v5, s4, v5
.LBB66_16:
	s_wait_xcnt 0x0
	s_or_b32 exec_lo, exec_lo, s18
	ds_store_b32 v21, v5
	s_wait_loadcnt 0x0
	ds_store_b64 v6, v[16:17]
.LBB66_17:                              ; =>This Loop Header: Depth=1
                                        ;     Child Loop BB66_53 Depth 2
                                        ;       Child Loop BB66_54 Depth 3
	s_lshl_b32 s18, s1, 3
	s_wait_dscnt 0x0
	v_mov_b32_e32 v5, s18
	s_barrier_signal -1
	s_barrier_wait -1
	s_lshl_b32 s1, s1, 2
	ds_load_b64 v[16:17], v5
	v_mov_b32_e32 v5, s1
	ds_load_b32 v5, v5 offset:1024
	s_wait_dscnt 0x1
	v_readfirstlane_b32 s1, v16
	v_readfirstlane_b32 s24, v17
	s_cmp_eq_f32 s1, 0
	s_wait_dscnt 0x0
	v_readfirstlane_b32 s18, v5
	s_cselect_b32 s19, -1, 0
	s_cmp_eq_f32 s24, 0
	s_cselect_b32 s25, -1, 0
	s_delay_alu instid0(SALU_CYCLE_1)
	s_and_b32 s27, s19, s25
	s_cmp_eq_u32 s18, s20
	s_cselect_b32 s25, -1, 0
	s_cmp_lg_u32 s18, s20
	s_cselect_b32 s19, -1, 0
	s_and_b32 s27, s27, s25
	s_delay_alu instid0(SALU_CYCLE_1) | instskip(NEXT) | instid1(SALU_CYCLE_1)
	s_and_b32 s27, s21, s27
	s_and_b32 s28, s3, s27
	s_and_b32 s27, s27, exec_lo
	s_cselect_b32 s24, 0, s24
	s_cselect_b32 s1, 1.0, s1
	s_delay_alu instid0(SALU_CYCLE_1)
	v_dual_mov_b32 v22, s24 :: v_dual_mov_b32 v23, s1
	s_and_saveexec_b32 s1, s28
	s_cbranch_execz .LBB66_21
; %bb.18:                               ;   in Loop: Header=BB66_17 Depth=1
	v_mbcnt_lo_u32_b32 v5, exec_lo, 0
	s_mov_b32 s24, exec_lo
	s_delay_alu instid0(VALU_DEP_1)
	v_cmpx_eq_u32_e32 0, v5
	s_cbranch_execz .LBB66_20
; %bb.19:                               ;   in Loop: Header=BB66_17 Depth=1
	v_mov_b32_e32 v5, s26
	global_atomic_min_i32 v4, v5, s[8:9] scope:SCOPE_DEV
.LBB66_20:                              ;   in Loop: Header=BB66_17 Depth=1
	s_wait_xcnt 0x0
	s_or_b32 exec_lo, exec_lo, s24
	v_dual_mov_b32 v23, 1.0 :: v_dual_mov_b32 v22, 0
.LBB66_21:                              ;   in Loop: Header=BB66_17 Depth=1
	s_or_b32 exec_lo, exec_lo, s1
	s_mov_b32 s27, -1
	s_mov_b32 s1, 0
	s_cmp_lt_i32 s5, 1
	s_mov_b32 s24, 0
                                        ; implicit-def: $vgpr16_vgpr17
                                        ; implicit-def: $vgpr18_vgpr19
                                        ; implicit-def: $vgpr20
	s_cbranch_scc0 .LBB66_28
; %bb.22:                               ;   in Loop: Header=BB66_17 Depth=1
	s_and_b32 vcc_lo, exec_lo, s27
	s_mov_b32 s25, 4
	s_cbranch_vccnz .LBB66_35
.LBB66_23:                              ;   in Loop: Header=BB66_17 Depth=1
	s_and_b32 vcc_lo, exec_lo, s24
	s_cbranch_vccnz .LBB66_40
.LBB66_24:                              ;   in Loop: Header=BB66_17 Depth=1
	s_and_b32 vcc_lo, exec_lo, s1
	s_cbranch_vccnz .LBB66_45
.LBB66_25:                              ;   in Loop: Header=BB66_17 Depth=1
	s_mov_b32 s1, -1
	s_cmp_gt_i32 s25, 3
	s_mov_b32 s18, -1
	s_cbranch_scc0 .LBB66_48
.LBB66_26:                              ;   in Loop: Header=BB66_17 Depth=1
	s_and_not1_b32 vcc_lo, exec_lo, s18
	s_cbranch_vccz .LBB66_49
.LBB66_27:                              ;   in Loop: Header=BB66_17 Depth=1
	s_and_not1_b32 vcc_lo, exec_lo, s1
	s_cbranch_vccnz .LBB66_50
	s_branch .LBB66_56
.LBB66_28:                              ;   in Loop: Header=BB66_17 Depth=1
	s_cmp_eq_u32 s5, 1
	s_mov_b32 s24, -1
                                        ; implicit-def: $vgpr16_vgpr17
                                        ; implicit-def: $vgpr18_vgpr19
                                        ; implicit-def: $vgpr20
	s_cbranch_scc0 .LBB66_34
; %bb.29:                               ;   in Loop: Header=BB66_17 Depth=1
	v_mov_b64_e32 v[16:17], v[14:15]
	v_mov_b64_e32 v[18:19], v[8:9]
	v_mov_b32_e32 v20, v7
	s_cmp_ge_i32 s18, s20
	s_mov_b32 s24, 0
	s_cbranch_scc0 .LBB66_34
; %bb.30:                               ;   in Loop: Header=BB66_17 Depth=1
	s_and_b32 vcc_lo, exec_lo, s25
	s_mov_b32 s24, -1
                                        ; implicit-def: $vgpr16_vgpr17
                                        ; implicit-def: $vgpr18_vgpr19
                                        ; implicit-def: $vgpr20
	s_cbranch_vccz .LBB66_34
; %bb.31:                               ;   in Loop: Header=BB66_17 Depth=1
	v_mov_b64_e32 v[16:17], v[14:15]
	v_mov_b64_e32 v[18:19], v[8:9]
	v_mov_b32_e32 v20, v7
	s_and_not1_b32 vcc_lo, exec_lo, s21
	s_cbranch_vccnz .LBB66_33
; %bb.32:                               ;   in Loop: Header=BB66_17 Depth=1
	v_mul_f32_e32 v5, v22, v22
	s_delay_alu instid0(VALU_DEP_1) | instskip(NEXT) | instid1(VALU_DEP_1)
	v_fmac_f32_e32 v5, v23, v23
	v_div_scale_f32 v16, null, v5, v5, 1.0
	v_div_scale_f32 v19, vcc_lo, 1.0, v5, 1.0
	s_delay_alu instid0(VALU_DEP_2) | instskip(SKIP_1) | instid1(TRANS32_DEP_1)
	v_rcp_f32_e32 v17, v16
	v_nop
	v_fma_f32 v18, -v16, v17, 1.0
	s_delay_alu instid0(VALU_DEP_1) | instskip(NEXT) | instid1(VALU_DEP_1)
	v_fmac_f32_e32 v17, v18, v17
	v_mul_f32_e32 v18, v19, v17
	s_delay_alu instid0(VALU_DEP_1) | instskip(NEXT) | instid1(VALU_DEP_1)
	v_fma_f32 v20, -v16, v18, v19
	v_fmac_f32_e32 v18, v20, v17
	s_delay_alu instid0(VALU_DEP_1) | instskip(NEXT) | instid1(VALU_DEP_1)
	v_fma_f32 v16, -v16, v18, v19
	v_div_fmas_f32 v16, v16, v17, v18
	v_dual_fma_f32 v17, 0, v22, v23 :: v_dual_mov_b32 v18, v8
	s_delay_alu instid0(VALU_DEP_2) | instskip(SKIP_1) | instid1(VALU_DEP_1)
	v_div_fixup_f32 v5, v16, v5, 1.0
	v_fma_f32 v16, v23, 0, -v22
	v_dual_mul_f32 v19, v17, v5 :: v_dual_mul_f32 v20, v16, v5
	s_delay_alu instid0(VALU_DEP_1)
	v_dual_mov_b32 v17, v15 :: v_dual_mov_b32 v16, v19
.LBB66_33:                              ;   in Loop: Header=BB66_17 Depth=1
	s_mov_b32 s24, 0
.LBB66_34:                              ;   in Loop: Header=BB66_17 Depth=1
	s_mov_b32 s25, 4
	s_branch .LBB66_23
.LBB66_35:                              ;   in Loop: Header=BB66_17 Depth=1
	s_cmp_eq_u32 s5, 0
	s_cbranch_scc1 .LBB66_37
; %bb.36:                               ;   in Loop: Header=BB66_17 Depth=1
	s_mov_b32 s24, -1
	s_branch .LBB66_39
.LBB66_37:                              ;   in Loop: Header=BB66_17 Depth=1
	s_cmp_le_i32 s18, s20
	s_mov_b32 s24, 0
	s_cbranch_scc0 .LBB66_39
; %bb.38:                               ;   in Loop: Header=BB66_17 Depth=1
	s_mov_b32 s1, -1
	s_mov_b32 s24, s19
.LBB66_39:                              ;   in Loop: Header=BB66_17 Depth=1
	v_mov_b64_e32 v[16:17], v[14:15]
	v_mov_b64_e32 v[18:19], v[8:9]
	v_mov_b32_e32 v20, v7
	s_mov_b32 s25, 2
	s_and_b32 vcc_lo, exec_lo, s24
	s_cbranch_vccz .LBB66_24
.LBB66_40:                              ;   in Loop: Header=BB66_17 Depth=1
	s_and_saveexec_b32 s1, s3
	s_cbranch_execz .LBB66_42
; %bb.41:                               ;   in Loop: Header=BB66_17 Depth=1
	s_add_co_i32 s24, s18, s7
	s_delay_alu instid0(SALU_CYCLE_1)
	v_mov_b32_e32 v5, s24
	global_load_b32 v5, v5, s[16:17] scale_offset scope:SCOPE_DEV
	s_wait_loadcnt 0x0
	v_cmp_ne_u32_e32 vcc_lo, 0, v5
	s_cbranch_vccz .LBB66_51
.LBB66_42:                              ;   in Loop: Header=BB66_17 Depth=1
	s_wait_xcnt 0x0
	s_or_b32 exec_lo, exec_lo, s1
	v_dual_mov_b32 v5, v9 :: v_dual_mov_b32 v16, v9
	v_mov_b32_e32 v17, v4
	s_wait_storecnt 0x0
	s_barrier_signal -1
	s_delay_alu instid0(VALU_DEP_2)
	v_mov_b64_e32 v[18:19], v[4:5]
	s_barrier_wait -1
	global_inv scope:SCOPE_DEV
	s_and_saveexec_b32 s1, s2
	s_cbranch_execz .LBB66_44
; %bb.43:                               ;   in Loop: Header=BB66_17 Depth=1
	s_ashr_i32 s19, s18, 31
	s_delay_alu instid0(SALU_CYCLE_1) | instskip(NEXT) | instid1(SALU_CYCLE_1)
	s_mul_u64 s[18:19], s[10:11], s[18:19]
	v_lshl_add_u64 v[16:17], s[18:19], 3, v[2:3]
	global_load_b64 v[24:25], v[16:17], off
	s_wait_loadcnt 0x0
	v_dual_mov_b32 v16, v9 :: v_dual_fma_f32 v17, -v23, v24, v15
	v_dual_fma_f32 v5, -v22, v24, v8 :: v_dual_mov_b32 v19, v9
	s_delay_alu instid0(VALU_DEP_2) | instskip(NEXT) | instid1(VALU_DEP_2)
	v_fmac_f32_e32 v17, v22, v25
	v_fma_f32 v18, -v23, v25, v5
.LBB66_44:                              ;   in Loop: Header=BB66_17 Depth=1
	s_or_b32 exec_lo, exec_lo, s1
	v_mov_b32_e32 v20, v7
	s_mov_b32 s25, 0
	s_branch .LBB66_25
.LBB66_45:                              ;   in Loop: Header=BB66_17 Depth=1
	s_and_not1_b32 vcc_lo, exec_lo, s21
	s_cbranch_vccnz .LBB66_47
; %bb.46:                               ;   in Loop: Header=BB66_17 Depth=1
	v_mul_f32_e32 v5, v22, v22
	s_delay_alu instid0(VALU_DEP_1) | instskip(NEXT) | instid1(VALU_DEP_1)
	v_fmac_f32_e32 v5, v23, v23
	v_div_scale_f32 v7, null, v5, v5, 1.0
	v_div_scale_f32 v16, vcc_lo, 1.0, v5, 1.0
	s_delay_alu instid0(VALU_DEP_2) | instskip(SKIP_1) | instid1(TRANS32_DEP_1)
	v_rcp_f32_e32 v9, v7
	v_nop
	v_fma_f32 v14, -v7, v9, 1.0
	s_delay_alu instid0(VALU_DEP_1) | instskip(NEXT) | instid1(VALU_DEP_1)
	v_fmac_f32_e32 v9, v14, v9
	v_mul_f32_e32 v14, v16, v9
	s_delay_alu instid0(VALU_DEP_1) | instskip(NEXT) | instid1(VALU_DEP_1)
	v_fma_f32 v17, -v7, v14, v16
	v_fmac_f32_e32 v14, v17, v9
	s_delay_alu instid0(VALU_DEP_1) | instskip(NEXT) | instid1(VALU_DEP_1)
	v_fma_f32 v7, -v7, v14, v16
	v_div_fmas_f32 v7, v7, v9, v14
	v_fma_f32 v14, v23, 0, -v22
	s_delay_alu instid0(VALU_DEP_2) | instskip(SKIP_1) | instid1(VALU_DEP_1)
	v_div_fixup_f32 v5, v7, v5, 1.0
	v_fma_f32 v7, 0, v22, v23
	v_dual_mul_f32 v9, v7, v5 :: v_dual_mul_f32 v7, v14, v5
	s_delay_alu instid0(VALU_DEP_1)
	v_mov_b32_e32 v14, v9
.LBB66_47:                              ;   in Loop: Header=BB66_17 Depth=1
	v_mov_b64_e32 v[18:19], v[8:9]
	s_delay_alu instid0(VALU_DEP_2) | instskip(NEXT) | instid1(VALU_DEP_4)
	v_mov_b64_e32 v[16:17], v[14:15]
	v_mov_b32_e32 v20, v7
	s_mov_b32 s25, 2
	s_mov_b32 s1, -1
	s_cmp_gt_i32 s25, 3
	s_mov_b32 s18, -1
	s_cbranch_scc1 .LBB66_26
.LBB66_48:                              ;   in Loop: Header=BB66_17 Depth=1
	s_cmp_eq_u32 s25, 0
	s_cselect_b32 s18, -1, 0
	s_delay_alu instid0(SALU_CYCLE_1)
	s_and_not1_b32 vcc_lo, exec_lo, s18
	s_cbranch_vccnz .LBB66_27
.LBB66_49:                              ;   in Loop: Header=BB66_17 Depth=1
	s_add_nc_u64 s[14:15], s[14:15], 1
	s_delay_alu instid0(SALU_CYCLE_1)
	v_cmp_ge_i64_e64 s1, s[14:15], s[12:13]
	s_and_not1_b32 vcc_lo, exec_lo, s1
	s_cbranch_vccz .LBB66_56
.LBB66_50:                              ;   in Loop: Header=BB66_17 Depth=1
	v_mov_b32_e32 v7, v20
	v_mov_b64_e32 v[8:9], v[18:19]
	v_mov_b64_e32 v[14:15], v[16:17]
	s_sub_co_i32 s1, s14, s0
	s_delay_alu instid0(SALU_CYCLE_1) | instskip(NEXT) | instid1(SALU_CYCLE_1)
	s_and_b32 s1, s1, 0x7f
	s_cmp_lg_u32 s1, 0
	s_cbranch_scc1 .LBB66_17
	s_branch .LBB66_14
.LBB66_51:                              ;   in Loop: Header=BB66_17 Depth=1
	s_ashr_i32 s25, s24, 31
	s_mov_b32 s19, 0
	s_lshl_b64 s[24:25], s[24:25], 2
	s_delay_alu instid0(SALU_CYCLE_1)
	s_add_nc_u64 s[24:25], s[16:17], s[24:25]
	s_branch .LBB66_53
.LBB66_52:                              ;   in Loop: Header=BB66_53 Depth=2
	global_load_b32 v5, v4, s[24:25] scope:SCOPE_DEV
	s_cmp_lt_u32 s19, 0xf43
	s_cselect_b32 s27, -1, 0
	s_delay_alu instid0(SALU_CYCLE_1)
	s_cmp_lg_u32 s27, 0
	s_add_co_ci_u32 s19, s19, 0
	s_wait_loadcnt 0x0
	v_cmp_ne_u32_e32 vcc_lo, 0, v5
	s_cbranch_vccnz .LBB66_42
.LBB66_53:                              ;   Parent Loop BB66_17 Depth=1
                                        ; =>  This Loop Header: Depth=2
                                        ;       Child Loop BB66_54 Depth 3
	s_cmp_eq_u32 s19, 0
	s_mov_b32 s27, s19
	s_cbranch_scc1 .LBB66_52
.LBB66_54:                              ;   Parent Loop BB66_17 Depth=1
                                        ;     Parent Loop BB66_53 Depth=2
                                        ; =>    This Inner Loop Header: Depth=3
	s_add_co_i32 s27, s27, -1
	s_sleep 1
	s_cmp_eq_u32 s27, 0
	s_cbranch_scc0 .LBB66_54
	s_branch .LBB66_52
.LBB66_55:
	v_mov_b64_e32 v[16:17], v[14:15]
	v_mov_b64_e32 v[18:19], v[8:9]
	s_and_saveexec_b32 s0, s2
	s_cbranch_execnz .LBB66_57
	s_branch .LBB66_58
.LBB66_56:
	v_dual_mov_b32 v4, v18 :: v_dual_mov_b32 v5, v17
	s_and_saveexec_b32 s0, s2
	s_cbranch_execz .LBB66_58
.LBB66_57:
	s_delay_alu instid0(VALU_DEP_1) | instskip(NEXT) | instid1(VALU_DEP_3)
	v_xor_b32_e32 v7, 0x80000000, v18
	v_mov_b32_e32 v6, v17
	s_cmp_eq_u32 s6, 0
	v_lshl_add_u64 v[2:3], s[22:23], 3, v[2:3]
	s_cselect_b32 vcc_lo, -1, 0
	s_delay_alu instid0(VALU_DEP_2) | instskip(NEXT) | instid1(VALU_DEP_1)
	v_pk_mul_f32 v[6:7], v[20:21], v[6:7] op_sel_hi:[0,1]
	v_pk_fma_f32 v[6:7], v[18:19], v[16:17], v[6:7]
	s_delay_alu instid0(VALU_DEP_1)
	v_dual_cndmask_b32 v9, v4, v6 :: v_dual_cndmask_b32 v8, v5, v7
	global_store_b64 v[2:3], v[8:9], off
.LBB66_58:
	s_wait_xcnt 0x0
	s_or_b32 exec_lo, exec_lo, s0
	global_wb scope:SCOPE_DEV
	s_wait_loadcnt 0x0
	s_wait_storecnt 0x0
	global_inv scope:SCOPE_DEV
	s_wait_loadcnt 0x0
	s_barrier_signal -1
	s_barrier_wait -1
	s_mov_b32 s0, exec_lo
	v_cmpx_eq_u32_e32 0, v0
	s_cbranch_execz .LBB66_60
; %bb.59:
	s_add_co_i32 s0, s20, s7
	s_delay_alu instid0(SALU_CYCLE_1)
	v_dual_mov_b32 v0, 1 :: v_dual_mov_b32 v1, s0
	global_store_b32 v1, v0, s[16:17] scale_offset scope:SCOPE_DEV
.LBB66_60:
	s_endpgm
	.section	.rodata,"a",@progbits
	.p2align	6, 0x0
	.amdhsa_kernel _ZN9rocsparseL5csrsmILj128ELj64ELb1Eli21rocsparse_complex_numIfEEEv20rocsparse_operation_T3_S4_NS_24const_host_device_scalarIT4_EEPKT2_PKS4_PKS6_PS6_lPiSC_PS4_21rocsparse_index_base_20rocsparse_fill_mode_20rocsparse_diag_type_b
		.amdhsa_group_segment_fixed_size 1536
		.amdhsa_private_segment_fixed_size 0
		.amdhsa_kernarg_size 104
		.amdhsa_user_sgpr_count 2
		.amdhsa_user_sgpr_dispatch_ptr 0
		.amdhsa_user_sgpr_queue_ptr 0
		.amdhsa_user_sgpr_kernarg_segment_ptr 1
		.amdhsa_user_sgpr_dispatch_id 0
		.amdhsa_user_sgpr_kernarg_preload_length 0
		.amdhsa_user_sgpr_kernarg_preload_offset 0
		.amdhsa_user_sgpr_private_segment_size 0
		.amdhsa_wavefront_size32 1
		.amdhsa_uses_dynamic_stack 0
		.amdhsa_enable_private_segment 0
		.amdhsa_system_sgpr_workgroup_id_x 1
		.amdhsa_system_sgpr_workgroup_id_y 0
		.amdhsa_system_sgpr_workgroup_id_z 0
		.amdhsa_system_sgpr_workgroup_info 0
		.amdhsa_system_vgpr_workitem_id 0
		.amdhsa_next_free_vgpr 26
		.amdhsa_next_free_sgpr 29
		.amdhsa_named_barrier_count 0
		.amdhsa_reserve_vcc 1
		.amdhsa_float_round_mode_32 0
		.amdhsa_float_round_mode_16_64 0
		.amdhsa_float_denorm_mode_32 3
		.amdhsa_float_denorm_mode_16_64 3
		.amdhsa_fp16_overflow 0
		.amdhsa_memory_ordered 1
		.amdhsa_forward_progress 1
		.amdhsa_inst_pref_size 18
		.amdhsa_round_robin_scheduling 0
		.amdhsa_exception_fp_ieee_invalid_op 0
		.amdhsa_exception_fp_denorm_src 0
		.amdhsa_exception_fp_ieee_div_zero 0
		.amdhsa_exception_fp_ieee_overflow 0
		.amdhsa_exception_fp_ieee_underflow 0
		.amdhsa_exception_fp_ieee_inexact 0
		.amdhsa_exception_int_div_zero 0
	.end_amdhsa_kernel
	.section	.text._ZN9rocsparseL5csrsmILj128ELj64ELb1Eli21rocsparse_complex_numIfEEEv20rocsparse_operation_T3_S4_NS_24const_host_device_scalarIT4_EEPKT2_PKS4_PKS6_PS6_lPiSC_PS4_21rocsparse_index_base_20rocsparse_fill_mode_20rocsparse_diag_type_b,"axG",@progbits,_ZN9rocsparseL5csrsmILj128ELj64ELb1Eli21rocsparse_complex_numIfEEEv20rocsparse_operation_T3_S4_NS_24const_host_device_scalarIT4_EEPKT2_PKS4_PKS6_PS6_lPiSC_PS4_21rocsparse_index_base_20rocsparse_fill_mode_20rocsparse_diag_type_b,comdat
.Lfunc_end66:
	.size	_ZN9rocsparseL5csrsmILj128ELj64ELb1Eli21rocsparse_complex_numIfEEEv20rocsparse_operation_T3_S4_NS_24const_host_device_scalarIT4_EEPKT2_PKS4_PKS6_PS6_lPiSC_PS4_21rocsparse_index_base_20rocsparse_fill_mode_20rocsparse_diag_type_b, .Lfunc_end66-_ZN9rocsparseL5csrsmILj128ELj64ELb1Eli21rocsparse_complex_numIfEEEv20rocsparse_operation_T3_S4_NS_24const_host_device_scalarIT4_EEPKT2_PKS4_PKS6_PS6_lPiSC_PS4_21rocsparse_index_base_20rocsparse_fill_mode_20rocsparse_diag_type_b
                                        ; -- End function
	.set _ZN9rocsparseL5csrsmILj128ELj64ELb1Eli21rocsparse_complex_numIfEEEv20rocsparse_operation_T3_S4_NS_24const_host_device_scalarIT4_EEPKT2_PKS4_PKS6_PS6_lPiSC_PS4_21rocsparse_index_base_20rocsparse_fill_mode_20rocsparse_diag_type_b.num_vgpr, 26
	.set _ZN9rocsparseL5csrsmILj128ELj64ELb1Eli21rocsparse_complex_numIfEEEv20rocsparse_operation_T3_S4_NS_24const_host_device_scalarIT4_EEPKT2_PKS4_PKS6_PS6_lPiSC_PS4_21rocsparse_index_base_20rocsparse_fill_mode_20rocsparse_diag_type_b.num_agpr, 0
	.set _ZN9rocsparseL5csrsmILj128ELj64ELb1Eli21rocsparse_complex_numIfEEEv20rocsparse_operation_T3_S4_NS_24const_host_device_scalarIT4_EEPKT2_PKS4_PKS6_PS6_lPiSC_PS4_21rocsparse_index_base_20rocsparse_fill_mode_20rocsparse_diag_type_b.numbered_sgpr, 29
	.set _ZN9rocsparseL5csrsmILj128ELj64ELb1Eli21rocsparse_complex_numIfEEEv20rocsparse_operation_T3_S4_NS_24const_host_device_scalarIT4_EEPKT2_PKS4_PKS6_PS6_lPiSC_PS4_21rocsparse_index_base_20rocsparse_fill_mode_20rocsparse_diag_type_b.num_named_barrier, 0
	.set _ZN9rocsparseL5csrsmILj128ELj64ELb1Eli21rocsparse_complex_numIfEEEv20rocsparse_operation_T3_S4_NS_24const_host_device_scalarIT4_EEPKT2_PKS4_PKS6_PS6_lPiSC_PS4_21rocsparse_index_base_20rocsparse_fill_mode_20rocsparse_diag_type_b.private_seg_size, 0
	.set _ZN9rocsparseL5csrsmILj128ELj64ELb1Eli21rocsparse_complex_numIfEEEv20rocsparse_operation_T3_S4_NS_24const_host_device_scalarIT4_EEPKT2_PKS4_PKS6_PS6_lPiSC_PS4_21rocsparse_index_base_20rocsparse_fill_mode_20rocsparse_diag_type_b.uses_vcc, 1
	.set _ZN9rocsparseL5csrsmILj128ELj64ELb1Eli21rocsparse_complex_numIfEEEv20rocsparse_operation_T3_S4_NS_24const_host_device_scalarIT4_EEPKT2_PKS4_PKS6_PS6_lPiSC_PS4_21rocsparse_index_base_20rocsparse_fill_mode_20rocsparse_diag_type_b.uses_flat_scratch, 0
	.set _ZN9rocsparseL5csrsmILj128ELj64ELb1Eli21rocsparse_complex_numIfEEEv20rocsparse_operation_T3_S4_NS_24const_host_device_scalarIT4_EEPKT2_PKS4_PKS6_PS6_lPiSC_PS4_21rocsparse_index_base_20rocsparse_fill_mode_20rocsparse_diag_type_b.has_dyn_sized_stack, 0
	.set _ZN9rocsparseL5csrsmILj128ELj64ELb1Eli21rocsparse_complex_numIfEEEv20rocsparse_operation_T3_S4_NS_24const_host_device_scalarIT4_EEPKT2_PKS4_PKS6_PS6_lPiSC_PS4_21rocsparse_index_base_20rocsparse_fill_mode_20rocsparse_diag_type_b.has_recursion, 0
	.set _ZN9rocsparseL5csrsmILj128ELj64ELb1Eli21rocsparse_complex_numIfEEEv20rocsparse_operation_T3_S4_NS_24const_host_device_scalarIT4_EEPKT2_PKS4_PKS6_PS6_lPiSC_PS4_21rocsparse_index_base_20rocsparse_fill_mode_20rocsparse_diag_type_b.has_indirect_call, 0
	.section	.AMDGPU.csdata,"",@progbits
; Kernel info:
; codeLenInByte = 2244
; TotalNumSgprs: 31
; NumVgprs: 26
; ScratchSize: 0
; MemoryBound: 0
; FloatMode: 240
; IeeeMode: 1
; LDSByteSize: 1536 bytes/workgroup (compile time only)
; SGPRBlocks: 0
; VGPRBlocks: 1
; NumSGPRsForWavesPerEU: 31
; NumVGPRsForWavesPerEU: 26
; NamedBarCnt: 0
; Occupancy: 16
; WaveLimiterHint : 1
; COMPUTE_PGM_RSRC2:SCRATCH_EN: 0
; COMPUTE_PGM_RSRC2:USER_SGPR: 2
; COMPUTE_PGM_RSRC2:TRAP_HANDLER: 0
; COMPUTE_PGM_RSRC2:TGID_X_EN: 1
; COMPUTE_PGM_RSRC2:TGID_Y_EN: 0
; COMPUTE_PGM_RSRC2:TGID_Z_EN: 0
; COMPUTE_PGM_RSRC2:TIDIG_COMP_CNT: 0
	.section	.text._ZN9rocsparseL5csrsmILj128ELj64ELb0Eli21rocsparse_complex_numIfEEEv20rocsparse_operation_T3_S4_NS_24const_host_device_scalarIT4_EEPKT2_PKS4_PKS6_PS6_lPiSC_PS4_21rocsparse_index_base_20rocsparse_fill_mode_20rocsparse_diag_type_b,"axG",@progbits,_ZN9rocsparseL5csrsmILj128ELj64ELb0Eli21rocsparse_complex_numIfEEEv20rocsparse_operation_T3_S4_NS_24const_host_device_scalarIT4_EEPKT2_PKS4_PKS6_PS6_lPiSC_PS4_21rocsparse_index_base_20rocsparse_fill_mode_20rocsparse_diag_type_b,comdat
	.globl	_ZN9rocsparseL5csrsmILj128ELj64ELb0Eli21rocsparse_complex_numIfEEEv20rocsparse_operation_T3_S4_NS_24const_host_device_scalarIT4_EEPKT2_PKS4_PKS6_PS6_lPiSC_PS4_21rocsparse_index_base_20rocsparse_fill_mode_20rocsparse_diag_type_b ; -- Begin function _ZN9rocsparseL5csrsmILj128ELj64ELb0Eli21rocsparse_complex_numIfEEEv20rocsparse_operation_T3_S4_NS_24const_host_device_scalarIT4_EEPKT2_PKS4_PKS6_PS6_lPiSC_PS4_21rocsparse_index_base_20rocsparse_fill_mode_20rocsparse_diag_type_b
	.p2align	8
	.type	_ZN9rocsparseL5csrsmILj128ELj64ELb0Eli21rocsparse_complex_numIfEEEv20rocsparse_operation_T3_S4_NS_24const_host_device_scalarIT4_EEPKT2_PKS4_PKS6_PS6_lPiSC_PS4_21rocsparse_index_base_20rocsparse_fill_mode_20rocsparse_diag_type_b,@function
_ZN9rocsparseL5csrsmILj128ELj64ELb0Eli21rocsparse_complex_numIfEEEv20rocsparse_operation_T3_S4_NS_24const_host_device_scalarIT4_EEPKT2_PKS4_PKS6_PS6_lPiSC_PS4_21rocsparse_index_base_20rocsparse_fill_mode_20rocsparse_diag_type_b: ; @_ZN9rocsparseL5csrsmILj128ELj64ELb0Eli21rocsparse_complex_numIfEEEv20rocsparse_operation_T3_S4_NS_24const_host_device_scalarIT4_EEPKT2_PKS4_PKS6_PS6_lPiSC_PS4_21rocsparse_index_base_20rocsparse_fill_mode_20rocsparse_diag_type_b
; %bb.0:
	s_clause 0x1
	s_load_b128 s[4:7], s[0:1], 0x58
	s_load_b64 s[2:3], s[0:1], 0x10
	s_wait_kmcnt 0x0
	s_bitcmp1_b32 s7, 0
	s_mov_b32 s19, s2
	s_cselect_b32 s8, -1, 0
	s_delay_alu instid0(SALU_CYCLE_1)
	s_xor_b32 s7, s8, -1
	s_and_b32 vcc_lo, exec_lo, s8
	s_cbranch_vccnz .LBB67_2
; %bb.1:
	s_load_b32 s19, s[2:3], 0x0
.LBB67_2:
	s_clause 0x1
	s_load_b64 s[12:13], s[0:1], 0x18
	s_load_b64 s[8:9], s[0:1], 0x48
	s_and_not1_b32 vcc_lo, exec_lo, s7
	s_cbranch_vccnz .LBB67_4
; %bb.3:
	s_wait_xcnt 0x0
	s_load_b32 s3, s[2:3], 0x4
.LBB67_4:
	s_nop 0
	s_load_b96 s[16:18], s[0:1], 0x0
	s_bfe_u32 s10, ttmp6, 0x4000c
	s_and_b32 s7, ttmp6, 15
	s_add_co_i32 s10, s10, 1
	s_getreg_b32 s14, hwreg(HW_REG_IB_STS2, 6, 4)
	s_mul_i32 s10, ttmp9, s10
	s_delay_alu instid0(SALU_CYCLE_1) | instskip(SKIP_3) | instid1(SALU_CYCLE_2)
	s_add_co_i32 s7, s7, s10
	s_wait_kmcnt 0x0
	s_cvt_f32_u32 s2, s17
	s_sub_co_i32 s11, 0, s17
	v_rcp_iflag_f32_e32 v1, s2
	v_nop
	s_delay_alu instid0(TRANS32_DEP_1) | instskip(SKIP_1) | instid1(SALU_CYCLE_3)
	v_readfirstlane_b32 s2, v1
	s_mul_f32 s2, s2, 0x4f7ffffe
	s_cvt_u32_f32 s2, s2
	s_delay_alu instid0(SALU_CYCLE_3) | instskip(NEXT) | instid1(SALU_CYCLE_1)
	s_mul_i32 s11, s11, s2
	s_mul_hi_u32 s11, s2, s11
	s_delay_alu instid0(SALU_CYCLE_1) | instskip(SKIP_2) | instid1(SALU_CYCLE_1)
	s_add_co_i32 s2, s2, s11
	s_cmp_eq_u32 s14, 0
	s_cselect_b32 s10, ttmp9, s7
	s_mul_hi_u32 s2, s10, s2
	s_delay_alu instid0(SALU_CYCLE_1) | instskip(SKIP_2) | instid1(SALU_CYCLE_1)
	s_mul_i32 s7, s2, s17
	s_add_co_i32 s11, s2, 1
	s_sub_co_i32 s7, s10, s7
	s_sub_co_i32 s14, s7, s17
	s_cmp_ge_u32 s7, s17
	s_cselect_b32 s2, s11, s2
	s_cselect_b32 s7, s14, s7
	s_add_co_i32 s11, s2, 1
	s_cmp_ge_u32 s7, s17
	s_cselect_b32 s2, s11, s2
	s_delay_alu instid0(SALU_CYCLE_1) | instskip(SKIP_2) | instid1(SALU_CYCLE_1)
	s_mul_i32 s7, s2, s17
	v_lshl_or_b32 v2, s2, 7, v0
	s_sub_co_i32 s10, s10, s7
	s_ashr_i32 s11, s10, 31
	s_delay_alu instid0(VALU_DEP_1)
	v_ashrrev_i32_e32 v3, 31, v2
	s_lshl_b64 s[10:11], s[10:11], 2
	v_cmp_gt_i32_e64 s2, s18, v2
	s_add_nc_u64 s[14:15], s[8:9], s[10:11]
	s_load_b32 s20, s[14:15], 0x0
	s_load_b128 s[8:11], s[0:1], 0x30
	s_wait_kmcnt 0x0
	s_ashr_i32 s21, s20, 31
	s_delay_alu instid0(SALU_CYCLE_1)
	s_lshl_b64 s[14:15], s[20:21], 3
	s_cmp_lg_u32 s16, 0x71
	s_add_nc_u64 s[22:23], s[12:13], s[14:15]
	s_load_b128 s[12:15], s[22:23], 0x0
	s_wait_xcnt 0x0
	s_mul_u64 s[22:23], s[10:11], s[20:21]
	s_delay_alu instid0(SALU_CYCLE_1)
	v_add_nc_u64_e32 v[6:7], s[22:23], v[2:3]
	s_cbranch_scc0 .LBB67_8
; %bb.5:
	v_mov_b64_e32 v[4:5], 0
	s_and_saveexec_b32 s16, s2
	s_cbranch_execz .LBB67_7
; %bb.6:
	s_delay_alu instid0(VALU_DEP_2) | instskip(SKIP_1) | instid1(SALU_CYCLE_1)
	v_lshl_add_u64 v[4:5], v[6:7], 3, s[8:9]
	s_xor_b32 s17, s3, 0x80000000
	v_dual_mov_b32 v9, s19 :: v_dual_mov_b32 v11, s17
	v_dual_mov_b32 v10, s19 :: v_dual_mov_b32 v8, s3
	global_load_b64 v[4:5], v[4:5], off
	s_wait_loadcnt 0x0
	v_pk_mul_f32 v[10:11], v[4:5], v[10:11] op_sel:[1,0]
	s_delay_alu instid0(VALU_DEP_1)
	v_pk_fma_f32 v[4:5], v[8:9], v[4:5], v[10:11] op_sel_hi:[1,0,1]
.LBB67_7:
	s_or_b32 exec_lo, exec_lo, s16
	s_load_b64 s[16:17], s[0:1], 0x40
	s_cbranch_execz .LBB67_9
	s_branch .LBB67_12
.LBB67_8:
                                        ; implicit-def: $vgpr4_vgpr5
	s_load_b64 s[16:17], s[0:1], 0x40
.LBB67_9:
	v_mov_b64_e32 v[4:5], 0
	s_and_saveexec_b32 s21, s2
	s_cbranch_execz .LBB67_11
; %bb.10:
	s_delay_alu instid0(VALU_DEP_2) | instskip(SKIP_1) | instid1(SALU_CYCLE_1)
	v_lshl_add_u64 v[4:5], v[6:7], 3, s[8:9]
	s_mov_b32 s18, s3
	v_mov_b64_e32 v[6:7], s[18:19]
	global_load_b64 v[4:5], v[4:5], off
	s_wait_loadcnt 0x0
	v_pk_mul_f32 v[8:9], v[4:5], v[6:7] op_sel:[1,0] neg_hi:[1,0]
	s_delay_alu instid0(VALU_DEP_1)
	v_pk_fma_f32 v[4:5], v[6:7], v[4:5], v[8:9] op_sel:[0,0,1] op_sel_hi:[1,0,0]
.LBB67_11:
	s_or_b32 exec_lo, exec_lo, s21
.LBB67_12:
	s_wait_kmcnt 0x0
	v_cmp_ge_i64_e64 s3, s[12:13], s[14:15]
	s_delay_alu instid0(VALU_DEP_2) | instskip(SKIP_2) | instid1(VALU_DEP_3)
	v_dual_mov_b32 v9, 1.0 :: v_dual_mov_b32 v8, v4
	v_lshl_add_u64 v[2:3], v[2:3], 3, s[8:9]
	v_dual_mov_b32 v15, v5 :: v_dual_mov_b32 v20, 0
	v_mov_b32_e32 v14, v9
	s_and_b32 vcc_lo, exec_lo, s3
	v_cmp_eq_u32_e64 s3, 0, v0
	s_cbranch_vccnz .LBB67_53
; %bb.13:
	s_clause 0x1
	s_load_b128 s[24:27], s[0:1], 0x20
	s_load_b64 s[8:9], s[0:1], 0x50
	v_dual_mov_b32 v4, 0 :: v_dual_lshlrev_b32 v10, 2, v0
	v_lshlrev_b32_e32 v6, 3, v0
	s_mov_b32 s19, 0
	s_mov_b32 s18, s4
	s_delay_alu instid0(VALU_DEP_2)
	v_dual_mov_b32 v11, v4 :: v_dual_mov_b32 v7, v4
	v_mov_b32_e32 v1, v4
	v_or_b32_e32 v21, 0x400, v10
	s_cmp_eq_u32 s6, 0
	s_wait_xcnt 0x0
	s_sub_nc_u64 s[0:1], s[12:13], s[18:19]
	s_cselect_b32 s21, -1, 0
	s_sub_nc_u64 s[12:13], s[14:15], s[18:19]
	s_mov_b64 s[14:15], s[0:1]
	s_wait_kmcnt 0x0
	v_add_nc_u64_e32 v[10:11], s[24:25], v[10:11]
	v_add_nc_u64_e32 v[12:13], s[26:27], v[6:7]
	v_mov_b32_e32 v7, 0
	s_add_co_i32 s26, s20, s4
	s_sub_co_i32 s1, s14, s0
	s_delay_alu instid0(SALU_CYCLE_1) | instskip(NEXT) | instid1(SALU_CYCLE_1)
	s_and_b32 s1, s1, 0x7f
	s_cmp_lg_u32 s1, 0
	s_cbranch_scc1 .LBB67_17
.LBB67_14:
	s_sub_nc_u64 s[18:19], s[12:13], s[14:15]
	v_dual_mov_b32 v17, 0 :: v_dual_mov_b32 v16, -1.0
	v_cmp_gt_i64_e32 vcc_lo, s[18:19], v[0:1]
	v_mov_b32_e32 v5, -1
	s_and_saveexec_b32 s18, vcc_lo
	s_cbranch_execz .LBB67_16
; %bb.15:
	v_lshl_add_u64 v[16:17], s[14:15], 2, v[10:11]
	global_load_b32 v5, v[16:17], off
	s_wait_xcnt 0x0
	v_lshl_add_u64 v[16:17], s[14:15], 3, v[12:13]
	global_load_b64 v[16:17], v[16:17], off
	s_wait_loadcnt 0x1
	v_subrev_nc_u32_e32 v5, s4, v5
.LBB67_16:
	s_wait_xcnt 0x0
	s_or_b32 exec_lo, exec_lo, s18
	ds_store_b32 v21, v5
	s_wait_loadcnt 0x0
	ds_store_b64 v6, v[16:17]
.LBB67_17:                              ; =>This Loop Header: Depth=1
                                        ;     Child Loop BB67_43 Depth 2
	s_lshl_b32 s18, s1, 3
	s_wait_dscnt 0x0
	v_mov_b32_e32 v5, s18
	s_barrier_signal -1
	s_barrier_wait -1
	s_lshl_b32 s1, s1, 2
	ds_load_b64 v[16:17], v5
	v_mov_b32_e32 v5, s1
	ds_load_b32 v5, v5 offset:1024
	s_wait_dscnt 0x1
	v_readfirstlane_b32 s1, v16
	v_readfirstlane_b32 s24, v17
	s_cmp_eq_f32 s1, 0
	s_wait_dscnt 0x0
	v_readfirstlane_b32 s18, v5
	s_cselect_b32 s19, -1, 0
	s_cmp_eq_f32 s24, 0
	s_cselect_b32 s25, -1, 0
	s_delay_alu instid0(SALU_CYCLE_1)
	s_and_b32 s27, s19, s25
	s_cmp_eq_u32 s18, s20
	s_cselect_b32 s25, -1, 0
	s_cmp_lg_u32 s18, s20
	s_cselect_b32 s19, -1, 0
	s_and_b32 s27, s27, s25
	s_delay_alu instid0(SALU_CYCLE_1) | instskip(NEXT) | instid1(SALU_CYCLE_1)
	s_and_b32 s27, s21, s27
	s_and_b32 s28, s3, s27
	s_and_b32 s27, s27, exec_lo
	s_cselect_b32 s24, 0, s24
	s_cselect_b32 s1, 1.0, s1
	s_delay_alu instid0(SALU_CYCLE_1)
	v_dual_mov_b32 v22, s24 :: v_dual_mov_b32 v23, s1
	s_and_saveexec_b32 s1, s28
	s_cbranch_execz .LBB67_21
; %bb.18:                               ;   in Loop: Header=BB67_17 Depth=1
	v_mbcnt_lo_u32_b32 v5, exec_lo, 0
	s_mov_b32 s24, exec_lo
	s_delay_alu instid0(VALU_DEP_1)
	v_cmpx_eq_u32_e32 0, v5
	s_cbranch_execz .LBB67_20
; %bb.19:                               ;   in Loop: Header=BB67_17 Depth=1
	v_mov_b32_e32 v5, s26
	global_atomic_min_i32 v4, v5, s[8:9] scope:SCOPE_DEV
.LBB67_20:                              ;   in Loop: Header=BB67_17 Depth=1
	s_wait_xcnt 0x0
	s_or_b32 exec_lo, exec_lo, s24
	v_dual_mov_b32 v23, 1.0 :: v_dual_mov_b32 v22, 0
.LBB67_21:                              ;   in Loop: Header=BB67_17 Depth=1
	s_or_b32 exec_lo, exec_lo, s1
	s_mov_b32 s27, -1
	s_mov_b32 s1, 0
	s_cmp_lt_i32 s5, 1
	s_mov_b32 s24, 0
                                        ; implicit-def: $vgpr16_vgpr17
                                        ; implicit-def: $vgpr18_vgpr19
                                        ; implicit-def: $vgpr20
	s_cbranch_scc0 .LBB67_28
; %bb.22:                               ;   in Loop: Header=BB67_17 Depth=1
	s_and_b32 vcc_lo, exec_lo, s27
	s_mov_b32 s25, 4
	s_cbranch_vccnz .LBB67_35
.LBB67_23:                              ;   in Loop: Header=BB67_17 Depth=1
	s_and_b32 vcc_lo, exec_lo, s24
	s_cbranch_vccnz .LBB67_40
.LBB67_24:                              ;   in Loop: Header=BB67_17 Depth=1
	s_and_b32 vcc_lo, exec_lo, s1
	s_cbranch_vccnz .LBB67_47
.LBB67_25:                              ;   in Loop: Header=BB67_17 Depth=1
	s_mov_b32 s1, -1
	s_cmp_gt_i32 s25, 3
	s_mov_b32 s18, -1
	s_cbranch_scc0 .LBB67_50
.LBB67_26:                              ;   in Loop: Header=BB67_17 Depth=1
	s_and_not1_b32 vcc_lo, exec_lo, s18
	s_cbranch_vccz .LBB67_51
.LBB67_27:                              ;   in Loop: Header=BB67_17 Depth=1
	s_and_not1_b32 vcc_lo, exec_lo, s1
	s_cbranch_vccnz .LBB67_52
	s_branch .LBB67_54
.LBB67_28:                              ;   in Loop: Header=BB67_17 Depth=1
	s_cmp_eq_u32 s5, 1
	s_mov_b32 s24, -1
                                        ; implicit-def: $vgpr16_vgpr17
                                        ; implicit-def: $vgpr18_vgpr19
                                        ; implicit-def: $vgpr20
	s_cbranch_scc0 .LBB67_34
; %bb.29:                               ;   in Loop: Header=BB67_17 Depth=1
	v_mov_b64_e32 v[16:17], v[14:15]
	v_mov_b64_e32 v[18:19], v[8:9]
	v_mov_b32_e32 v20, v7
	s_cmp_ge_i32 s18, s20
	s_mov_b32 s24, 0
	s_cbranch_scc0 .LBB67_34
; %bb.30:                               ;   in Loop: Header=BB67_17 Depth=1
	s_and_b32 vcc_lo, exec_lo, s25
	s_mov_b32 s24, -1
                                        ; implicit-def: $vgpr16_vgpr17
                                        ; implicit-def: $vgpr18_vgpr19
                                        ; implicit-def: $vgpr20
	s_cbranch_vccz .LBB67_34
; %bb.31:                               ;   in Loop: Header=BB67_17 Depth=1
	v_mov_b64_e32 v[16:17], v[14:15]
	v_mov_b64_e32 v[18:19], v[8:9]
	v_mov_b32_e32 v20, v7
	s_and_not1_b32 vcc_lo, exec_lo, s21
	s_cbranch_vccnz .LBB67_33
; %bb.32:                               ;   in Loop: Header=BB67_17 Depth=1
	v_mul_f32_e32 v5, v22, v22
	s_delay_alu instid0(VALU_DEP_1) | instskip(NEXT) | instid1(VALU_DEP_1)
	v_fmac_f32_e32 v5, v23, v23
	v_div_scale_f32 v16, null, v5, v5, 1.0
	v_div_scale_f32 v19, vcc_lo, 1.0, v5, 1.0
	s_delay_alu instid0(VALU_DEP_2) | instskip(SKIP_1) | instid1(TRANS32_DEP_1)
	v_rcp_f32_e32 v17, v16
	v_nop
	v_fma_f32 v18, -v16, v17, 1.0
	s_delay_alu instid0(VALU_DEP_1) | instskip(NEXT) | instid1(VALU_DEP_1)
	v_fmac_f32_e32 v17, v18, v17
	v_mul_f32_e32 v18, v19, v17
	s_delay_alu instid0(VALU_DEP_1) | instskip(NEXT) | instid1(VALU_DEP_1)
	v_fma_f32 v20, -v16, v18, v19
	v_fmac_f32_e32 v18, v20, v17
	s_delay_alu instid0(VALU_DEP_1) | instskip(NEXT) | instid1(VALU_DEP_1)
	v_fma_f32 v16, -v16, v18, v19
	v_div_fmas_f32 v16, v16, v17, v18
	v_dual_fma_f32 v17, 0, v22, v23 :: v_dual_mov_b32 v18, v8
	s_delay_alu instid0(VALU_DEP_2) | instskip(SKIP_1) | instid1(VALU_DEP_1)
	v_div_fixup_f32 v5, v16, v5, 1.0
	v_fma_f32 v16, v23, 0, -v22
	v_dual_mul_f32 v19, v17, v5 :: v_dual_mul_f32 v20, v16, v5
	s_delay_alu instid0(VALU_DEP_1)
	v_dual_mov_b32 v17, v15 :: v_dual_mov_b32 v16, v19
.LBB67_33:                              ;   in Loop: Header=BB67_17 Depth=1
	s_mov_b32 s24, 0
.LBB67_34:                              ;   in Loop: Header=BB67_17 Depth=1
	s_mov_b32 s25, 4
	s_branch .LBB67_23
.LBB67_35:                              ;   in Loop: Header=BB67_17 Depth=1
	s_cmp_eq_u32 s5, 0
	s_cbranch_scc1 .LBB67_37
; %bb.36:                               ;   in Loop: Header=BB67_17 Depth=1
	s_mov_b32 s24, -1
	s_branch .LBB67_39
.LBB67_37:                              ;   in Loop: Header=BB67_17 Depth=1
	s_cmp_le_i32 s18, s20
	s_mov_b32 s24, 0
	s_cbranch_scc0 .LBB67_39
; %bb.38:                               ;   in Loop: Header=BB67_17 Depth=1
	s_mov_b32 s1, -1
	s_mov_b32 s24, s19
.LBB67_39:                              ;   in Loop: Header=BB67_17 Depth=1
	v_mov_b64_e32 v[16:17], v[14:15]
	v_mov_b64_e32 v[18:19], v[8:9]
	v_mov_b32_e32 v20, v7
	s_mov_b32 s25, 2
	s_and_b32 vcc_lo, exec_lo, s24
	s_cbranch_vccz .LBB67_24
.LBB67_40:                              ;   in Loop: Header=BB67_17 Depth=1
	s_and_saveexec_b32 s1, s3
	s_cbranch_execz .LBB67_44
; %bb.41:                               ;   in Loop: Header=BB67_17 Depth=1
	s_add_co_i32 s24, s18, s7
	s_delay_alu instid0(SALU_CYCLE_1)
	v_mov_b32_e32 v5, s24
	global_load_b32 v5, v5, s[16:17] scale_offset scope:SCOPE_DEV
	s_wait_loadcnt 0x0
	v_cmp_ne_u32_e32 vcc_lo, 0, v5
	s_cbranch_vccnz .LBB67_44
; %bb.42:                               ;   in Loop: Header=BB67_17 Depth=1
	s_ashr_i32 s25, s24, 31
	s_delay_alu instid0(SALU_CYCLE_1) | instskip(NEXT) | instid1(SALU_CYCLE_1)
	s_lshl_b64 s[24:25], s[24:25], 2
	s_add_nc_u64 s[24:25], s[16:17], s[24:25]
.LBB67_43:                              ;   Parent Loop BB67_17 Depth=1
                                        ; =>  This Inner Loop Header: Depth=2
	global_load_b32 v5, v4, s[24:25] scope:SCOPE_DEV
	s_wait_loadcnt 0x0
	v_cmp_eq_u32_e32 vcc_lo, 0, v5
	s_cbranch_vccnz .LBB67_43
.LBB67_44:                              ;   in Loop: Header=BB67_17 Depth=1
	s_wait_xcnt 0x0
	s_or_b32 exec_lo, exec_lo, s1
	v_dual_mov_b32 v5, v9 :: v_dual_mov_b32 v16, v9
	v_mov_b32_e32 v17, v4
	s_wait_storecnt 0x0
	s_barrier_signal -1
	s_delay_alu instid0(VALU_DEP_2)
	v_mov_b64_e32 v[18:19], v[4:5]
	s_barrier_wait -1
	global_inv scope:SCOPE_DEV
	s_and_saveexec_b32 s1, s2
	s_cbranch_execz .LBB67_46
; %bb.45:                               ;   in Loop: Header=BB67_17 Depth=1
	s_ashr_i32 s19, s18, 31
	s_delay_alu instid0(SALU_CYCLE_1) | instskip(NEXT) | instid1(SALU_CYCLE_1)
	s_mul_u64 s[18:19], s[10:11], s[18:19]
	v_lshl_add_u64 v[16:17], s[18:19], 3, v[2:3]
	global_load_b64 v[24:25], v[16:17], off
	s_wait_loadcnt 0x0
	v_dual_mov_b32 v16, v9 :: v_dual_fma_f32 v17, -v23, v24, v15
	v_dual_fma_f32 v5, -v22, v24, v8 :: v_dual_mov_b32 v19, v9
	s_delay_alu instid0(VALU_DEP_2) | instskip(NEXT) | instid1(VALU_DEP_2)
	v_fmac_f32_e32 v17, v22, v25
	v_fma_f32 v18, -v23, v25, v5
.LBB67_46:                              ;   in Loop: Header=BB67_17 Depth=1
	s_or_b32 exec_lo, exec_lo, s1
	v_mov_b32_e32 v20, v7
	s_mov_b32 s25, 0
	s_branch .LBB67_25
.LBB67_47:                              ;   in Loop: Header=BB67_17 Depth=1
	s_and_not1_b32 vcc_lo, exec_lo, s21
	s_cbranch_vccnz .LBB67_49
; %bb.48:                               ;   in Loop: Header=BB67_17 Depth=1
	v_mul_f32_e32 v5, v22, v22
	s_delay_alu instid0(VALU_DEP_1) | instskip(NEXT) | instid1(VALU_DEP_1)
	v_fmac_f32_e32 v5, v23, v23
	v_div_scale_f32 v7, null, v5, v5, 1.0
	v_div_scale_f32 v16, vcc_lo, 1.0, v5, 1.0
	s_delay_alu instid0(VALU_DEP_2) | instskip(SKIP_1) | instid1(TRANS32_DEP_1)
	v_rcp_f32_e32 v9, v7
	v_nop
	v_fma_f32 v14, -v7, v9, 1.0
	s_delay_alu instid0(VALU_DEP_1) | instskip(NEXT) | instid1(VALU_DEP_1)
	v_fmac_f32_e32 v9, v14, v9
	v_mul_f32_e32 v14, v16, v9
	s_delay_alu instid0(VALU_DEP_1) | instskip(NEXT) | instid1(VALU_DEP_1)
	v_fma_f32 v17, -v7, v14, v16
	v_fmac_f32_e32 v14, v17, v9
	s_delay_alu instid0(VALU_DEP_1) | instskip(NEXT) | instid1(VALU_DEP_1)
	v_fma_f32 v7, -v7, v14, v16
	v_div_fmas_f32 v7, v7, v9, v14
	v_fma_f32 v14, v23, 0, -v22
	s_delay_alu instid0(VALU_DEP_2) | instskip(SKIP_1) | instid1(VALU_DEP_1)
	v_div_fixup_f32 v5, v7, v5, 1.0
	v_fma_f32 v7, 0, v22, v23
	v_dual_mul_f32 v9, v7, v5 :: v_dual_mul_f32 v7, v14, v5
	s_delay_alu instid0(VALU_DEP_1)
	v_mov_b32_e32 v14, v9
.LBB67_49:                              ;   in Loop: Header=BB67_17 Depth=1
	v_mov_b64_e32 v[18:19], v[8:9]
	s_delay_alu instid0(VALU_DEP_2) | instskip(NEXT) | instid1(VALU_DEP_4)
	v_mov_b64_e32 v[16:17], v[14:15]
	v_mov_b32_e32 v20, v7
	s_mov_b32 s25, 2
	s_mov_b32 s1, -1
	s_cmp_gt_i32 s25, 3
	s_mov_b32 s18, -1
	s_cbranch_scc1 .LBB67_26
.LBB67_50:                              ;   in Loop: Header=BB67_17 Depth=1
	s_cmp_eq_u32 s25, 0
	s_cselect_b32 s18, -1, 0
	s_delay_alu instid0(SALU_CYCLE_1)
	s_and_not1_b32 vcc_lo, exec_lo, s18
	s_cbranch_vccnz .LBB67_27
.LBB67_51:                              ;   in Loop: Header=BB67_17 Depth=1
	s_add_nc_u64 s[14:15], s[14:15], 1
	s_delay_alu instid0(SALU_CYCLE_1)
	v_cmp_ge_i64_e64 s1, s[14:15], s[12:13]
	s_and_not1_b32 vcc_lo, exec_lo, s1
	s_cbranch_vccz .LBB67_54
.LBB67_52:                              ;   in Loop: Header=BB67_17 Depth=1
	v_mov_b32_e32 v7, v20
	v_mov_b64_e32 v[8:9], v[18:19]
	v_mov_b64_e32 v[14:15], v[16:17]
	s_sub_co_i32 s1, s14, s0
	s_delay_alu instid0(SALU_CYCLE_1) | instskip(NEXT) | instid1(SALU_CYCLE_1)
	s_and_b32 s1, s1, 0x7f
	s_cmp_lg_u32 s1, 0
	s_cbranch_scc1 .LBB67_17
	s_branch .LBB67_14
.LBB67_53:
	v_mov_b64_e32 v[16:17], v[14:15]
	v_mov_b64_e32 v[18:19], v[8:9]
	s_and_saveexec_b32 s0, s2
	s_cbranch_execnz .LBB67_55
	s_branch .LBB67_56
.LBB67_54:
	v_dual_mov_b32 v4, v18 :: v_dual_mov_b32 v5, v17
	s_and_saveexec_b32 s0, s2
	s_cbranch_execz .LBB67_56
.LBB67_55:
	s_delay_alu instid0(VALU_DEP_1) | instskip(NEXT) | instid1(VALU_DEP_3)
	v_xor_b32_e32 v7, 0x80000000, v18
	v_mov_b32_e32 v6, v17
	s_cmp_eq_u32 s6, 0
	v_lshl_add_u64 v[2:3], s[22:23], 3, v[2:3]
	s_cselect_b32 vcc_lo, -1, 0
	s_delay_alu instid0(VALU_DEP_2) | instskip(NEXT) | instid1(VALU_DEP_1)
	v_pk_mul_f32 v[6:7], v[20:21], v[6:7] op_sel_hi:[0,1]
	v_pk_fma_f32 v[6:7], v[18:19], v[16:17], v[6:7]
	s_delay_alu instid0(VALU_DEP_1)
	v_dual_cndmask_b32 v9, v4, v6 :: v_dual_cndmask_b32 v8, v5, v7
	global_store_b64 v[2:3], v[8:9], off
.LBB67_56:
	s_wait_xcnt 0x0
	s_or_b32 exec_lo, exec_lo, s0
	global_wb scope:SCOPE_DEV
	s_wait_loadcnt 0x0
	s_wait_storecnt 0x0
	global_inv scope:SCOPE_DEV
	s_wait_loadcnt 0x0
	s_barrier_signal -1
	s_barrier_wait -1
	s_mov_b32 s0, exec_lo
	v_cmpx_eq_u32_e32 0, v0
	s_cbranch_execz .LBB67_58
; %bb.57:
	s_add_co_i32 s0, s20, s7
	s_delay_alu instid0(SALU_CYCLE_1)
	v_dual_mov_b32 v0, 1 :: v_dual_mov_b32 v1, s0
	global_store_b32 v1, v0, s[16:17] scale_offset scope:SCOPE_DEV
.LBB67_58:
	s_endpgm
	.section	.rodata,"a",@progbits
	.p2align	6, 0x0
	.amdhsa_kernel _ZN9rocsparseL5csrsmILj128ELj64ELb0Eli21rocsparse_complex_numIfEEEv20rocsparse_operation_T3_S4_NS_24const_host_device_scalarIT4_EEPKT2_PKS4_PKS6_PS6_lPiSC_PS4_21rocsparse_index_base_20rocsparse_fill_mode_20rocsparse_diag_type_b
		.amdhsa_group_segment_fixed_size 1536
		.amdhsa_private_segment_fixed_size 0
		.amdhsa_kernarg_size 104
		.amdhsa_user_sgpr_count 2
		.amdhsa_user_sgpr_dispatch_ptr 0
		.amdhsa_user_sgpr_queue_ptr 0
		.amdhsa_user_sgpr_kernarg_segment_ptr 1
		.amdhsa_user_sgpr_dispatch_id 0
		.amdhsa_user_sgpr_kernarg_preload_length 0
		.amdhsa_user_sgpr_kernarg_preload_offset 0
		.amdhsa_user_sgpr_private_segment_size 0
		.amdhsa_wavefront_size32 1
		.amdhsa_uses_dynamic_stack 0
		.amdhsa_enable_private_segment 0
		.amdhsa_system_sgpr_workgroup_id_x 1
		.amdhsa_system_sgpr_workgroup_id_y 0
		.amdhsa_system_sgpr_workgroup_id_z 0
		.amdhsa_system_sgpr_workgroup_info 0
		.amdhsa_system_vgpr_workitem_id 0
		.amdhsa_next_free_vgpr 26
		.amdhsa_next_free_sgpr 29
		.amdhsa_named_barrier_count 0
		.amdhsa_reserve_vcc 1
		.amdhsa_float_round_mode_32 0
		.amdhsa_float_round_mode_16_64 0
		.amdhsa_float_denorm_mode_32 3
		.amdhsa_float_denorm_mode_16_64 3
		.amdhsa_fp16_overflow 0
		.amdhsa_memory_ordered 1
		.amdhsa_forward_progress 1
		.amdhsa_inst_pref_size 18
		.amdhsa_round_robin_scheduling 0
		.amdhsa_exception_fp_ieee_invalid_op 0
		.amdhsa_exception_fp_denorm_src 0
		.amdhsa_exception_fp_ieee_div_zero 0
		.amdhsa_exception_fp_ieee_overflow 0
		.amdhsa_exception_fp_ieee_underflow 0
		.amdhsa_exception_fp_ieee_inexact 0
		.amdhsa_exception_int_div_zero 0
	.end_amdhsa_kernel
	.section	.text._ZN9rocsparseL5csrsmILj128ELj64ELb0Eli21rocsparse_complex_numIfEEEv20rocsparse_operation_T3_S4_NS_24const_host_device_scalarIT4_EEPKT2_PKS4_PKS6_PS6_lPiSC_PS4_21rocsparse_index_base_20rocsparse_fill_mode_20rocsparse_diag_type_b,"axG",@progbits,_ZN9rocsparseL5csrsmILj128ELj64ELb0Eli21rocsparse_complex_numIfEEEv20rocsparse_operation_T3_S4_NS_24const_host_device_scalarIT4_EEPKT2_PKS4_PKS6_PS6_lPiSC_PS4_21rocsparse_index_base_20rocsparse_fill_mode_20rocsparse_diag_type_b,comdat
.Lfunc_end67:
	.size	_ZN9rocsparseL5csrsmILj128ELj64ELb0Eli21rocsparse_complex_numIfEEEv20rocsparse_operation_T3_S4_NS_24const_host_device_scalarIT4_EEPKT2_PKS4_PKS6_PS6_lPiSC_PS4_21rocsparse_index_base_20rocsparse_fill_mode_20rocsparse_diag_type_b, .Lfunc_end67-_ZN9rocsparseL5csrsmILj128ELj64ELb0Eli21rocsparse_complex_numIfEEEv20rocsparse_operation_T3_S4_NS_24const_host_device_scalarIT4_EEPKT2_PKS4_PKS6_PS6_lPiSC_PS4_21rocsparse_index_base_20rocsparse_fill_mode_20rocsparse_diag_type_b
                                        ; -- End function
	.set _ZN9rocsparseL5csrsmILj128ELj64ELb0Eli21rocsparse_complex_numIfEEEv20rocsparse_operation_T3_S4_NS_24const_host_device_scalarIT4_EEPKT2_PKS4_PKS6_PS6_lPiSC_PS4_21rocsparse_index_base_20rocsparse_fill_mode_20rocsparse_diag_type_b.num_vgpr, 26
	.set _ZN9rocsparseL5csrsmILj128ELj64ELb0Eli21rocsparse_complex_numIfEEEv20rocsparse_operation_T3_S4_NS_24const_host_device_scalarIT4_EEPKT2_PKS4_PKS6_PS6_lPiSC_PS4_21rocsparse_index_base_20rocsparse_fill_mode_20rocsparse_diag_type_b.num_agpr, 0
	.set _ZN9rocsparseL5csrsmILj128ELj64ELb0Eli21rocsparse_complex_numIfEEEv20rocsparse_operation_T3_S4_NS_24const_host_device_scalarIT4_EEPKT2_PKS4_PKS6_PS6_lPiSC_PS4_21rocsparse_index_base_20rocsparse_fill_mode_20rocsparse_diag_type_b.numbered_sgpr, 29
	.set _ZN9rocsparseL5csrsmILj128ELj64ELb0Eli21rocsparse_complex_numIfEEEv20rocsparse_operation_T3_S4_NS_24const_host_device_scalarIT4_EEPKT2_PKS4_PKS6_PS6_lPiSC_PS4_21rocsparse_index_base_20rocsparse_fill_mode_20rocsparse_diag_type_b.num_named_barrier, 0
	.set _ZN9rocsparseL5csrsmILj128ELj64ELb0Eli21rocsparse_complex_numIfEEEv20rocsparse_operation_T3_S4_NS_24const_host_device_scalarIT4_EEPKT2_PKS4_PKS6_PS6_lPiSC_PS4_21rocsparse_index_base_20rocsparse_fill_mode_20rocsparse_diag_type_b.private_seg_size, 0
	.set _ZN9rocsparseL5csrsmILj128ELj64ELb0Eli21rocsparse_complex_numIfEEEv20rocsparse_operation_T3_S4_NS_24const_host_device_scalarIT4_EEPKT2_PKS4_PKS6_PS6_lPiSC_PS4_21rocsparse_index_base_20rocsparse_fill_mode_20rocsparse_diag_type_b.uses_vcc, 1
	.set _ZN9rocsparseL5csrsmILj128ELj64ELb0Eli21rocsparse_complex_numIfEEEv20rocsparse_operation_T3_S4_NS_24const_host_device_scalarIT4_EEPKT2_PKS4_PKS6_PS6_lPiSC_PS4_21rocsparse_index_base_20rocsparse_fill_mode_20rocsparse_diag_type_b.uses_flat_scratch, 0
	.set _ZN9rocsparseL5csrsmILj128ELj64ELb0Eli21rocsparse_complex_numIfEEEv20rocsparse_operation_T3_S4_NS_24const_host_device_scalarIT4_EEPKT2_PKS4_PKS6_PS6_lPiSC_PS4_21rocsparse_index_base_20rocsparse_fill_mode_20rocsparse_diag_type_b.has_dyn_sized_stack, 0
	.set _ZN9rocsparseL5csrsmILj128ELj64ELb0Eli21rocsparse_complex_numIfEEEv20rocsparse_operation_T3_S4_NS_24const_host_device_scalarIT4_EEPKT2_PKS4_PKS6_PS6_lPiSC_PS4_21rocsparse_index_base_20rocsparse_fill_mode_20rocsparse_diag_type_b.has_recursion, 0
	.set _ZN9rocsparseL5csrsmILj128ELj64ELb0Eli21rocsparse_complex_numIfEEEv20rocsparse_operation_T3_S4_NS_24const_host_device_scalarIT4_EEPKT2_PKS4_PKS6_PS6_lPiSC_PS4_21rocsparse_index_base_20rocsparse_fill_mode_20rocsparse_diag_type_b.has_indirect_call, 0
	.section	.AMDGPU.csdata,"",@progbits
; Kernel info:
; codeLenInByte = 2180
; TotalNumSgprs: 31
; NumVgprs: 26
; ScratchSize: 0
; MemoryBound: 0
; FloatMode: 240
; IeeeMode: 1
; LDSByteSize: 1536 bytes/workgroup (compile time only)
; SGPRBlocks: 0
; VGPRBlocks: 1
; NumSGPRsForWavesPerEU: 31
; NumVGPRsForWavesPerEU: 26
; NamedBarCnt: 0
; Occupancy: 16
; WaveLimiterHint : 1
; COMPUTE_PGM_RSRC2:SCRATCH_EN: 0
; COMPUTE_PGM_RSRC2:USER_SGPR: 2
; COMPUTE_PGM_RSRC2:TRAP_HANDLER: 0
; COMPUTE_PGM_RSRC2:TGID_X_EN: 1
; COMPUTE_PGM_RSRC2:TGID_Y_EN: 0
; COMPUTE_PGM_RSRC2:TGID_Z_EN: 0
; COMPUTE_PGM_RSRC2:TIDIG_COMP_CNT: 0
	.section	.text._ZN9rocsparseL5csrsmILj256ELj64ELb1Eli21rocsparse_complex_numIfEEEv20rocsparse_operation_T3_S4_NS_24const_host_device_scalarIT4_EEPKT2_PKS4_PKS6_PS6_lPiSC_PS4_21rocsparse_index_base_20rocsparse_fill_mode_20rocsparse_diag_type_b,"axG",@progbits,_ZN9rocsparseL5csrsmILj256ELj64ELb1Eli21rocsparse_complex_numIfEEEv20rocsparse_operation_T3_S4_NS_24const_host_device_scalarIT4_EEPKT2_PKS4_PKS6_PS6_lPiSC_PS4_21rocsparse_index_base_20rocsparse_fill_mode_20rocsparse_diag_type_b,comdat
	.globl	_ZN9rocsparseL5csrsmILj256ELj64ELb1Eli21rocsparse_complex_numIfEEEv20rocsparse_operation_T3_S4_NS_24const_host_device_scalarIT4_EEPKT2_PKS4_PKS6_PS6_lPiSC_PS4_21rocsparse_index_base_20rocsparse_fill_mode_20rocsparse_diag_type_b ; -- Begin function _ZN9rocsparseL5csrsmILj256ELj64ELb1Eli21rocsparse_complex_numIfEEEv20rocsparse_operation_T3_S4_NS_24const_host_device_scalarIT4_EEPKT2_PKS4_PKS6_PS6_lPiSC_PS4_21rocsparse_index_base_20rocsparse_fill_mode_20rocsparse_diag_type_b
	.p2align	8
	.type	_ZN9rocsparseL5csrsmILj256ELj64ELb1Eli21rocsparse_complex_numIfEEEv20rocsparse_operation_T3_S4_NS_24const_host_device_scalarIT4_EEPKT2_PKS4_PKS6_PS6_lPiSC_PS4_21rocsparse_index_base_20rocsparse_fill_mode_20rocsparse_diag_type_b,@function
_ZN9rocsparseL5csrsmILj256ELj64ELb1Eli21rocsparse_complex_numIfEEEv20rocsparse_operation_T3_S4_NS_24const_host_device_scalarIT4_EEPKT2_PKS4_PKS6_PS6_lPiSC_PS4_21rocsparse_index_base_20rocsparse_fill_mode_20rocsparse_diag_type_b: ; @_ZN9rocsparseL5csrsmILj256ELj64ELb1Eli21rocsparse_complex_numIfEEEv20rocsparse_operation_T3_S4_NS_24const_host_device_scalarIT4_EEPKT2_PKS4_PKS6_PS6_lPiSC_PS4_21rocsparse_index_base_20rocsparse_fill_mode_20rocsparse_diag_type_b
; %bb.0:
	s_clause 0x1
	s_load_b128 s[4:7], s[0:1], 0x58
	s_load_b64 s[2:3], s[0:1], 0x10
	s_wait_kmcnt 0x0
	s_bitcmp1_b32 s7, 0
	s_mov_b32 s19, s2
	s_cselect_b32 s8, -1, 0
	s_delay_alu instid0(SALU_CYCLE_1)
	s_xor_b32 s7, s8, -1
	s_and_b32 vcc_lo, exec_lo, s8
	s_cbranch_vccnz .LBB68_2
; %bb.1:
	s_load_b32 s19, s[2:3], 0x0
.LBB68_2:
	s_clause 0x1
	s_load_b64 s[12:13], s[0:1], 0x18
	s_load_b64 s[8:9], s[0:1], 0x48
	s_and_not1_b32 vcc_lo, exec_lo, s7
	s_cbranch_vccnz .LBB68_4
; %bb.3:
	s_wait_xcnt 0x0
	s_load_b32 s3, s[2:3], 0x4
.LBB68_4:
	s_nop 0
	s_load_b96 s[16:18], s[0:1], 0x0
	s_bfe_u32 s10, ttmp6, 0x4000c
	s_and_b32 s7, ttmp6, 15
	s_add_co_i32 s10, s10, 1
	s_getreg_b32 s14, hwreg(HW_REG_IB_STS2, 6, 4)
	s_mul_i32 s10, ttmp9, s10
	s_delay_alu instid0(SALU_CYCLE_1) | instskip(SKIP_3) | instid1(SALU_CYCLE_2)
	s_add_co_i32 s7, s7, s10
	s_wait_kmcnt 0x0
	s_cvt_f32_u32 s2, s17
	s_sub_co_i32 s11, 0, s17
	v_rcp_iflag_f32_e32 v1, s2
	v_nop
	s_delay_alu instid0(TRANS32_DEP_1) | instskip(SKIP_1) | instid1(SALU_CYCLE_3)
	v_readfirstlane_b32 s2, v1
	s_mul_f32 s2, s2, 0x4f7ffffe
	s_cvt_u32_f32 s2, s2
	s_delay_alu instid0(SALU_CYCLE_3) | instskip(NEXT) | instid1(SALU_CYCLE_1)
	s_mul_i32 s11, s11, s2
	s_mul_hi_u32 s11, s2, s11
	s_delay_alu instid0(SALU_CYCLE_1) | instskip(SKIP_2) | instid1(SALU_CYCLE_1)
	s_add_co_i32 s2, s2, s11
	s_cmp_eq_u32 s14, 0
	s_cselect_b32 s10, ttmp9, s7
	s_mul_hi_u32 s2, s10, s2
	s_delay_alu instid0(SALU_CYCLE_1) | instskip(SKIP_2) | instid1(SALU_CYCLE_1)
	s_mul_i32 s7, s2, s17
	s_add_co_i32 s11, s2, 1
	s_sub_co_i32 s7, s10, s7
	s_sub_co_i32 s14, s7, s17
	s_cmp_ge_u32 s7, s17
	s_cselect_b32 s2, s11, s2
	s_cselect_b32 s7, s14, s7
	s_add_co_i32 s11, s2, 1
	s_cmp_ge_u32 s7, s17
	s_cselect_b32 s2, s11, s2
	s_delay_alu instid0(SALU_CYCLE_1) | instskip(SKIP_2) | instid1(SALU_CYCLE_1)
	s_mul_i32 s7, s2, s17
	v_lshl_or_b32 v2, s2, 8, v0
	s_sub_co_i32 s10, s10, s7
	s_ashr_i32 s11, s10, 31
	s_delay_alu instid0(VALU_DEP_1)
	v_ashrrev_i32_e32 v3, 31, v2
	s_lshl_b64 s[10:11], s[10:11], 2
	v_cmp_gt_i32_e64 s2, s18, v2
	s_add_nc_u64 s[14:15], s[8:9], s[10:11]
	s_load_b32 s20, s[14:15], 0x0
	s_load_b128 s[8:11], s[0:1], 0x30
	s_wait_kmcnt 0x0
	s_ashr_i32 s21, s20, 31
	s_delay_alu instid0(SALU_CYCLE_1)
	s_lshl_b64 s[14:15], s[20:21], 3
	s_cmp_lg_u32 s16, 0x71
	s_add_nc_u64 s[22:23], s[12:13], s[14:15]
	s_load_b128 s[12:15], s[22:23], 0x0
	s_wait_xcnt 0x0
	s_mul_u64 s[22:23], s[10:11], s[20:21]
	s_delay_alu instid0(SALU_CYCLE_1)
	v_add_nc_u64_e32 v[6:7], s[22:23], v[2:3]
	s_cbranch_scc0 .LBB68_8
; %bb.5:
	v_mov_b64_e32 v[4:5], 0
	s_and_saveexec_b32 s16, s2
	s_cbranch_execz .LBB68_7
; %bb.6:
	s_delay_alu instid0(VALU_DEP_2) | instskip(SKIP_1) | instid1(SALU_CYCLE_1)
	v_lshl_add_u64 v[4:5], v[6:7], 3, s[8:9]
	s_xor_b32 s17, s3, 0x80000000
	v_dual_mov_b32 v9, s19 :: v_dual_mov_b32 v11, s17
	v_dual_mov_b32 v10, s19 :: v_dual_mov_b32 v8, s3
	global_load_b64 v[4:5], v[4:5], off
	s_wait_loadcnt 0x0
	v_pk_mul_f32 v[10:11], v[4:5], v[10:11] op_sel:[1,0]
	s_delay_alu instid0(VALU_DEP_1)
	v_pk_fma_f32 v[4:5], v[8:9], v[4:5], v[10:11] op_sel_hi:[1,0,1]
.LBB68_7:
	s_or_b32 exec_lo, exec_lo, s16
	s_load_b64 s[16:17], s[0:1], 0x40
	s_cbranch_execz .LBB68_9
	s_branch .LBB68_12
.LBB68_8:
                                        ; implicit-def: $vgpr4_vgpr5
	s_load_b64 s[16:17], s[0:1], 0x40
.LBB68_9:
	v_mov_b64_e32 v[4:5], 0
	s_and_saveexec_b32 s21, s2
	s_cbranch_execz .LBB68_11
; %bb.10:
	s_delay_alu instid0(VALU_DEP_2) | instskip(SKIP_1) | instid1(SALU_CYCLE_1)
	v_lshl_add_u64 v[4:5], v[6:7], 3, s[8:9]
	s_mov_b32 s18, s3
	v_mov_b64_e32 v[6:7], s[18:19]
	global_load_b64 v[4:5], v[4:5], off
	s_wait_loadcnt 0x0
	v_pk_mul_f32 v[8:9], v[4:5], v[6:7] op_sel:[1,0] neg_hi:[1,0]
	s_delay_alu instid0(VALU_DEP_1)
	v_pk_fma_f32 v[4:5], v[6:7], v[4:5], v[8:9] op_sel:[0,0,1] op_sel_hi:[1,0,0]
.LBB68_11:
	s_or_b32 exec_lo, exec_lo, s21
.LBB68_12:
	s_wait_kmcnt 0x0
	v_cmp_ge_i64_e64 s3, s[12:13], s[14:15]
	s_delay_alu instid0(VALU_DEP_2) | instskip(SKIP_2) | instid1(VALU_DEP_3)
	v_dual_mov_b32 v9, 1.0 :: v_dual_mov_b32 v8, v4
	v_lshl_add_u64 v[2:3], v[2:3], 3, s[8:9]
	v_dual_mov_b32 v15, v5 :: v_dual_mov_b32 v20, 0
	v_mov_b32_e32 v14, v9
	s_and_b32 vcc_lo, exec_lo, s3
	v_cmp_eq_u32_e64 s3, 0, v0
	s_cbranch_vccnz .LBB68_55
; %bb.13:
	s_clause 0x1
	s_load_b128 s[24:27], s[0:1], 0x20
	s_load_b64 s[8:9], s[0:1], 0x50
	v_dual_mov_b32 v4, 0 :: v_dual_lshlrev_b32 v10, 2, v0
	v_lshlrev_b32_e32 v6, 3, v0
	s_mov_b32 s19, 0
	s_mov_b32 s18, s4
	s_delay_alu instid0(VALU_DEP_2)
	v_dual_mov_b32 v11, v4 :: v_dual_mov_b32 v7, v4
	v_mov_b32_e32 v1, v4
	v_or_b32_e32 v21, 0x800, v10
	s_cmp_eq_u32 s6, 0
	s_wait_xcnt 0x0
	s_sub_nc_u64 s[0:1], s[12:13], s[18:19]
	s_cselect_b32 s21, -1, 0
	s_sub_nc_u64 s[12:13], s[14:15], s[18:19]
	s_mov_b64 s[14:15], s[0:1]
	s_wait_kmcnt 0x0
	v_add_nc_u64_e32 v[10:11], s[24:25], v[10:11]
	v_add_nc_u64_e32 v[12:13], s[26:27], v[6:7]
	v_mov_b32_e32 v7, 0
	s_add_co_i32 s26, s20, s4
	s_sub_co_i32 s1, s14, s0
	s_delay_alu instid0(SALU_CYCLE_1) | instskip(NEXT) | instid1(SALU_CYCLE_1)
	s_and_b32 s1, s1, 0xff
	s_cmp_lg_u32 s1, 0
	s_cbranch_scc1 .LBB68_17
.LBB68_14:
	s_sub_nc_u64 s[18:19], s[12:13], s[14:15]
	v_dual_mov_b32 v17, 0 :: v_dual_mov_b32 v16, -1.0
	v_cmp_gt_i64_e32 vcc_lo, s[18:19], v[0:1]
	v_mov_b32_e32 v5, -1
	s_and_saveexec_b32 s18, vcc_lo
	s_cbranch_execz .LBB68_16
; %bb.15:
	v_lshl_add_u64 v[16:17], s[14:15], 2, v[10:11]
	global_load_b32 v5, v[16:17], off
	s_wait_xcnt 0x0
	v_lshl_add_u64 v[16:17], s[14:15], 3, v[12:13]
	global_load_b64 v[16:17], v[16:17], off
	s_wait_loadcnt 0x1
	v_subrev_nc_u32_e32 v5, s4, v5
.LBB68_16:
	s_wait_xcnt 0x0
	s_or_b32 exec_lo, exec_lo, s18
	ds_store_b32 v21, v5
	s_wait_loadcnt 0x0
	ds_store_b64 v6, v[16:17]
.LBB68_17:                              ; =>This Loop Header: Depth=1
                                        ;     Child Loop BB68_53 Depth 2
                                        ;       Child Loop BB68_54 Depth 3
	s_lshl_b32 s18, s1, 3
	s_wait_dscnt 0x0
	v_mov_b32_e32 v5, s18
	s_barrier_signal -1
	s_barrier_wait -1
	s_lshl_b32 s1, s1, 2
	ds_load_b64 v[16:17], v5
	v_mov_b32_e32 v5, s1
	ds_load_b32 v5, v5 offset:2048
	s_wait_dscnt 0x1
	v_readfirstlane_b32 s1, v16
	v_readfirstlane_b32 s24, v17
	s_cmp_eq_f32 s1, 0
	s_wait_dscnt 0x0
	v_readfirstlane_b32 s18, v5
	s_cselect_b32 s19, -1, 0
	s_cmp_eq_f32 s24, 0
	s_cselect_b32 s25, -1, 0
	s_delay_alu instid0(SALU_CYCLE_1)
	s_and_b32 s27, s19, s25
	s_cmp_eq_u32 s18, s20
	s_cselect_b32 s25, -1, 0
	s_cmp_lg_u32 s18, s20
	s_cselect_b32 s19, -1, 0
	s_and_b32 s27, s27, s25
	s_delay_alu instid0(SALU_CYCLE_1) | instskip(NEXT) | instid1(SALU_CYCLE_1)
	s_and_b32 s27, s21, s27
	s_and_b32 s28, s3, s27
	s_and_b32 s27, s27, exec_lo
	s_cselect_b32 s24, 0, s24
	s_cselect_b32 s1, 1.0, s1
	s_delay_alu instid0(SALU_CYCLE_1)
	v_dual_mov_b32 v22, s24 :: v_dual_mov_b32 v23, s1
	s_and_saveexec_b32 s1, s28
	s_cbranch_execz .LBB68_21
; %bb.18:                               ;   in Loop: Header=BB68_17 Depth=1
	v_mbcnt_lo_u32_b32 v5, exec_lo, 0
	s_mov_b32 s24, exec_lo
	s_delay_alu instid0(VALU_DEP_1)
	v_cmpx_eq_u32_e32 0, v5
	s_cbranch_execz .LBB68_20
; %bb.19:                               ;   in Loop: Header=BB68_17 Depth=1
	v_mov_b32_e32 v5, s26
	global_atomic_min_i32 v4, v5, s[8:9] scope:SCOPE_DEV
.LBB68_20:                              ;   in Loop: Header=BB68_17 Depth=1
	s_wait_xcnt 0x0
	s_or_b32 exec_lo, exec_lo, s24
	v_dual_mov_b32 v23, 1.0 :: v_dual_mov_b32 v22, 0
.LBB68_21:                              ;   in Loop: Header=BB68_17 Depth=1
	s_or_b32 exec_lo, exec_lo, s1
	s_mov_b32 s27, -1
	s_mov_b32 s1, 0
	s_cmp_lt_i32 s5, 1
	s_mov_b32 s24, 0
                                        ; implicit-def: $vgpr16_vgpr17
                                        ; implicit-def: $vgpr18_vgpr19
                                        ; implicit-def: $vgpr20
	s_cbranch_scc0 .LBB68_28
; %bb.22:                               ;   in Loop: Header=BB68_17 Depth=1
	s_and_b32 vcc_lo, exec_lo, s27
	s_mov_b32 s25, 4
	s_cbranch_vccnz .LBB68_35
.LBB68_23:                              ;   in Loop: Header=BB68_17 Depth=1
	s_and_b32 vcc_lo, exec_lo, s24
	s_cbranch_vccnz .LBB68_40
.LBB68_24:                              ;   in Loop: Header=BB68_17 Depth=1
	s_and_b32 vcc_lo, exec_lo, s1
	s_cbranch_vccnz .LBB68_45
.LBB68_25:                              ;   in Loop: Header=BB68_17 Depth=1
	s_mov_b32 s1, -1
	s_cmp_gt_i32 s25, 3
	s_mov_b32 s18, -1
	s_cbranch_scc0 .LBB68_48
.LBB68_26:                              ;   in Loop: Header=BB68_17 Depth=1
	s_and_not1_b32 vcc_lo, exec_lo, s18
	s_cbranch_vccz .LBB68_49
.LBB68_27:                              ;   in Loop: Header=BB68_17 Depth=1
	s_and_not1_b32 vcc_lo, exec_lo, s1
	s_cbranch_vccnz .LBB68_50
	s_branch .LBB68_56
.LBB68_28:                              ;   in Loop: Header=BB68_17 Depth=1
	s_cmp_eq_u32 s5, 1
	s_mov_b32 s24, -1
                                        ; implicit-def: $vgpr16_vgpr17
                                        ; implicit-def: $vgpr18_vgpr19
                                        ; implicit-def: $vgpr20
	s_cbranch_scc0 .LBB68_34
; %bb.29:                               ;   in Loop: Header=BB68_17 Depth=1
	v_mov_b64_e32 v[16:17], v[14:15]
	v_mov_b64_e32 v[18:19], v[8:9]
	v_mov_b32_e32 v20, v7
	s_cmp_ge_i32 s18, s20
	s_mov_b32 s24, 0
	s_cbranch_scc0 .LBB68_34
; %bb.30:                               ;   in Loop: Header=BB68_17 Depth=1
	s_and_b32 vcc_lo, exec_lo, s25
	s_mov_b32 s24, -1
                                        ; implicit-def: $vgpr16_vgpr17
                                        ; implicit-def: $vgpr18_vgpr19
                                        ; implicit-def: $vgpr20
	s_cbranch_vccz .LBB68_34
; %bb.31:                               ;   in Loop: Header=BB68_17 Depth=1
	v_mov_b64_e32 v[16:17], v[14:15]
	v_mov_b64_e32 v[18:19], v[8:9]
	v_mov_b32_e32 v20, v7
	s_and_not1_b32 vcc_lo, exec_lo, s21
	s_cbranch_vccnz .LBB68_33
; %bb.32:                               ;   in Loop: Header=BB68_17 Depth=1
	v_mul_f32_e32 v5, v22, v22
	s_delay_alu instid0(VALU_DEP_1) | instskip(NEXT) | instid1(VALU_DEP_1)
	v_fmac_f32_e32 v5, v23, v23
	v_div_scale_f32 v16, null, v5, v5, 1.0
	v_div_scale_f32 v19, vcc_lo, 1.0, v5, 1.0
	s_delay_alu instid0(VALU_DEP_2) | instskip(SKIP_1) | instid1(TRANS32_DEP_1)
	v_rcp_f32_e32 v17, v16
	v_nop
	v_fma_f32 v18, -v16, v17, 1.0
	s_delay_alu instid0(VALU_DEP_1) | instskip(NEXT) | instid1(VALU_DEP_1)
	v_fmac_f32_e32 v17, v18, v17
	v_mul_f32_e32 v18, v19, v17
	s_delay_alu instid0(VALU_DEP_1) | instskip(NEXT) | instid1(VALU_DEP_1)
	v_fma_f32 v20, -v16, v18, v19
	v_fmac_f32_e32 v18, v20, v17
	s_delay_alu instid0(VALU_DEP_1) | instskip(NEXT) | instid1(VALU_DEP_1)
	v_fma_f32 v16, -v16, v18, v19
	v_div_fmas_f32 v16, v16, v17, v18
	v_dual_fma_f32 v17, 0, v22, v23 :: v_dual_mov_b32 v18, v8
	s_delay_alu instid0(VALU_DEP_2) | instskip(SKIP_1) | instid1(VALU_DEP_1)
	v_div_fixup_f32 v5, v16, v5, 1.0
	v_fma_f32 v16, v23, 0, -v22
	v_dual_mul_f32 v19, v17, v5 :: v_dual_mul_f32 v20, v16, v5
	s_delay_alu instid0(VALU_DEP_1)
	v_dual_mov_b32 v17, v15 :: v_dual_mov_b32 v16, v19
.LBB68_33:                              ;   in Loop: Header=BB68_17 Depth=1
	s_mov_b32 s24, 0
.LBB68_34:                              ;   in Loop: Header=BB68_17 Depth=1
	s_mov_b32 s25, 4
	s_branch .LBB68_23
.LBB68_35:                              ;   in Loop: Header=BB68_17 Depth=1
	s_cmp_eq_u32 s5, 0
	s_cbranch_scc1 .LBB68_37
; %bb.36:                               ;   in Loop: Header=BB68_17 Depth=1
	s_mov_b32 s24, -1
	s_branch .LBB68_39
.LBB68_37:                              ;   in Loop: Header=BB68_17 Depth=1
	s_cmp_le_i32 s18, s20
	s_mov_b32 s24, 0
	s_cbranch_scc0 .LBB68_39
; %bb.38:                               ;   in Loop: Header=BB68_17 Depth=1
	s_mov_b32 s1, -1
	s_mov_b32 s24, s19
.LBB68_39:                              ;   in Loop: Header=BB68_17 Depth=1
	v_mov_b64_e32 v[16:17], v[14:15]
	v_mov_b64_e32 v[18:19], v[8:9]
	v_mov_b32_e32 v20, v7
	s_mov_b32 s25, 2
	s_and_b32 vcc_lo, exec_lo, s24
	s_cbranch_vccz .LBB68_24
.LBB68_40:                              ;   in Loop: Header=BB68_17 Depth=1
	s_and_saveexec_b32 s1, s3
	s_cbranch_execz .LBB68_42
; %bb.41:                               ;   in Loop: Header=BB68_17 Depth=1
	s_add_co_i32 s24, s18, s7
	s_delay_alu instid0(SALU_CYCLE_1)
	v_mov_b32_e32 v5, s24
	global_load_b32 v5, v5, s[16:17] scale_offset scope:SCOPE_DEV
	s_wait_loadcnt 0x0
	v_cmp_ne_u32_e32 vcc_lo, 0, v5
	s_cbranch_vccz .LBB68_51
.LBB68_42:                              ;   in Loop: Header=BB68_17 Depth=1
	s_wait_xcnt 0x0
	s_or_b32 exec_lo, exec_lo, s1
	v_dual_mov_b32 v5, v9 :: v_dual_mov_b32 v16, v9
	v_mov_b32_e32 v17, v4
	s_wait_storecnt 0x0
	s_barrier_signal -1
	s_delay_alu instid0(VALU_DEP_2)
	v_mov_b64_e32 v[18:19], v[4:5]
	s_barrier_wait -1
	global_inv scope:SCOPE_DEV
	s_and_saveexec_b32 s1, s2
	s_cbranch_execz .LBB68_44
; %bb.43:                               ;   in Loop: Header=BB68_17 Depth=1
	s_ashr_i32 s19, s18, 31
	s_delay_alu instid0(SALU_CYCLE_1) | instskip(NEXT) | instid1(SALU_CYCLE_1)
	s_mul_u64 s[18:19], s[10:11], s[18:19]
	v_lshl_add_u64 v[16:17], s[18:19], 3, v[2:3]
	global_load_b64 v[24:25], v[16:17], off
	s_wait_loadcnt 0x0
	v_dual_mov_b32 v16, v9 :: v_dual_fma_f32 v17, -v23, v24, v15
	v_dual_fma_f32 v5, -v22, v24, v8 :: v_dual_mov_b32 v19, v9
	s_delay_alu instid0(VALU_DEP_2) | instskip(NEXT) | instid1(VALU_DEP_2)
	v_fmac_f32_e32 v17, v22, v25
	v_fma_f32 v18, -v23, v25, v5
.LBB68_44:                              ;   in Loop: Header=BB68_17 Depth=1
	s_or_b32 exec_lo, exec_lo, s1
	v_mov_b32_e32 v20, v7
	s_mov_b32 s25, 0
	s_branch .LBB68_25
.LBB68_45:                              ;   in Loop: Header=BB68_17 Depth=1
	s_and_not1_b32 vcc_lo, exec_lo, s21
	s_cbranch_vccnz .LBB68_47
; %bb.46:                               ;   in Loop: Header=BB68_17 Depth=1
	v_mul_f32_e32 v5, v22, v22
	s_delay_alu instid0(VALU_DEP_1) | instskip(NEXT) | instid1(VALU_DEP_1)
	v_fmac_f32_e32 v5, v23, v23
	v_div_scale_f32 v7, null, v5, v5, 1.0
	v_div_scale_f32 v16, vcc_lo, 1.0, v5, 1.0
	s_delay_alu instid0(VALU_DEP_2) | instskip(SKIP_1) | instid1(TRANS32_DEP_1)
	v_rcp_f32_e32 v9, v7
	v_nop
	v_fma_f32 v14, -v7, v9, 1.0
	s_delay_alu instid0(VALU_DEP_1) | instskip(NEXT) | instid1(VALU_DEP_1)
	v_fmac_f32_e32 v9, v14, v9
	v_mul_f32_e32 v14, v16, v9
	s_delay_alu instid0(VALU_DEP_1) | instskip(NEXT) | instid1(VALU_DEP_1)
	v_fma_f32 v17, -v7, v14, v16
	v_fmac_f32_e32 v14, v17, v9
	s_delay_alu instid0(VALU_DEP_1) | instskip(NEXT) | instid1(VALU_DEP_1)
	v_fma_f32 v7, -v7, v14, v16
	v_div_fmas_f32 v7, v7, v9, v14
	v_fma_f32 v14, v23, 0, -v22
	s_delay_alu instid0(VALU_DEP_2) | instskip(SKIP_1) | instid1(VALU_DEP_1)
	v_div_fixup_f32 v5, v7, v5, 1.0
	v_fma_f32 v7, 0, v22, v23
	v_dual_mul_f32 v9, v7, v5 :: v_dual_mul_f32 v7, v14, v5
	s_delay_alu instid0(VALU_DEP_1)
	v_mov_b32_e32 v14, v9
.LBB68_47:                              ;   in Loop: Header=BB68_17 Depth=1
	v_mov_b64_e32 v[18:19], v[8:9]
	s_delay_alu instid0(VALU_DEP_2) | instskip(NEXT) | instid1(VALU_DEP_4)
	v_mov_b64_e32 v[16:17], v[14:15]
	v_mov_b32_e32 v20, v7
	s_mov_b32 s25, 2
	s_mov_b32 s1, -1
	s_cmp_gt_i32 s25, 3
	s_mov_b32 s18, -1
	s_cbranch_scc1 .LBB68_26
.LBB68_48:                              ;   in Loop: Header=BB68_17 Depth=1
	s_cmp_eq_u32 s25, 0
	s_cselect_b32 s18, -1, 0
	s_delay_alu instid0(SALU_CYCLE_1)
	s_and_not1_b32 vcc_lo, exec_lo, s18
	s_cbranch_vccnz .LBB68_27
.LBB68_49:                              ;   in Loop: Header=BB68_17 Depth=1
	s_add_nc_u64 s[14:15], s[14:15], 1
	s_delay_alu instid0(SALU_CYCLE_1)
	v_cmp_ge_i64_e64 s1, s[14:15], s[12:13]
	s_and_not1_b32 vcc_lo, exec_lo, s1
	s_cbranch_vccz .LBB68_56
.LBB68_50:                              ;   in Loop: Header=BB68_17 Depth=1
	v_mov_b32_e32 v7, v20
	v_mov_b64_e32 v[8:9], v[18:19]
	v_mov_b64_e32 v[14:15], v[16:17]
	s_sub_co_i32 s1, s14, s0
	s_delay_alu instid0(SALU_CYCLE_1) | instskip(NEXT) | instid1(SALU_CYCLE_1)
	s_and_b32 s1, s1, 0xff
	s_cmp_lg_u32 s1, 0
	s_cbranch_scc1 .LBB68_17
	s_branch .LBB68_14
.LBB68_51:                              ;   in Loop: Header=BB68_17 Depth=1
	s_ashr_i32 s25, s24, 31
	s_mov_b32 s19, 0
	s_lshl_b64 s[24:25], s[24:25], 2
	s_delay_alu instid0(SALU_CYCLE_1)
	s_add_nc_u64 s[24:25], s[16:17], s[24:25]
	s_branch .LBB68_53
.LBB68_52:                              ;   in Loop: Header=BB68_53 Depth=2
	global_load_b32 v5, v4, s[24:25] scope:SCOPE_DEV
	s_cmp_lt_u32 s19, 0xf43
	s_cselect_b32 s27, -1, 0
	s_delay_alu instid0(SALU_CYCLE_1)
	s_cmp_lg_u32 s27, 0
	s_add_co_ci_u32 s19, s19, 0
	s_wait_loadcnt 0x0
	v_cmp_ne_u32_e32 vcc_lo, 0, v5
	s_cbranch_vccnz .LBB68_42
.LBB68_53:                              ;   Parent Loop BB68_17 Depth=1
                                        ; =>  This Loop Header: Depth=2
                                        ;       Child Loop BB68_54 Depth 3
	s_cmp_eq_u32 s19, 0
	s_mov_b32 s27, s19
	s_cbranch_scc1 .LBB68_52
.LBB68_54:                              ;   Parent Loop BB68_17 Depth=1
                                        ;     Parent Loop BB68_53 Depth=2
                                        ; =>    This Inner Loop Header: Depth=3
	s_add_co_i32 s27, s27, -1
	s_sleep 1
	s_cmp_eq_u32 s27, 0
	s_cbranch_scc0 .LBB68_54
	s_branch .LBB68_52
.LBB68_55:
	v_mov_b64_e32 v[16:17], v[14:15]
	v_mov_b64_e32 v[18:19], v[8:9]
	s_and_saveexec_b32 s0, s2
	s_cbranch_execnz .LBB68_57
	s_branch .LBB68_58
.LBB68_56:
	v_dual_mov_b32 v4, v18 :: v_dual_mov_b32 v5, v17
	s_and_saveexec_b32 s0, s2
	s_cbranch_execz .LBB68_58
.LBB68_57:
	s_delay_alu instid0(VALU_DEP_1) | instskip(NEXT) | instid1(VALU_DEP_3)
	v_xor_b32_e32 v7, 0x80000000, v18
	v_mov_b32_e32 v6, v17
	s_cmp_eq_u32 s6, 0
	v_lshl_add_u64 v[2:3], s[22:23], 3, v[2:3]
	s_cselect_b32 vcc_lo, -1, 0
	s_delay_alu instid0(VALU_DEP_2) | instskip(NEXT) | instid1(VALU_DEP_1)
	v_pk_mul_f32 v[6:7], v[20:21], v[6:7] op_sel_hi:[0,1]
	v_pk_fma_f32 v[6:7], v[18:19], v[16:17], v[6:7]
	s_delay_alu instid0(VALU_DEP_1)
	v_dual_cndmask_b32 v9, v4, v6 :: v_dual_cndmask_b32 v8, v5, v7
	global_store_b64 v[2:3], v[8:9], off
.LBB68_58:
	s_wait_xcnt 0x0
	s_or_b32 exec_lo, exec_lo, s0
	global_wb scope:SCOPE_DEV
	s_wait_loadcnt 0x0
	s_wait_storecnt 0x0
	global_inv scope:SCOPE_DEV
	s_wait_loadcnt 0x0
	s_barrier_signal -1
	s_barrier_wait -1
	s_mov_b32 s0, exec_lo
	v_cmpx_eq_u32_e32 0, v0
	s_cbranch_execz .LBB68_60
; %bb.59:
	s_add_co_i32 s0, s20, s7
	s_delay_alu instid0(SALU_CYCLE_1)
	v_dual_mov_b32 v0, 1 :: v_dual_mov_b32 v1, s0
	global_store_b32 v1, v0, s[16:17] scale_offset scope:SCOPE_DEV
.LBB68_60:
	s_endpgm
	.section	.rodata,"a",@progbits
	.p2align	6, 0x0
	.amdhsa_kernel _ZN9rocsparseL5csrsmILj256ELj64ELb1Eli21rocsparse_complex_numIfEEEv20rocsparse_operation_T3_S4_NS_24const_host_device_scalarIT4_EEPKT2_PKS4_PKS6_PS6_lPiSC_PS4_21rocsparse_index_base_20rocsparse_fill_mode_20rocsparse_diag_type_b
		.amdhsa_group_segment_fixed_size 3072
		.amdhsa_private_segment_fixed_size 0
		.amdhsa_kernarg_size 104
		.amdhsa_user_sgpr_count 2
		.amdhsa_user_sgpr_dispatch_ptr 0
		.amdhsa_user_sgpr_queue_ptr 0
		.amdhsa_user_sgpr_kernarg_segment_ptr 1
		.amdhsa_user_sgpr_dispatch_id 0
		.amdhsa_user_sgpr_kernarg_preload_length 0
		.amdhsa_user_sgpr_kernarg_preload_offset 0
		.amdhsa_user_sgpr_private_segment_size 0
		.amdhsa_wavefront_size32 1
		.amdhsa_uses_dynamic_stack 0
		.amdhsa_enable_private_segment 0
		.amdhsa_system_sgpr_workgroup_id_x 1
		.amdhsa_system_sgpr_workgroup_id_y 0
		.amdhsa_system_sgpr_workgroup_id_z 0
		.amdhsa_system_sgpr_workgroup_info 0
		.amdhsa_system_vgpr_workitem_id 0
		.amdhsa_next_free_vgpr 26
		.amdhsa_next_free_sgpr 29
		.amdhsa_named_barrier_count 0
		.amdhsa_reserve_vcc 1
		.amdhsa_float_round_mode_32 0
		.amdhsa_float_round_mode_16_64 0
		.amdhsa_float_denorm_mode_32 3
		.amdhsa_float_denorm_mode_16_64 3
		.amdhsa_fp16_overflow 0
		.amdhsa_memory_ordered 1
		.amdhsa_forward_progress 1
		.amdhsa_inst_pref_size 18
		.amdhsa_round_robin_scheduling 0
		.amdhsa_exception_fp_ieee_invalid_op 0
		.amdhsa_exception_fp_denorm_src 0
		.amdhsa_exception_fp_ieee_div_zero 0
		.amdhsa_exception_fp_ieee_overflow 0
		.amdhsa_exception_fp_ieee_underflow 0
		.amdhsa_exception_fp_ieee_inexact 0
		.amdhsa_exception_int_div_zero 0
	.end_amdhsa_kernel
	.section	.text._ZN9rocsparseL5csrsmILj256ELj64ELb1Eli21rocsparse_complex_numIfEEEv20rocsparse_operation_T3_S4_NS_24const_host_device_scalarIT4_EEPKT2_PKS4_PKS6_PS6_lPiSC_PS4_21rocsparse_index_base_20rocsparse_fill_mode_20rocsparse_diag_type_b,"axG",@progbits,_ZN9rocsparseL5csrsmILj256ELj64ELb1Eli21rocsparse_complex_numIfEEEv20rocsparse_operation_T3_S4_NS_24const_host_device_scalarIT4_EEPKT2_PKS4_PKS6_PS6_lPiSC_PS4_21rocsparse_index_base_20rocsparse_fill_mode_20rocsparse_diag_type_b,comdat
.Lfunc_end68:
	.size	_ZN9rocsparseL5csrsmILj256ELj64ELb1Eli21rocsparse_complex_numIfEEEv20rocsparse_operation_T3_S4_NS_24const_host_device_scalarIT4_EEPKT2_PKS4_PKS6_PS6_lPiSC_PS4_21rocsparse_index_base_20rocsparse_fill_mode_20rocsparse_diag_type_b, .Lfunc_end68-_ZN9rocsparseL5csrsmILj256ELj64ELb1Eli21rocsparse_complex_numIfEEEv20rocsparse_operation_T3_S4_NS_24const_host_device_scalarIT4_EEPKT2_PKS4_PKS6_PS6_lPiSC_PS4_21rocsparse_index_base_20rocsparse_fill_mode_20rocsparse_diag_type_b
                                        ; -- End function
	.set _ZN9rocsparseL5csrsmILj256ELj64ELb1Eli21rocsparse_complex_numIfEEEv20rocsparse_operation_T3_S4_NS_24const_host_device_scalarIT4_EEPKT2_PKS4_PKS6_PS6_lPiSC_PS4_21rocsparse_index_base_20rocsparse_fill_mode_20rocsparse_diag_type_b.num_vgpr, 26
	.set _ZN9rocsparseL5csrsmILj256ELj64ELb1Eli21rocsparse_complex_numIfEEEv20rocsparse_operation_T3_S4_NS_24const_host_device_scalarIT4_EEPKT2_PKS4_PKS6_PS6_lPiSC_PS4_21rocsparse_index_base_20rocsparse_fill_mode_20rocsparse_diag_type_b.num_agpr, 0
	.set _ZN9rocsparseL5csrsmILj256ELj64ELb1Eli21rocsparse_complex_numIfEEEv20rocsparse_operation_T3_S4_NS_24const_host_device_scalarIT4_EEPKT2_PKS4_PKS6_PS6_lPiSC_PS4_21rocsparse_index_base_20rocsparse_fill_mode_20rocsparse_diag_type_b.numbered_sgpr, 29
	.set _ZN9rocsparseL5csrsmILj256ELj64ELb1Eli21rocsparse_complex_numIfEEEv20rocsparse_operation_T3_S4_NS_24const_host_device_scalarIT4_EEPKT2_PKS4_PKS6_PS6_lPiSC_PS4_21rocsparse_index_base_20rocsparse_fill_mode_20rocsparse_diag_type_b.num_named_barrier, 0
	.set _ZN9rocsparseL5csrsmILj256ELj64ELb1Eli21rocsparse_complex_numIfEEEv20rocsparse_operation_T3_S4_NS_24const_host_device_scalarIT4_EEPKT2_PKS4_PKS6_PS6_lPiSC_PS4_21rocsparse_index_base_20rocsparse_fill_mode_20rocsparse_diag_type_b.private_seg_size, 0
	.set _ZN9rocsparseL5csrsmILj256ELj64ELb1Eli21rocsparse_complex_numIfEEEv20rocsparse_operation_T3_S4_NS_24const_host_device_scalarIT4_EEPKT2_PKS4_PKS6_PS6_lPiSC_PS4_21rocsparse_index_base_20rocsparse_fill_mode_20rocsparse_diag_type_b.uses_vcc, 1
	.set _ZN9rocsparseL5csrsmILj256ELj64ELb1Eli21rocsparse_complex_numIfEEEv20rocsparse_operation_T3_S4_NS_24const_host_device_scalarIT4_EEPKT2_PKS4_PKS6_PS6_lPiSC_PS4_21rocsparse_index_base_20rocsparse_fill_mode_20rocsparse_diag_type_b.uses_flat_scratch, 0
	.set _ZN9rocsparseL5csrsmILj256ELj64ELb1Eli21rocsparse_complex_numIfEEEv20rocsparse_operation_T3_S4_NS_24const_host_device_scalarIT4_EEPKT2_PKS4_PKS6_PS6_lPiSC_PS4_21rocsparse_index_base_20rocsparse_fill_mode_20rocsparse_diag_type_b.has_dyn_sized_stack, 0
	.set _ZN9rocsparseL5csrsmILj256ELj64ELb1Eli21rocsparse_complex_numIfEEEv20rocsparse_operation_T3_S4_NS_24const_host_device_scalarIT4_EEPKT2_PKS4_PKS6_PS6_lPiSC_PS4_21rocsparse_index_base_20rocsparse_fill_mode_20rocsparse_diag_type_b.has_recursion, 0
	.set _ZN9rocsparseL5csrsmILj256ELj64ELb1Eli21rocsparse_complex_numIfEEEv20rocsparse_operation_T3_S4_NS_24const_host_device_scalarIT4_EEPKT2_PKS4_PKS6_PS6_lPiSC_PS4_21rocsparse_index_base_20rocsparse_fill_mode_20rocsparse_diag_type_b.has_indirect_call, 0
	.section	.AMDGPU.csdata,"",@progbits
; Kernel info:
; codeLenInByte = 2244
; TotalNumSgprs: 31
; NumVgprs: 26
; ScratchSize: 0
; MemoryBound: 0
; FloatMode: 240
; IeeeMode: 1
; LDSByteSize: 3072 bytes/workgroup (compile time only)
; SGPRBlocks: 0
; VGPRBlocks: 1
; NumSGPRsForWavesPerEU: 31
; NumVGPRsForWavesPerEU: 26
; NamedBarCnt: 0
; Occupancy: 16
; WaveLimiterHint : 1
; COMPUTE_PGM_RSRC2:SCRATCH_EN: 0
; COMPUTE_PGM_RSRC2:USER_SGPR: 2
; COMPUTE_PGM_RSRC2:TRAP_HANDLER: 0
; COMPUTE_PGM_RSRC2:TGID_X_EN: 1
; COMPUTE_PGM_RSRC2:TGID_Y_EN: 0
; COMPUTE_PGM_RSRC2:TGID_Z_EN: 0
; COMPUTE_PGM_RSRC2:TIDIG_COMP_CNT: 0
	.section	.text._ZN9rocsparseL5csrsmILj256ELj64ELb0Eli21rocsparse_complex_numIfEEEv20rocsparse_operation_T3_S4_NS_24const_host_device_scalarIT4_EEPKT2_PKS4_PKS6_PS6_lPiSC_PS4_21rocsparse_index_base_20rocsparse_fill_mode_20rocsparse_diag_type_b,"axG",@progbits,_ZN9rocsparseL5csrsmILj256ELj64ELb0Eli21rocsparse_complex_numIfEEEv20rocsparse_operation_T3_S4_NS_24const_host_device_scalarIT4_EEPKT2_PKS4_PKS6_PS6_lPiSC_PS4_21rocsparse_index_base_20rocsparse_fill_mode_20rocsparse_diag_type_b,comdat
	.globl	_ZN9rocsparseL5csrsmILj256ELj64ELb0Eli21rocsparse_complex_numIfEEEv20rocsparse_operation_T3_S4_NS_24const_host_device_scalarIT4_EEPKT2_PKS4_PKS6_PS6_lPiSC_PS4_21rocsparse_index_base_20rocsparse_fill_mode_20rocsparse_diag_type_b ; -- Begin function _ZN9rocsparseL5csrsmILj256ELj64ELb0Eli21rocsparse_complex_numIfEEEv20rocsparse_operation_T3_S4_NS_24const_host_device_scalarIT4_EEPKT2_PKS4_PKS6_PS6_lPiSC_PS4_21rocsparse_index_base_20rocsparse_fill_mode_20rocsparse_diag_type_b
	.p2align	8
	.type	_ZN9rocsparseL5csrsmILj256ELj64ELb0Eli21rocsparse_complex_numIfEEEv20rocsparse_operation_T3_S4_NS_24const_host_device_scalarIT4_EEPKT2_PKS4_PKS6_PS6_lPiSC_PS4_21rocsparse_index_base_20rocsparse_fill_mode_20rocsparse_diag_type_b,@function
_ZN9rocsparseL5csrsmILj256ELj64ELb0Eli21rocsparse_complex_numIfEEEv20rocsparse_operation_T3_S4_NS_24const_host_device_scalarIT4_EEPKT2_PKS4_PKS6_PS6_lPiSC_PS4_21rocsparse_index_base_20rocsparse_fill_mode_20rocsparse_diag_type_b: ; @_ZN9rocsparseL5csrsmILj256ELj64ELb0Eli21rocsparse_complex_numIfEEEv20rocsparse_operation_T3_S4_NS_24const_host_device_scalarIT4_EEPKT2_PKS4_PKS6_PS6_lPiSC_PS4_21rocsparse_index_base_20rocsparse_fill_mode_20rocsparse_diag_type_b
; %bb.0:
	s_clause 0x1
	s_load_b128 s[4:7], s[0:1], 0x58
	s_load_b64 s[2:3], s[0:1], 0x10
	s_wait_kmcnt 0x0
	s_bitcmp1_b32 s7, 0
	s_mov_b32 s19, s2
	s_cselect_b32 s8, -1, 0
	s_delay_alu instid0(SALU_CYCLE_1)
	s_xor_b32 s7, s8, -1
	s_and_b32 vcc_lo, exec_lo, s8
	s_cbranch_vccnz .LBB69_2
; %bb.1:
	s_load_b32 s19, s[2:3], 0x0
.LBB69_2:
	s_clause 0x1
	s_load_b64 s[12:13], s[0:1], 0x18
	s_load_b64 s[8:9], s[0:1], 0x48
	s_and_not1_b32 vcc_lo, exec_lo, s7
	s_cbranch_vccnz .LBB69_4
; %bb.3:
	s_wait_xcnt 0x0
	s_load_b32 s3, s[2:3], 0x4
.LBB69_4:
	s_nop 0
	s_load_b96 s[16:18], s[0:1], 0x0
	s_bfe_u32 s10, ttmp6, 0x4000c
	s_and_b32 s7, ttmp6, 15
	s_add_co_i32 s10, s10, 1
	s_getreg_b32 s14, hwreg(HW_REG_IB_STS2, 6, 4)
	s_mul_i32 s10, ttmp9, s10
	s_delay_alu instid0(SALU_CYCLE_1) | instskip(SKIP_3) | instid1(SALU_CYCLE_2)
	s_add_co_i32 s7, s7, s10
	s_wait_kmcnt 0x0
	s_cvt_f32_u32 s2, s17
	s_sub_co_i32 s11, 0, s17
	v_rcp_iflag_f32_e32 v1, s2
	v_nop
	s_delay_alu instid0(TRANS32_DEP_1) | instskip(SKIP_1) | instid1(SALU_CYCLE_3)
	v_readfirstlane_b32 s2, v1
	s_mul_f32 s2, s2, 0x4f7ffffe
	s_cvt_u32_f32 s2, s2
	s_delay_alu instid0(SALU_CYCLE_3) | instskip(NEXT) | instid1(SALU_CYCLE_1)
	s_mul_i32 s11, s11, s2
	s_mul_hi_u32 s11, s2, s11
	s_delay_alu instid0(SALU_CYCLE_1) | instskip(SKIP_2) | instid1(SALU_CYCLE_1)
	s_add_co_i32 s2, s2, s11
	s_cmp_eq_u32 s14, 0
	s_cselect_b32 s10, ttmp9, s7
	s_mul_hi_u32 s2, s10, s2
	s_delay_alu instid0(SALU_CYCLE_1) | instskip(SKIP_2) | instid1(SALU_CYCLE_1)
	s_mul_i32 s7, s2, s17
	s_add_co_i32 s11, s2, 1
	s_sub_co_i32 s7, s10, s7
	s_sub_co_i32 s14, s7, s17
	s_cmp_ge_u32 s7, s17
	s_cselect_b32 s2, s11, s2
	s_cselect_b32 s7, s14, s7
	s_add_co_i32 s11, s2, 1
	s_cmp_ge_u32 s7, s17
	s_cselect_b32 s2, s11, s2
	s_delay_alu instid0(SALU_CYCLE_1) | instskip(SKIP_2) | instid1(SALU_CYCLE_1)
	s_mul_i32 s7, s2, s17
	v_lshl_or_b32 v2, s2, 8, v0
	s_sub_co_i32 s10, s10, s7
	s_ashr_i32 s11, s10, 31
	s_delay_alu instid0(VALU_DEP_1)
	v_ashrrev_i32_e32 v3, 31, v2
	s_lshl_b64 s[10:11], s[10:11], 2
	v_cmp_gt_i32_e64 s2, s18, v2
	s_add_nc_u64 s[14:15], s[8:9], s[10:11]
	s_load_b32 s20, s[14:15], 0x0
	s_load_b128 s[8:11], s[0:1], 0x30
	s_wait_kmcnt 0x0
	s_ashr_i32 s21, s20, 31
	s_delay_alu instid0(SALU_CYCLE_1)
	s_lshl_b64 s[14:15], s[20:21], 3
	s_cmp_lg_u32 s16, 0x71
	s_add_nc_u64 s[22:23], s[12:13], s[14:15]
	s_load_b128 s[12:15], s[22:23], 0x0
	s_wait_xcnt 0x0
	s_mul_u64 s[22:23], s[10:11], s[20:21]
	s_delay_alu instid0(SALU_CYCLE_1)
	v_add_nc_u64_e32 v[6:7], s[22:23], v[2:3]
	s_cbranch_scc0 .LBB69_8
; %bb.5:
	v_mov_b64_e32 v[4:5], 0
	s_and_saveexec_b32 s16, s2
	s_cbranch_execz .LBB69_7
; %bb.6:
	s_delay_alu instid0(VALU_DEP_2) | instskip(SKIP_1) | instid1(SALU_CYCLE_1)
	v_lshl_add_u64 v[4:5], v[6:7], 3, s[8:9]
	s_xor_b32 s17, s3, 0x80000000
	v_dual_mov_b32 v9, s19 :: v_dual_mov_b32 v11, s17
	v_dual_mov_b32 v10, s19 :: v_dual_mov_b32 v8, s3
	global_load_b64 v[4:5], v[4:5], off
	s_wait_loadcnt 0x0
	v_pk_mul_f32 v[10:11], v[4:5], v[10:11] op_sel:[1,0]
	s_delay_alu instid0(VALU_DEP_1)
	v_pk_fma_f32 v[4:5], v[8:9], v[4:5], v[10:11] op_sel_hi:[1,0,1]
.LBB69_7:
	s_or_b32 exec_lo, exec_lo, s16
	s_load_b64 s[16:17], s[0:1], 0x40
	s_cbranch_execz .LBB69_9
	s_branch .LBB69_12
.LBB69_8:
                                        ; implicit-def: $vgpr4_vgpr5
	s_load_b64 s[16:17], s[0:1], 0x40
.LBB69_9:
	v_mov_b64_e32 v[4:5], 0
	s_and_saveexec_b32 s21, s2
	s_cbranch_execz .LBB69_11
; %bb.10:
	s_delay_alu instid0(VALU_DEP_2) | instskip(SKIP_1) | instid1(SALU_CYCLE_1)
	v_lshl_add_u64 v[4:5], v[6:7], 3, s[8:9]
	s_mov_b32 s18, s3
	v_mov_b64_e32 v[6:7], s[18:19]
	global_load_b64 v[4:5], v[4:5], off
	s_wait_loadcnt 0x0
	v_pk_mul_f32 v[8:9], v[4:5], v[6:7] op_sel:[1,0] neg_hi:[1,0]
	s_delay_alu instid0(VALU_DEP_1)
	v_pk_fma_f32 v[4:5], v[6:7], v[4:5], v[8:9] op_sel:[0,0,1] op_sel_hi:[1,0,0]
.LBB69_11:
	s_or_b32 exec_lo, exec_lo, s21
.LBB69_12:
	s_wait_kmcnt 0x0
	v_cmp_ge_i64_e64 s3, s[12:13], s[14:15]
	s_delay_alu instid0(VALU_DEP_2) | instskip(SKIP_2) | instid1(VALU_DEP_3)
	v_dual_mov_b32 v9, 1.0 :: v_dual_mov_b32 v8, v4
	v_lshl_add_u64 v[2:3], v[2:3], 3, s[8:9]
	v_dual_mov_b32 v15, v5 :: v_dual_mov_b32 v20, 0
	v_mov_b32_e32 v14, v9
	s_and_b32 vcc_lo, exec_lo, s3
	v_cmp_eq_u32_e64 s3, 0, v0
	s_cbranch_vccnz .LBB69_53
; %bb.13:
	s_clause 0x1
	s_load_b128 s[24:27], s[0:1], 0x20
	s_load_b64 s[8:9], s[0:1], 0x50
	v_dual_mov_b32 v4, 0 :: v_dual_lshlrev_b32 v10, 2, v0
	v_lshlrev_b32_e32 v6, 3, v0
	s_mov_b32 s19, 0
	s_mov_b32 s18, s4
	s_delay_alu instid0(VALU_DEP_2)
	v_dual_mov_b32 v11, v4 :: v_dual_mov_b32 v7, v4
	v_mov_b32_e32 v1, v4
	v_or_b32_e32 v21, 0x800, v10
	s_cmp_eq_u32 s6, 0
	s_wait_xcnt 0x0
	s_sub_nc_u64 s[0:1], s[12:13], s[18:19]
	s_cselect_b32 s21, -1, 0
	s_sub_nc_u64 s[12:13], s[14:15], s[18:19]
	s_mov_b64 s[14:15], s[0:1]
	s_wait_kmcnt 0x0
	v_add_nc_u64_e32 v[10:11], s[24:25], v[10:11]
	v_add_nc_u64_e32 v[12:13], s[26:27], v[6:7]
	v_mov_b32_e32 v7, 0
	s_add_co_i32 s26, s20, s4
	s_sub_co_i32 s1, s14, s0
	s_delay_alu instid0(SALU_CYCLE_1) | instskip(NEXT) | instid1(SALU_CYCLE_1)
	s_and_b32 s1, s1, 0xff
	s_cmp_lg_u32 s1, 0
	s_cbranch_scc1 .LBB69_17
.LBB69_14:
	s_sub_nc_u64 s[18:19], s[12:13], s[14:15]
	v_dual_mov_b32 v17, 0 :: v_dual_mov_b32 v16, -1.0
	v_cmp_gt_i64_e32 vcc_lo, s[18:19], v[0:1]
	v_mov_b32_e32 v5, -1
	s_and_saveexec_b32 s18, vcc_lo
	s_cbranch_execz .LBB69_16
; %bb.15:
	v_lshl_add_u64 v[16:17], s[14:15], 2, v[10:11]
	global_load_b32 v5, v[16:17], off
	s_wait_xcnt 0x0
	v_lshl_add_u64 v[16:17], s[14:15], 3, v[12:13]
	global_load_b64 v[16:17], v[16:17], off
	s_wait_loadcnt 0x1
	v_subrev_nc_u32_e32 v5, s4, v5
.LBB69_16:
	s_wait_xcnt 0x0
	s_or_b32 exec_lo, exec_lo, s18
	ds_store_b32 v21, v5
	s_wait_loadcnt 0x0
	ds_store_b64 v6, v[16:17]
.LBB69_17:                              ; =>This Loop Header: Depth=1
                                        ;     Child Loop BB69_43 Depth 2
	s_lshl_b32 s18, s1, 3
	s_wait_dscnt 0x0
	v_mov_b32_e32 v5, s18
	s_barrier_signal -1
	s_barrier_wait -1
	s_lshl_b32 s1, s1, 2
	ds_load_b64 v[16:17], v5
	v_mov_b32_e32 v5, s1
	ds_load_b32 v5, v5 offset:2048
	s_wait_dscnt 0x1
	v_readfirstlane_b32 s1, v16
	v_readfirstlane_b32 s24, v17
	s_cmp_eq_f32 s1, 0
	s_wait_dscnt 0x0
	v_readfirstlane_b32 s18, v5
	s_cselect_b32 s19, -1, 0
	s_cmp_eq_f32 s24, 0
	s_cselect_b32 s25, -1, 0
	s_delay_alu instid0(SALU_CYCLE_1)
	s_and_b32 s27, s19, s25
	s_cmp_eq_u32 s18, s20
	s_cselect_b32 s25, -1, 0
	s_cmp_lg_u32 s18, s20
	s_cselect_b32 s19, -1, 0
	s_and_b32 s27, s27, s25
	s_delay_alu instid0(SALU_CYCLE_1) | instskip(NEXT) | instid1(SALU_CYCLE_1)
	s_and_b32 s27, s21, s27
	s_and_b32 s28, s3, s27
	s_and_b32 s27, s27, exec_lo
	s_cselect_b32 s24, 0, s24
	s_cselect_b32 s1, 1.0, s1
	s_delay_alu instid0(SALU_CYCLE_1)
	v_dual_mov_b32 v22, s24 :: v_dual_mov_b32 v23, s1
	s_and_saveexec_b32 s1, s28
	s_cbranch_execz .LBB69_21
; %bb.18:                               ;   in Loop: Header=BB69_17 Depth=1
	v_mbcnt_lo_u32_b32 v5, exec_lo, 0
	s_mov_b32 s24, exec_lo
	s_delay_alu instid0(VALU_DEP_1)
	v_cmpx_eq_u32_e32 0, v5
	s_cbranch_execz .LBB69_20
; %bb.19:                               ;   in Loop: Header=BB69_17 Depth=1
	v_mov_b32_e32 v5, s26
	global_atomic_min_i32 v4, v5, s[8:9] scope:SCOPE_DEV
.LBB69_20:                              ;   in Loop: Header=BB69_17 Depth=1
	s_wait_xcnt 0x0
	s_or_b32 exec_lo, exec_lo, s24
	v_dual_mov_b32 v23, 1.0 :: v_dual_mov_b32 v22, 0
.LBB69_21:                              ;   in Loop: Header=BB69_17 Depth=1
	s_or_b32 exec_lo, exec_lo, s1
	s_mov_b32 s27, -1
	s_mov_b32 s1, 0
	s_cmp_lt_i32 s5, 1
	s_mov_b32 s24, 0
                                        ; implicit-def: $vgpr16_vgpr17
                                        ; implicit-def: $vgpr18_vgpr19
                                        ; implicit-def: $vgpr20
	s_cbranch_scc0 .LBB69_28
; %bb.22:                               ;   in Loop: Header=BB69_17 Depth=1
	s_and_b32 vcc_lo, exec_lo, s27
	s_mov_b32 s25, 4
	s_cbranch_vccnz .LBB69_35
.LBB69_23:                              ;   in Loop: Header=BB69_17 Depth=1
	s_and_b32 vcc_lo, exec_lo, s24
	s_cbranch_vccnz .LBB69_40
.LBB69_24:                              ;   in Loop: Header=BB69_17 Depth=1
	s_and_b32 vcc_lo, exec_lo, s1
	s_cbranch_vccnz .LBB69_47
.LBB69_25:                              ;   in Loop: Header=BB69_17 Depth=1
	s_mov_b32 s1, -1
	s_cmp_gt_i32 s25, 3
	s_mov_b32 s18, -1
	s_cbranch_scc0 .LBB69_50
.LBB69_26:                              ;   in Loop: Header=BB69_17 Depth=1
	s_and_not1_b32 vcc_lo, exec_lo, s18
	s_cbranch_vccz .LBB69_51
.LBB69_27:                              ;   in Loop: Header=BB69_17 Depth=1
	s_and_not1_b32 vcc_lo, exec_lo, s1
	s_cbranch_vccnz .LBB69_52
	s_branch .LBB69_54
.LBB69_28:                              ;   in Loop: Header=BB69_17 Depth=1
	s_cmp_eq_u32 s5, 1
	s_mov_b32 s24, -1
                                        ; implicit-def: $vgpr16_vgpr17
                                        ; implicit-def: $vgpr18_vgpr19
                                        ; implicit-def: $vgpr20
	s_cbranch_scc0 .LBB69_34
; %bb.29:                               ;   in Loop: Header=BB69_17 Depth=1
	v_mov_b64_e32 v[16:17], v[14:15]
	v_mov_b64_e32 v[18:19], v[8:9]
	v_mov_b32_e32 v20, v7
	s_cmp_ge_i32 s18, s20
	s_mov_b32 s24, 0
	s_cbranch_scc0 .LBB69_34
; %bb.30:                               ;   in Loop: Header=BB69_17 Depth=1
	s_and_b32 vcc_lo, exec_lo, s25
	s_mov_b32 s24, -1
                                        ; implicit-def: $vgpr16_vgpr17
                                        ; implicit-def: $vgpr18_vgpr19
                                        ; implicit-def: $vgpr20
	s_cbranch_vccz .LBB69_34
; %bb.31:                               ;   in Loop: Header=BB69_17 Depth=1
	v_mov_b64_e32 v[16:17], v[14:15]
	v_mov_b64_e32 v[18:19], v[8:9]
	v_mov_b32_e32 v20, v7
	s_and_not1_b32 vcc_lo, exec_lo, s21
	s_cbranch_vccnz .LBB69_33
; %bb.32:                               ;   in Loop: Header=BB69_17 Depth=1
	v_mul_f32_e32 v5, v22, v22
	s_delay_alu instid0(VALU_DEP_1) | instskip(NEXT) | instid1(VALU_DEP_1)
	v_fmac_f32_e32 v5, v23, v23
	v_div_scale_f32 v16, null, v5, v5, 1.0
	v_div_scale_f32 v19, vcc_lo, 1.0, v5, 1.0
	s_delay_alu instid0(VALU_DEP_2) | instskip(SKIP_1) | instid1(TRANS32_DEP_1)
	v_rcp_f32_e32 v17, v16
	v_nop
	v_fma_f32 v18, -v16, v17, 1.0
	s_delay_alu instid0(VALU_DEP_1) | instskip(NEXT) | instid1(VALU_DEP_1)
	v_fmac_f32_e32 v17, v18, v17
	v_mul_f32_e32 v18, v19, v17
	s_delay_alu instid0(VALU_DEP_1) | instskip(NEXT) | instid1(VALU_DEP_1)
	v_fma_f32 v20, -v16, v18, v19
	v_fmac_f32_e32 v18, v20, v17
	s_delay_alu instid0(VALU_DEP_1) | instskip(NEXT) | instid1(VALU_DEP_1)
	v_fma_f32 v16, -v16, v18, v19
	v_div_fmas_f32 v16, v16, v17, v18
	v_dual_fma_f32 v17, 0, v22, v23 :: v_dual_mov_b32 v18, v8
	s_delay_alu instid0(VALU_DEP_2) | instskip(SKIP_1) | instid1(VALU_DEP_1)
	v_div_fixup_f32 v5, v16, v5, 1.0
	v_fma_f32 v16, v23, 0, -v22
	v_dual_mul_f32 v19, v17, v5 :: v_dual_mul_f32 v20, v16, v5
	s_delay_alu instid0(VALU_DEP_1)
	v_dual_mov_b32 v17, v15 :: v_dual_mov_b32 v16, v19
.LBB69_33:                              ;   in Loop: Header=BB69_17 Depth=1
	s_mov_b32 s24, 0
.LBB69_34:                              ;   in Loop: Header=BB69_17 Depth=1
	s_mov_b32 s25, 4
	s_branch .LBB69_23
.LBB69_35:                              ;   in Loop: Header=BB69_17 Depth=1
	s_cmp_eq_u32 s5, 0
	s_cbranch_scc1 .LBB69_37
; %bb.36:                               ;   in Loop: Header=BB69_17 Depth=1
	s_mov_b32 s24, -1
	s_branch .LBB69_39
.LBB69_37:                              ;   in Loop: Header=BB69_17 Depth=1
	s_cmp_le_i32 s18, s20
	s_mov_b32 s24, 0
	s_cbranch_scc0 .LBB69_39
; %bb.38:                               ;   in Loop: Header=BB69_17 Depth=1
	s_mov_b32 s1, -1
	s_mov_b32 s24, s19
.LBB69_39:                              ;   in Loop: Header=BB69_17 Depth=1
	v_mov_b64_e32 v[16:17], v[14:15]
	v_mov_b64_e32 v[18:19], v[8:9]
	v_mov_b32_e32 v20, v7
	s_mov_b32 s25, 2
	s_and_b32 vcc_lo, exec_lo, s24
	s_cbranch_vccz .LBB69_24
.LBB69_40:                              ;   in Loop: Header=BB69_17 Depth=1
	s_and_saveexec_b32 s1, s3
	s_cbranch_execz .LBB69_44
; %bb.41:                               ;   in Loop: Header=BB69_17 Depth=1
	s_add_co_i32 s24, s18, s7
	s_delay_alu instid0(SALU_CYCLE_1)
	v_mov_b32_e32 v5, s24
	global_load_b32 v5, v5, s[16:17] scale_offset scope:SCOPE_DEV
	s_wait_loadcnt 0x0
	v_cmp_ne_u32_e32 vcc_lo, 0, v5
	s_cbranch_vccnz .LBB69_44
; %bb.42:                               ;   in Loop: Header=BB69_17 Depth=1
	s_ashr_i32 s25, s24, 31
	s_delay_alu instid0(SALU_CYCLE_1) | instskip(NEXT) | instid1(SALU_CYCLE_1)
	s_lshl_b64 s[24:25], s[24:25], 2
	s_add_nc_u64 s[24:25], s[16:17], s[24:25]
.LBB69_43:                              ;   Parent Loop BB69_17 Depth=1
                                        ; =>  This Inner Loop Header: Depth=2
	global_load_b32 v5, v4, s[24:25] scope:SCOPE_DEV
	s_wait_loadcnt 0x0
	v_cmp_eq_u32_e32 vcc_lo, 0, v5
	s_cbranch_vccnz .LBB69_43
.LBB69_44:                              ;   in Loop: Header=BB69_17 Depth=1
	s_wait_xcnt 0x0
	s_or_b32 exec_lo, exec_lo, s1
	v_dual_mov_b32 v5, v9 :: v_dual_mov_b32 v16, v9
	v_mov_b32_e32 v17, v4
	s_wait_storecnt 0x0
	s_barrier_signal -1
	s_delay_alu instid0(VALU_DEP_2)
	v_mov_b64_e32 v[18:19], v[4:5]
	s_barrier_wait -1
	global_inv scope:SCOPE_DEV
	s_and_saveexec_b32 s1, s2
	s_cbranch_execz .LBB69_46
; %bb.45:                               ;   in Loop: Header=BB69_17 Depth=1
	s_ashr_i32 s19, s18, 31
	s_delay_alu instid0(SALU_CYCLE_1) | instskip(NEXT) | instid1(SALU_CYCLE_1)
	s_mul_u64 s[18:19], s[10:11], s[18:19]
	v_lshl_add_u64 v[16:17], s[18:19], 3, v[2:3]
	global_load_b64 v[24:25], v[16:17], off
	s_wait_loadcnt 0x0
	v_dual_mov_b32 v16, v9 :: v_dual_fma_f32 v17, -v23, v24, v15
	v_dual_fma_f32 v5, -v22, v24, v8 :: v_dual_mov_b32 v19, v9
	s_delay_alu instid0(VALU_DEP_2) | instskip(NEXT) | instid1(VALU_DEP_2)
	v_fmac_f32_e32 v17, v22, v25
	v_fma_f32 v18, -v23, v25, v5
.LBB69_46:                              ;   in Loop: Header=BB69_17 Depth=1
	s_or_b32 exec_lo, exec_lo, s1
	v_mov_b32_e32 v20, v7
	s_mov_b32 s25, 0
	s_branch .LBB69_25
.LBB69_47:                              ;   in Loop: Header=BB69_17 Depth=1
	s_and_not1_b32 vcc_lo, exec_lo, s21
	s_cbranch_vccnz .LBB69_49
; %bb.48:                               ;   in Loop: Header=BB69_17 Depth=1
	v_mul_f32_e32 v5, v22, v22
	s_delay_alu instid0(VALU_DEP_1) | instskip(NEXT) | instid1(VALU_DEP_1)
	v_fmac_f32_e32 v5, v23, v23
	v_div_scale_f32 v7, null, v5, v5, 1.0
	v_div_scale_f32 v16, vcc_lo, 1.0, v5, 1.0
	s_delay_alu instid0(VALU_DEP_2) | instskip(SKIP_1) | instid1(TRANS32_DEP_1)
	v_rcp_f32_e32 v9, v7
	v_nop
	v_fma_f32 v14, -v7, v9, 1.0
	s_delay_alu instid0(VALU_DEP_1) | instskip(NEXT) | instid1(VALU_DEP_1)
	v_fmac_f32_e32 v9, v14, v9
	v_mul_f32_e32 v14, v16, v9
	s_delay_alu instid0(VALU_DEP_1) | instskip(NEXT) | instid1(VALU_DEP_1)
	v_fma_f32 v17, -v7, v14, v16
	v_fmac_f32_e32 v14, v17, v9
	s_delay_alu instid0(VALU_DEP_1) | instskip(NEXT) | instid1(VALU_DEP_1)
	v_fma_f32 v7, -v7, v14, v16
	v_div_fmas_f32 v7, v7, v9, v14
	v_fma_f32 v14, v23, 0, -v22
	s_delay_alu instid0(VALU_DEP_2) | instskip(SKIP_1) | instid1(VALU_DEP_1)
	v_div_fixup_f32 v5, v7, v5, 1.0
	v_fma_f32 v7, 0, v22, v23
	v_dual_mul_f32 v9, v7, v5 :: v_dual_mul_f32 v7, v14, v5
	s_delay_alu instid0(VALU_DEP_1)
	v_mov_b32_e32 v14, v9
.LBB69_49:                              ;   in Loop: Header=BB69_17 Depth=1
	v_mov_b64_e32 v[18:19], v[8:9]
	s_delay_alu instid0(VALU_DEP_2) | instskip(NEXT) | instid1(VALU_DEP_4)
	v_mov_b64_e32 v[16:17], v[14:15]
	v_mov_b32_e32 v20, v7
	s_mov_b32 s25, 2
	s_mov_b32 s1, -1
	s_cmp_gt_i32 s25, 3
	s_mov_b32 s18, -1
	s_cbranch_scc1 .LBB69_26
.LBB69_50:                              ;   in Loop: Header=BB69_17 Depth=1
	s_cmp_eq_u32 s25, 0
	s_cselect_b32 s18, -1, 0
	s_delay_alu instid0(SALU_CYCLE_1)
	s_and_not1_b32 vcc_lo, exec_lo, s18
	s_cbranch_vccnz .LBB69_27
.LBB69_51:                              ;   in Loop: Header=BB69_17 Depth=1
	s_add_nc_u64 s[14:15], s[14:15], 1
	s_delay_alu instid0(SALU_CYCLE_1)
	v_cmp_ge_i64_e64 s1, s[14:15], s[12:13]
	s_and_not1_b32 vcc_lo, exec_lo, s1
	s_cbranch_vccz .LBB69_54
.LBB69_52:                              ;   in Loop: Header=BB69_17 Depth=1
	v_mov_b32_e32 v7, v20
	v_mov_b64_e32 v[8:9], v[18:19]
	v_mov_b64_e32 v[14:15], v[16:17]
	s_sub_co_i32 s1, s14, s0
	s_delay_alu instid0(SALU_CYCLE_1) | instskip(NEXT) | instid1(SALU_CYCLE_1)
	s_and_b32 s1, s1, 0xff
	s_cmp_lg_u32 s1, 0
	s_cbranch_scc1 .LBB69_17
	s_branch .LBB69_14
.LBB69_53:
	v_mov_b64_e32 v[16:17], v[14:15]
	v_mov_b64_e32 v[18:19], v[8:9]
	s_and_saveexec_b32 s0, s2
	s_cbranch_execnz .LBB69_55
	s_branch .LBB69_56
.LBB69_54:
	v_dual_mov_b32 v4, v18 :: v_dual_mov_b32 v5, v17
	s_and_saveexec_b32 s0, s2
	s_cbranch_execz .LBB69_56
.LBB69_55:
	s_delay_alu instid0(VALU_DEP_1) | instskip(NEXT) | instid1(VALU_DEP_3)
	v_xor_b32_e32 v7, 0x80000000, v18
	v_mov_b32_e32 v6, v17
	s_cmp_eq_u32 s6, 0
	v_lshl_add_u64 v[2:3], s[22:23], 3, v[2:3]
	s_cselect_b32 vcc_lo, -1, 0
	s_delay_alu instid0(VALU_DEP_2) | instskip(NEXT) | instid1(VALU_DEP_1)
	v_pk_mul_f32 v[6:7], v[20:21], v[6:7] op_sel_hi:[0,1]
	v_pk_fma_f32 v[6:7], v[18:19], v[16:17], v[6:7]
	s_delay_alu instid0(VALU_DEP_1)
	v_dual_cndmask_b32 v9, v4, v6 :: v_dual_cndmask_b32 v8, v5, v7
	global_store_b64 v[2:3], v[8:9], off
.LBB69_56:
	s_wait_xcnt 0x0
	s_or_b32 exec_lo, exec_lo, s0
	global_wb scope:SCOPE_DEV
	s_wait_loadcnt 0x0
	s_wait_storecnt 0x0
	global_inv scope:SCOPE_DEV
	s_wait_loadcnt 0x0
	s_barrier_signal -1
	s_barrier_wait -1
	s_mov_b32 s0, exec_lo
	v_cmpx_eq_u32_e32 0, v0
	s_cbranch_execz .LBB69_58
; %bb.57:
	s_add_co_i32 s0, s20, s7
	s_delay_alu instid0(SALU_CYCLE_1)
	v_dual_mov_b32 v0, 1 :: v_dual_mov_b32 v1, s0
	global_store_b32 v1, v0, s[16:17] scale_offset scope:SCOPE_DEV
.LBB69_58:
	s_endpgm
	.section	.rodata,"a",@progbits
	.p2align	6, 0x0
	.amdhsa_kernel _ZN9rocsparseL5csrsmILj256ELj64ELb0Eli21rocsparse_complex_numIfEEEv20rocsparse_operation_T3_S4_NS_24const_host_device_scalarIT4_EEPKT2_PKS4_PKS6_PS6_lPiSC_PS4_21rocsparse_index_base_20rocsparse_fill_mode_20rocsparse_diag_type_b
		.amdhsa_group_segment_fixed_size 3072
		.amdhsa_private_segment_fixed_size 0
		.amdhsa_kernarg_size 104
		.amdhsa_user_sgpr_count 2
		.amdhsa_user_sgpr_dispatch_ptr 0
		.amdhsa_user_sgpr_queue_ptr 0
		.amdhsa_user_sgpr_kernarg_segment_ptr 1
		.amdhsa_user_sgpr_dispatch_id 0
		.amdhsa_user_sgpr_kernarg_preload_length 0
		.amdhsa_user_sgpr_kernarg_preload_offset 0
		.amdhsa_user_sgpr_private_segment_size 0
		.amdhsa_wavefront_size32 1
		.amdhsa_uses_dynamic_stack 0
		.amdhsa_enable_private_segment 0
		.amdhsa_system_sgpr_workgroup_id_x 1
		.amdhsa_system_sgpr_workgroup_id_y 0
		.amdhsa_system_sgpr_workgroup_id_z 0
		.amdhsa_system_sgpr_workgroup_info 0
		.amdhsa_system_vgpr_workitem_id 0
		.amdhsa_next_free_vgpr 26
		.amdhsa_next_free_sgpr 29
		.amdhsa_named_barrier_count 0
		.amdhsa_reserve_vcc 1
		.amdhsa_float_round_mode_32 0
		.amdhsa_float_round_mode_16_64 0
		.amdhsa_float_denorm_mode_32 3
		.amdhsa_float_denorm_mode_16_64 3
		.amdhsa_fp16_overflow 0
		.amdhsa_memory_ordered 1
		.amdhsa_forward_progress 1
		.amdhsa_inst_pref_size 18
		.amdhsa_round_robin_scheduling 0
		.amdhsa_exception_fp_ieee_invalid_op 0
		.amdhsa_exception_fp_denorm_src 0
		.amdhsa_exception_fp_ieee_div_zero 0
		.amdhsa_exception_fp_ieee_overflow 0
		.amdhsa_exception_fp_ieee_underflow 0
		.amdhsa_exception_fp_ieee_inexact 0
		.amdhsa_exception_int_div_zero 0
	.end_amdhsa_kernel
	.section	.text._ZN9rocsparseL5csrsmILj256ELj64ELb0Eli21rocsparse_complex_numIfEEEv20rocsparse_operation_T3_S4_NS_24const_host_device_scalarIT4_EEPKT2_PKS4_PKS6_PS6_lPiSC_PS4_21rocsparse_index_base_20rocsparse_fill_mode_20rocsparse_diag_type_b,"axG",@progbits,_ZN9rocsparseL5csrsmILj256ELj64ELb0Eli21rocsparse_complex_numIfEEEv20rocsparse_operation_T3_S4_NS_24const_host_device_scalarIT4_EEPKT2_PKS4_PKS6_PS6_lPiSC_PS4_21rocsparse_index_base_20rocsparse_fill_mode_20rocsparse_diag_type_b,comdat
.Lfunc_end69:
	.size	_ZN9rocsparseL5csrsmILj256ELj64ELb0Eli21rocsparse_complex_numIfEEEv20rocsparse_operation_T3_S4_NS_24const_host_device_scalarIT4_EEPKT2_PKS4_PKS6_PS6_lPiSC_PS4_21rocsparse_index_base_20rocsparse_fill_mode_20rocsparse_diag_type_b, .Lfunc_end69-_ZN9rocsparseL5csrsmILj256ELj64ELb0Eli21rocsparse_complex_numIfEEEv20rocsparse_operation_T3_S4_NS_24const_host_device_scalarIT4_EEPKT2_PKS4_PKS6_PS6_lPiSC_PS4_21rocsparse_index_base_20rocsparse_fill_mode_20rocsparse_diag_type_b
                                        ; -- End function
	.set _ZN9rocsparseL5csrsmILj256ELj64ELb0Eli21rocsparse_complex_numIfEEEv20rocsparse_operation_T3_S4_NS_24const_host_device_scalarIT4_EEPKT2_PKS4_PKS6_PS6_lPiSC_PS4_21rocsparse_index_base_20rocsparse_fill_mode_20rocsparse_diag_type_b.num_vgpr, 26
	.set _ZN9rocsparseL5csrsmILj256ELj64ELb0Eli21rocsparse_complex_numIfEEEv20rocsparse_operation_T3_S4_NS_24const_host_device_scalarIT4_EEPKT2_PKS4_PKS6_PS6_lPiSC_PS4_21rocsparse_index_base_20rocsparse_fill_mode_20rocsparse_diag_type_b.num_agpr, 0
	.set _ZN9rocsparseL5csrsmILj256ELj64ELb0Eli21rocsparse_complex_numIfEEEv20rocsparse_operation_T3_S4_NS_24const_host_device_scalarIT4_EEPKT2_PKS4_PKS6_PS6_lPiSC_PS4_21rocsparse_index_base_20rocsparse_fill_mode_20rocsparse_diag_type_b.numbered_sgpr, 29
	.set _ZN9rocsparseL5csrsmILj256ELj64ELb0Eli21rocsparse_complex_numIfEEEv20rocsparse_operation_T3_S4_NS_24const_host_device_scalarIT4_EEPKT2_PKS4_PKS6_PS6_lPiSC_PS4_21rocsparse_index_base_20rocsparse_fill_mode_20rocsparse_diag_type_b.num_named_barrier, 0
	.set _ZN9rocsparseL5csrsmILj256ELj64ELb0Eli21rocsparse_complex_numIfEEEv20rocsparse_operation_T3_S4_NS_24const_host_device_scalarIT4_EEPKT2_PKS4_PKS6_PS6_lPiSC_PS4_21rocsparse_index_base_20rocsparse_fill_mode_20rocsparse_diag_type_b.private_seg_size, 0
	.set _ZN9rocsparseL5csrsmILj256ELj64ELb0Eli21rocsparse_complex_numIfEEEv20rocsparse_operation_T3_S4_NS_24const_host_device_scalarIT4_EEPKT2_PKS4_PKS6_PS6_lPiSC_PS4_21rocsparse_index_base_20rocsparse_fill_mode_20rocsparse_diag_type_b.uses_vcc, 1
	.set _ZN9rocsparseL5csrsmILj256ELj64ELb0Eli21rocsparse_complex_numIfEEEv20rocsparse_operation_T3_S4_NS_24const_host_device_scalarIT4_EEPKT2_PKS4_PKS6_PS6_lPiSC_PS4_21rocsparse_index_base_20rocsparse_fill_mode_20rocsparse_diag_type_b.uses_flat_scratch, 0
	.set _ZN9rocsparseL5csrsmILj256ELj64ELb0Eli21rocsparse_complex_numIfEEEv20rocsparse_operation_T3_S4_NS_24const_host_device_scalarIT4_EEPKT2_PKS4_PKS6_PS6_lPiSC_PS4_21rocsparse_index_base_20rocsparse_fill_mode_20rocsparse_diag_type_b.has_dyn_sized_stack, 0
	.set _ZN9rocsparseL5csrsmILj256ELj64ELb0Eli21rocsparse_complex_numIfEEEv20rocsparse_operation_T3_S4_NS_24const_host_device_scalarIT4_EEPKT2_PKS4_PKS6_PS6_lPiSC_PS4_21rocsparse_index_base_20rocsparse_fill_mode_20rocsparse_diag_type_b.has_recursion, 0
	.set _ZN9rocsparseL5csrsmILj256ELj64ELb0Eli21rocsparse_complex_numIfEEEv20rocsparse_operation_T3_S4_NS_24const_host_device_scalarIT4_EEPKT2_PKS4_PKS6_PS6_lPiSC_PS4_21rocsparse_index_base_20rocsparse_fill_mode_20rocsparse_diag_type_b.has_indirect_call, 0
	.section	.AMDGPU.csdata,"",@progbits
; Kernel info:
; codeLenInByte = 2180
; TotalNumSgprs: 31
; NumVgprs: 26
; ScratchSize: 0
; MemoryBound: 0
; FloatMode: 240
; IeeeMode: 1
; LDSByteSize: 3072 bytes/workgroup (compile time only)
; SGPRBlocks: 0
; VGPRBlocks: 1
; NumSGPRsForWavesPerEU: 31
; NumVGPRsForWavesPerEU: 26
; NamedBarCnt: 0
; Occupancy: 16
; WaveLimiterHint : 1
; COMPUTE_PGM_RSRC2:SCRATCH_EN: 0
; COMPUTE_PGM_RSRC2:USER_SGPR: 2
; COMPUTE_PGM_RSRC2:TRAP_HANDLER: 0
; COMPUTE_PGM_RSRC2:TGID_X_EN: 1
; COMPUTE_PGM_RSRC2:TGID_Y_EN: 0
; COMPUTE_PGM_RSRC2:TGID_Z_EN: 0
; COMPUTE_PGM_RSRC2:TIDIG_COMP_CNT: 0
	.section	.text._ZN9rocsparseL5csrsmILj512ELj64ELb1Eli21rocsparse_complex_numIfEEEv20rocsparse_operation_T3_S4_NS_24const_host_device_scalarIT4_EEPKT2_PKS4_PKS6_PS6_lPiSC_PS4_21rocsparse_index_base_20rocsparse_fill_mode_20rocsparse_diag_type_b,"axG",@progbits,_ZN9rocsparseL5csrsmILj512ELj64ELb1Eli21rocsparse_complex_numIfEEEv20rocsparse_operation_T3_S4_NS_24const_host_device_scalarIT4_EEPKT2_PKS4_PKS6_PS6_lPiSC_PS4_21rocsparse_index_base_20rocsparse_fill_mode_20rocsparse_diag_type_b,comdat
	.globl	_ZN9rocsparseL5csrsmILj512ELj64ELb1Eli21rocsparse_complex_numIfEEEv20rocsparse_operation_T3_S4_NS_24const_host_device_scalarIT4_EEPKT2_PKS4_PKS6_PS6_lPiSC_PS4_21rocsparse_index_base_20rocsparse_fill_mode_20rocsparse_diag_type_b ; -- Begin function _ZN9rocsparseL5csrsmILj512ELj64ELb1Eli21rocsparse_complex_numIfEEEv20rocsparse_operation_T3_S4_NS_24const_host_device_scalarIT4_EEPKT2_PKS4_PKS6_PS6_lPiSC_PS4_21rocsparse_index_base_20rocsparse_fill_mode_20rocsparse_diag_type_b
	.p2align	8
	.type	_ZN9rocsparseL5csrsmILj512ELj64ELb1Eli21rocsparse_complex_numIfEEEv20rocsparse_operation_T3_S4_NS_24const_host_device_scalarIT4_EEPKT2_PKS4_PKS6_PS6_lPiSC_PS4_21rocsparse_index_base_20rocsparse_fill_mode_20rocsparse_diag_type_b,@function
_ZN9rocsparseL5csrsmILj512ELj64ELb1Eli21rocsparse_complex_numIfEEEv20rocsparse_operation_T3_S4_NS_24const_host_device_scalarIT4_EEPKT2_PKS4_PKS6_PS6_lPiSC_PS4_21rocsparse_index_base_20rocsparse_fill_mode_20rocsparse_diag_type_b: ; @_ZN9rocsparseL5csrsmILj512ELj64ELb1Eli21rocsparse_complex_numIfEEEv20rocsparse_operation_T3_S4_NS_24const_host_device_scalarIT4_EEPKT2_PKS4_PKS6_PS6_lPiSC_PS4_21rocsparse_index_base_20rocsparse_fill_mode_20rocsparse_diag_type_b
; %bb.0:
	s_clause 0x1
	s_load_b128 s[4:7], s[0:1], 0x58
	s_load_b64 s[2:3], s[0:1], 0x10
	s_wait_kmcnt 0x0
	s_bitcmp1_b32 s7, 0
	s_mov_b32 s19, s2
	s_cselect_b32 s8, -1, 0
	s_delay_alu instid0(SALU_CYCLE_1)
	s_xor_b32 s7, s8, -1
	s_and_b32 vcc_lo, exec_lo, s8
	s_cbranch_vccnz .LBB70_2
; %bb.1:
	s_load_b32 s19, s[2:3], 0x0
.LBB70_2:
	s_clause 0x1
	s_load_b64 s[12:13], s[0:1], 0x18
	s_load_b64 s[8:9], s[0:1], 0x48
	s_and_not1_b32 vcc_lo, exec_lo, s7
	s_cbranch_vccnz .LBB70_4
; %bb.3:
	s_wait_xcnt 0x0
	s_load_b32 s3, s[2:3], 0x4
.LBB70_4:
	s_nop 0
	s_load_b96 s[16:18], s[0:1], 0x0
	s_bfe_u32 s10, ttmp6, 0x4000c
	s_and_b32 s7, ttmp6, 15
	s_add_co_i32 s10, s10, 1
	s_getreg_b32 s14, hwreg(HW_REG_IB_STS2, 6, 4)
	s_mul_i32 s10, ttmp9, s10
	s_delay_alu instid0(SALU_CYCLE_1) | instskip(SKIP_3) | instid1(SALU_CYCLE_2)
	s_add_co_i32 s7, s7, s10
	s_wait_kmcnt 0x0
	s_cvt_f32_u32 s2, s17
	s_sub_co_i32 s11, 0, s17
	v_rcp_iflag_f32_e32 v1, s2
	v_nop
	s_delay_alu instid0(TRANS32_DEP_1) | instskip(SKIP_1) | instid1(SALU_CYCLE_3)
	v_readfirstlane_b32 s2, v1
	s_mul_f32 s2, s2, 0x4f7ffffe
	s_cvt_u32_f32 s2, s2
	s_delay_alu instid0(SALU_CYCLE_3) | instskip(NEXT) | instid1(SALU_CYCLE_1)
	s_mul_i32 s11, s11, s2
	s_mul_hi_u32 s11, s2, s11
	s_delay_alu instid0(SALU_CYCLE_1) | instskip(SKIP_2) | instid1(SALU_CYCLE_1)
	s_add_co_i32 s2, s2, s11
	s_cmp_eq_u32 s14, 0
	s_cselect_b32 s10, ttmp9, s7
	s_mul_hi_u32 s2, s10, s2
	s_delay_alu instid0(SALU_CYCLE_1) | instskip(SKIP_2) | instid1(SALU_CYCLE_1)
	s_mul_i32 s7, s2, s17
	s_add_co_i32 s11, s2, 1
	s_sub_co_i32 s7, s10, s7
	s_sub_co_i32 s14, s7, s17
	s_cmp_ge_u32 s7, s17
	s_cselect_b32 s2, s11, s2
	s_cselect_b32 s7, s14, s7
	s_add_co_i32 s11, s2, 1
	s_cmp_ge_u32 s7, s17
	s_cselect_b32 s2, s11, s2
	s_delay_alu instid0(SALU_CYCLE_1) | instskip(SKIP_2) | instid1(SALU_CYCLE_1)
	s_mul_i32 s7, s2, s17
	v_lshl_or_b32 v2, s2, 9, v0
	s_sub_co_i32 s10, s10, s7
	s_ashr_i32 s11, s10, 31
	s_delay_alu instid0(VALU_DEP_1)
	v_ashrrev_i32_e32 v3, 31, v2
	s_lshl_b64 s[10:11], s[10:11], 2
	v_cmp_gt_i32_e64 s2, s18, v2
	s_add_nc_u64 s[14:15], s[8:9], s[10:11]
	s_load_b32 s20, s[14:15], 0x0
	s_load_b128 s[8:11], s[0:1], 0x30
	s_wait_kmcnt 0x0
	s_ashr_i32 s21, s20, 31
	s_delay_alu instid0(SALU_CYCLE_1)
	s_lshl_b64 s[14:15], s[20:21], 3
	s_cmp_lg_u32 s16, 0x71
	s_add_nc_u64 s[22:23], s[12:13], s[14:15]
	s_load_b128 s[12:15], s[22:23], 0x0
	s_wait_xcnt 0x0
	s_mul_u64 s[22:23], s[10:11], s[20:21]
	s_delay_alu instid0(SALU_CYCLE_1)
	v_add_nc_u64_e32 v[6:7], s[22:23], v[2:3]
	s_cbranch_scc0 .LBB70_8
; %bb.5:
	v_mov_b64_e32 v[4:5], 0
	s_and_saveexec_b32 s16, s2
	s_cbranch_execz .LBB70_7
; %bb.6:
	s_delay_alu instid0(VALU_DEP_2) | instskip(SKIP_1) | instid1(SALU_CYCLE_1)
	v_lshl_add_u64 v[4:5], v[6:7], 3, s[8:9]
	s_xor_b32 s17, s3, 0x80000000
	v_dual_mov_b32 v9, s19 :: v_dual_mov_b32 v11, s17
	v_dual_mov_b32 v10, s19 :: v_dual_mov_b32 v8, s3
	global_load_b64 v[4:5], v[4:5], off
	s_wait_loadcnt 0x0
	v_pk_mul_f32 v[10:11], v[4:5], v[10:11] op_sel:[1,0]
	s_delay_alu instid0(VALU_DEP_1)
	v_pk_fma_f32 v[4:5], v[8:9], v[4:5], v[10:11] op_sel_hi:[1,0,1]
.LBB70_7:
	s_or_b32 exec_lo, exec_lo, s16
	s_load_b64 s[16:17], s[0:1], 0x40
	s_cbranch_execz .LBB70_9
	s_branch .LBB70_12
.LBB70_8:
                                        ; implicit-def: $vgpr4_vgpr5
	s_load_b64 s[16:17], s[0:1], 0x40
.LBB70_9:
	v_mov_b64_e32 v[4:5], 0
	s_and_saveexec_b32 s21, s2
	s_cbranch_execz .LBB70_11
; %bb.10:
	s_delay_alu instid0(VALU_DEP_2) | instskip(SKIP_1) | instid1(SALU_CYCLE_1)
	v_lshl_add_u64 v[4:5], v[6:7], 3, s[8:9]
	s_mov_b32 s18, s3
	v_mov_b64_e32 v[6:7], s[18:19]
	global_load_b64 v[4:5], v[4:5], off
	s_wait_loadcnt 0x0
	v_pk_mul_f32 v[8:9], v[4:5], v[6:7] op_sel:[1,0] neg_hi:[1,0]
	s_delay_alu instid0(VALU_DEP_1)
	v_pk_fma_f32 v[4:5], v[6:7], v[4:5], v[8:9] op_sel:[0,0,1] op_sel_hi:[1,0,0]
.LBB70_11:
	s_or_b32 exec_lo, exec_lo, s21
.LBB70_12:
	s_wait_kmcnt 0x0
	v_cmp_ge_i64_e64 s3, s[12:13], s[14:15]
	s_delay_alu instid0(VALU_DEP_2) | instskip(SKIP_2) | instid1(VALU_DEP_3)
	v_dual_mov_b32 v9, 1.0 :: v_dual_mov_b32 v8, v4
	v_lshl_add_u64 v[2:3], v[2:3], 3, s[8:9]
	v_dual_mov_b32 v15, v5 :: v_dual_mov_b32 v20, 0
	v_mov_b32_e32 v14, v9
	s_and_b32 vcc_lo, exec_lo, s3
	v_cmp_eq_u32_e64 s3, 0, v0
	s_cbranch_vccnz .LBB70_55
; %bb.13:
	s_clause 0x1
	s_load_b128 s[24:27], s[0:1], 0x20
	s_load_b64 s[8:9], s[0:1], 0x50
	v_dual_mov_b32 v4, 0 :: v_dual_lshlrev_b32 v10, 2, v0
	v_lshlrev_b32_e32 v6, 3, v0
	s_mov_b32 s19, 0
	s_mov_b32 s18, s4
	s_delay_alu instid0(VALU_DEP_2)
	v_dual_mov_b32 v11, v4 :: v_dual_mov_b32 v7, v4
	v_mov_b32_e32 v1, v4
	v_or_b32_e32 v21, 0x1000, v10
	s_cmp_eq_u32 s6, 0
	s_wait_xcnt 0x0
	s_sub_nc_u64 s[0:1], s[12:13], s[18:19]
	s_cselect_b32 s21, -1, 0
	s_sub_nc_u64 s[12:13], s[14:15], s[18:19]
	s_mov_b64 s[14:15], s[0:1]
	s_wait_kmcnt 0x0
	v_add_nc_u64_e32 v[10:11], s[24:25], v[10:11]
	v_add_nc_u64_e32 v[12:13], s[26:27], v[6:7]
	v_mov_b32_e32 v7, 0
	s_add_co_i32 s26, s20, s4
	s_sub_co_i32 s1, s14, s0
	s_delay_alu instid0(SALU_CYCLE_1) | instskip(NEXT) | instid1(SALU_CYCLE_1)
	s_and_b32 s1, s1, 0x1ff
	s_cmp_lg_u32 s1, 0
	s_cbranch_scc1 .LBB70_17
.LBB70_14:
	s_sub_nc_u64 s[18:19], s[12:13], s[14:15]
	v_dual_mov_b32 v17, 0 :: v_dual_mov_b32 v16, -1.0
	v_cmp_gt_i64_e32 vcc_lo, s[18:19], v[0:1]
	v_mov_b32_e32 v5, -1
	s_and_saveexec_b32 s18, vcc_lo
	s_cbranch_execz .LBB70_16
; %bb.15:
	v_lshl_add_u64 v[16:17], s[14:15], 2, v[10:11]
	global_load_b32 v5, v[16:17], off
	s_wait_xcnt 0x0
	v_lshl_add_u64 v[16:17], s[14:15], 3, v[12:13]
	global_load_b64 v[16:17], v[16:17], off
	s_wait_loadcnt 0x1
	v_subrev_nc_u32_e32 v5, s4, v5
.LBB70_16:
	s_wait_xcnt 0x0
	s_or_b32 exec_lo, exec_lo, s18
	ds_store_b32 v21, v5
	s_wait_loadcnt 0x0
	ds_store_b64 v6, v[16:17]
.LBB70_17:                              ; =>This Loop Header: Depth=1
                                        ;     Child Loop BB70_53 Depth 2
                                        ;       Child Loop BB70_54 Depth 3
	s_lshl_b32 s18, s1, 3
	s_wait_dscnt 0x0
	v_mov_b32_e32 v5, s18
	s_barrier_signal -1
	s_barrier_wait -1
	s_lshl_b32 s1, s1, 2
	ds_load_b64 v[16:17], v5
	v_mov_b32_e32 v5, s1
	ds_load_b32 v5, v5 offset:4096
	s_wait_dscnt 0x1
	v_readfirstlane_b32 s1, v16
	v_readfirstlane_b32 s24, v17
	s_cmp_eq_f32 s1, 0
	s_wait_dscnt 0x0
	v_readfirstlane_b32 s18, v5
	s_cselect_b32 s19, -1, 0
	s_cmp_eq_f32 s24, 0
	s_cselect_b32 s25, -1, 0
	s_delay_alu instid0(SALU_CYCLE_1)
	s_and_b32 s27, s19, s25
	s_cmp_eq_u32 s18, s20
	s_cselect_b32 s25, -1, 0
	s_cmp_lg_u32 s18, s20
	s_cselect_b32 s19, -1, 0
	s_and_b32 s27, s27, s25
	s_delay_alu instid0(SALU_CYCLE_1) | instskip(NEXT) | instid1(SALU_CYCLE_1)
	s_and_b32 s27, s21, s27
	s_and_b32 s28, s3, s27
	s_and_b32 s27, s27, exec_lo
	s_cselect_b32 s24, 0, s24
	s_cselect_b32 s1, 1.0, s1
	s_delay_alu instid0(SALU_CYCLE_1)
	v_dual_mov_b32 v22, s24 :: v_dual_mov_b32 v23, s1
	s_and_saveexec_b32 s1, s28
	s_cbranch_execz .LBB70_21
; %bb.18:                               ;   in Loop: Header=BB70_17 Depth=1
	v_mbcnt_lo_u32_b32 v5, exec_lo, 0
	s_mov_b32 s24, exec_lo
	s_delay_alu instid0(VALU_DEP_1)
	v_cmpx_eq_u32_e32 0, v5
	s_cbranch_execz .LBB70_20
; %bb.19:                               ;   in Loop: Header=BB70_17 Depth=1
	v_mov_b32_e32 v5, s26
	global_atomic_min_i32 v4, v5, s[8:9] scope:SCOPE_DEV
.LBB70_20:                              ;   in Loop: Header=BB70_17 Depth=1
	s_wait_xcnt 0x0
	s_or_b32 exec_lo, exec_lo, s24
	v_dual_mov_b32 v23, 1.0 :: v_dual_mov_b32 v22, 0
.LBB70_21:                              ;   in Loop: Header=BB70_17 Depth=1
	s_or_b32 exec_lo, exec_lo, s1
	s_mov_b32 s27, -1
	s_mov_b32 s1, 0
	s_cmp_lt_i32 s5, 1
	s_mov_b32 s24, 0
                                        ; implicit-def: $vgpr16_vgpr17
                                        ; implicit-def: $vgpr18_vgpr19
                                        ; implicit-def: $vgpr20
	s_cbranch_scc0 .LBB70_28
; %bb.22:                               ;   in Loop: Header=BB70_17 Depth=1
	s_and_b32 vcc_lo, exec_lo, s27
	s_mov_b32 s25, 4
	s_cbranch_vccnz .LBB70_35
.LBB70_23:                              ;   in Loop: Header=BB70_17 Depth=1
	s_and_b32 vcc_lo, exec_lo, s24
	s_cbranch_vccnz .LBB70_40
.LBB70_24:                              ;   in Loop: Header=BB70_17 Depth=1
	s_and_b32 vcc_lo, exec_lo, s1
	s_cbranch_vccnz .LBB70_45
.LBB70_25:                              ;   in Loop: Header=BB70_17 Depth=1
	s_mov_b32 s1, -1
	s_cmp_gt_i32 s25, 3
	s_mov_b32 s18, -1
	s_cbranch_scc0 .LBB70_48
.LBB70_26:                              ;   in Loop: Header=BB70_17 Depth=1
	s_and_not1_b32 vcc_lo, exec_lo, s18
	s_cbranch_vccz .LBB70_49
.LBB70_27:                              ;   in Loop: Header=BB70_17 Depth=1
	s_and_not1_b32 vcc_lo, exec_lo, s1
	s_cbranch_vccnz .LBB70_50
	s_branch .LBB70_56
.LBB70_28:                              ;   in Loop: Header=BB70_17 Depth=1
	s_cmp_eq_u32 s5, 1
	s_mov_b32 s24, -1
                                        ; implicit-def: $vgpr16_vgpr17
                                        ; implicit-def: $vgpr18_vgpr19
                                        ; implicit-def: $vgpr20
	s_cbranch_scc0 .LBB70_34
; %bb.29:                               ;   in Loop: Header=BB70_17 Depth=1
	v_mov_b64_e32 v[16:17], v[14:15]
	v_mov_b64_e32 v[18:19], v[8:9]
	v_mov_b32_e32 v20, v7
	s_cmp_ge_i32 s18, s20
	s_mov_b32 s24, 0
	s_cbranch_scc0 .LBB70_34
; %bb.30:                               ;   in Loop: Header=BB70_17 Depth=1
	s_and_b32 vcc_lo, exec_lo, s25
	s_mov_b32 s24, -1
                                        ; implicit-def: $vgpr16_vgpr17
                                        ; implicit-def: $vgpr18_vgpr19
                                        ; implicit-def: $vgpr20
	s_cbranch_vccz .LBB70_34
; %bb.31:                               ;   in Loop: Header=BB70_17 Depth=1
	v_mov_b64_e32 v[16:17], v[14:15]
	v_mov_b64_e32 v[18:19], v[8:9]
	v_mov_b32_e32 v20, v7
	s_and_not1_b32 vcc_lo, exec_lo, s21
	s_cbranch_vccnz .LBB70_33
; %bb.32:                               ;   in Loop: Header=BB70_17 Depth=1
	v_mul_f32_e32 v5, v22, v22
	s_delay_alu instid0(VALU_DEP_1) | instskip(NEXT) | instid1(VALU_DEP_1)
	v_fmac_f32_e32 v5, v23, v23
	v_div_scale_f32 v16, null, v5, v5, 1.0
	v_div_scale_f32 v19, vcc_lo, 1.0, v5, 1.0
	s_delay_alu instid0(VALU_DEP_2) | instskip(SKIP_1) | instid1(TRANS32_DEP_1)
	v_rcp_f32_e32 v17, v16
	v_nop
	v_fma_f32 v18, -v16, v17, 1.0
	s_delay_alu instid0(VALU_DEP_1) | instskip(NEXT) | instid1(VALU_DEP_1)
	v_fmac_f32_e32 v17, v18, v17
	v_mul_f32_e32 v18, v19, v17
	s_delay_alu instid0(VALU_DEP_1) | instskip(NEXT) | instid1(VALU_DEP_1)
	v_fma_f32 v20, -v16, v18, v19
	v_fmac_f32_e32 v18, v20, v17
	s_delay_alu instid0(VALU_DEP_1) | instskip(NEXT) | instid1(VALU_DEP_1)
	v_fma_f32 v16, -v16, v18, v19
	v_div_fmas_f32 v16, v16, v17, v18
	v_dual_fma_f32 v17, 0, v22, v23 :: v_dual_mov_b32 v18, v8
	s_delay_alu instid0(VALU_DEP_2) | instskip(SKIP_1) | instid1(VALU_DEP_1)
	v_div_fixup_f32 v5, v16, v5, 1.0
	v_fma_f32 v16, v23, 0, -v22
	v_dual_mul_f32 v19, v17, v5 :: v_dual_mul_f32 v20, v16, v5
	s_delay_alu instid0(VALU_DEP_1)
	v_dual_mov_b32 v17, v15 :: v_dual_mov_b32 v16, v19
.LBB70_33:                              ;   in Loop: Header=BB70_17 Depth=1
	s_mov_b32 s24, 0
.LBB70_34:                              ;   in Loop: Header=BB70_17 Depth=1
	s_mov_b32 s25, 4
	s_branch .LBB70_23
.LBB70_35:                              ;   in Loop: Header=BB70_17 Depth=1
	s_cmp_eq_u32 s5, 0
	s_cbranch_scc1 .LBB70_37
; %bb.36:                               ;   in Loop: Header=BB70_17 Depth=1
	s_mov_b32 s24, -1
	s_branch .LBB70_39
.LBB70_37:                              ;   in Loop: Header=BB70_17 Depth=1
	s_cmp_le_i32 s18, s20
	s_mov_b32 s24, 0
	s_cbranch_scc0 .LBB70_39
; %bb.38:                               ;   in Loop: Header=BB70_17 Depth=1
	s_mov_b32 s1, -1
	s_mov_b32 s24, s19
.LBB70_39:                              ;   in Loop: Header=BB70_17 Depth=1
	v_mov_b64_e32 v[16:17], v[14:15]
	v_mov_b64_e32 v[18:19], v[8:9]
	v_mov_b32_e32 v20, v7
	s_mov_b32 s25, 2
	s_and_b32 vcc_lo, exec_lo, s24
	s_cbranch_vccz .LBB70_24
.LBB70_40:                              ;   in Loop: Header=BB70_17 Depth=1
	s_and_saveexec_b32 s1, s3
	s_cbranch_execz .LBB70_42
; %bb.41:                               ;   in Loop: Header=BB70_17 Depth=1
	s_add_co_i32 s24, s18, s7
	s_delay_alu instid0(SALU_CYCLE_1)
	v_mov_b32_e32 v5, s24
	global_load_b32 v5, v5, s[16:17] scale_offset scope:SCOPE_DEV
	s_wait_loadcnt 0x0
	v_cmp_ne_u32_e32 vcc_lo, 0, v5
	s_cbranch_vccz .LBB70_51
.LBB70_42:                              ;   in Loop: Header=BB70_17 Depth=1
	s_wait_xcnt 0x0
	s_or_b32 exec_lo, exec_lo, s1
	v_dual_mov_b32 v5, v9 :: v_dual_mov_b32 v16, v9
	v_mov_b32_e32 v17, v4
	s_wait_storecnt 0x0
	s_barrier_signal -1
	s_delay_alu instid0(VALU_DEP_2)
	v_mov_b64_e32 v[18:19], v[4:5]
	s_barrier_wait -1
	global_inv scope:SCOPE_DEV
	s_and_saveexec_b32 s1, s2
	s_cbranch_execz .LBB70_44
; %bb.43:                               ;   in Loop: Header=BB70_17 Depth=1
	s_ashr_i32 s19, s18, 31
	s_delay_alu instid0(SALU_CYCLE_1) | instskip(NEXT) | instid1(SALU_CYCLE_1)
	s_mul_u64 s[18:19], s[10:11], s[18:19]
	v_lshl_add_u64 v[16:17], s[18:19], 3, v[2:3]
	global_load_b64 v[24:25], v[16:17], off
	s_wait_loadcnt 0x0
	v_dual_mov_b32 v16, v9 :: v_dual_fma_f32 v17, -v23, v24, v15
	v_dual_fma_f32 v5, -v22, v24, v8 :: v_dual_mov_b32 v19, v9
	s_delay_alu instid0(VALU_DEP_2) | instskip(NEXT) | instid1(VALU_DEP_2)
	v_fmac_f32_e32 v17, v22, v25
	v_fma_f32 v18, -v23, v25, v5
.LBB70_44:                              ;   in Loop: Header=BB70_17 Depth=1
	s_or_b32 exec_lo, exec_lo, s1
	v_mov_b32_e32 v20, v7
	s_mov_b32 s25, 0
	s_branch .LBB70_25
.LBB70_45:                              ;   in Loop: Header=BB70_17 Depth=1
	s_and_not1_b32 vcc_lo, exec_lo, s21
	s_cbranch_vccnz .LBB70_47
; %bb.46:                               ;   in Loop: Header=BB70_17 Depth=1
	v_mul_f32_e32 v5, v22, v22
	s_delay_alu instid0(VALU_DEP_1) | instskip(NEXT) | instid1(VALU_DEP_1)
	v_fmac_f32_e32 v5, v23, v23
	v_div_scale_f32 v7, null, v5, v5, 1.0
	v_div_scale_f32 v16, vcc_lo, 1.0, v5, 1.0
	s_delay_alu instid0(VALU_DEP_2) | instskip(SKIP_1) | instid1(TRANS32_DEP_1)
	v_rcp_f32_e32 v9, v7
	v_nop
	v_fma_f32 v14, -v7, v9, 1.0
	s_delay_alu instid0(VALU_DEP_1) | instskip(NEXT) | instid1(VALU_DEP_1)
	v_fmac_f32_e32 v9, v14, v9
	v_mul_f32_e32 v14, v16, v9
	s_delay_alu instid0(VALU_DEP_1) | instskip(NEXT) | instid1(VALU_DEP_1)
	v_fma_f32 v17, -v7, v14, v16
	v_fmac_f32_e32 v14, v17, v9
	s_delay_alu instid0(VALU_DEP_1) | instskip(NEXT) | instid1(VALU_DEP_1)
	v_fma_f32 v7, -v7, v14, v16
	v_div_fmas_f32 v7, v7, v9, v14
	v_fma_f32 v14, v23, 0, -v22
	s_delay_alu instid0(VALU_DEP_2) | instskip(SKIP_1) | instid1(VALU_DEP_1)
	v_div_fixup_f32 v5, v7, v5, 1.0
	v_fma_f32 v7, 0, v22, v23
	v_dual_mul_f32 v9, v7, v5 :: v_dual_mul_f32 v7, v14, v5
	s_delay_alu instid0(VALU_DEP_1)
	v_mov_b32_e32 v14, v9
.LBB70_47:                              ;   in Loop: Header=BB70_17 Depth=1
	v_mov_b64_e32 v[18:19], v[8:9]
	s_delay_alu instid0(VALU_DEP_2) | instskip(NEXT) | instid1(VALU_DEP_4)
	v_mov_b64_e32 v[16:17], v[14:15]
	v_mov_b32_e32 v20, v7
	s_mov_b32 s25, 2
	s_mov_b32 s1, -1
	s_cmp_gt_i32 s25, 3
	s_mov_b32 s18, -1
	s_cbranch_scc1 .LBB70_26
.LBB70_48:                              ;   in Loop: Header=BB70_17 Depth=1
	s_cmp_eq_u32 s25, 0
	s_cselect_b32 s18, -1, 0
	s_delay_alu instid0(SALU_CYCLE_1)
	s_and_not1_b32 vcc_lo, exec_lo, s18
	s_cbranch_vccnz .LBB70_27
.LBB70_49:                              ;   in Loop: Header=BB70_17 Depth=1
	s_add_nc_u64 s[14:15], s[14:15], 1
	s_delay_alu instid0(SALU_CYCLE_1)
	v_cmp_ge_i64_e64 s1, s[14:15], s[12:13]
	s_and_not1_b32 vcc_lo, exec_lo, s1
	s_cbranch_vccz .LBB70_56
.LBB70_50:                              ;   in Loop: Header=BB70_17 Depth=1
	v_mov_b32_e32 v7, v20
	v_mov_b64_e32 v[8:9], v[18:19]
	v_mov_b64_e32 v[14:15], v[16:17]
	s_sub_co_i32 s1, s14, s0
	s_delay_alu instid0(SALU_CYCLE_1) | instskip(NEXT) | instid1(SALU_CYCLE_1)
	s_and_b32 s1, s1, 0x1ff
	s_cmp_lg_u32 s1, 0
	s_cbranch_scc1 .LBB70_17
	s_branch .LBB70_14
.LBB70_51:                              ;   in Loop: Header=BB70_17 Depth=1
	s_ashr_i32 s25, s24, 31
	s_mov_b32 s19, 0
	s_lshl_b64 s[24:25], s[24:25], 2
	s_delay_alu instid0(SALU_CYCLE_1)
	s_add_nc_u64 s[24:25], s[16:17], s[24:25]
	s_branch .LBB70_53
.LBB70_52:                              ;   in Loop: Header=BB70_53 Depth=2
	global_load_b32 v5, v4, s[24:25] scope:SCOPE_DEV
	s_cmp_lt_u32 s19, 0xf43
	s_cselect_b32 s27, -1, 0
	s_delay_alu instid0(SALU_CYCLE_1)
	s_cmp_lg_u32 s27, 0
	s_add_co_ci_u32 s19, s19, 0
	s_wait_loadcnt 0x0
	v_cmp_ne_u32_e32 vcc_lo, 0, v5
	s_cbranch_vccnz .LBB70_42
.LBB70_53:                              ;   Parent Loop BB70_17 Depth=1
                                        ; =>  This Loop Header: Depth=2
                                        ;       Child Loop BB70_54 Depth 3
	s_cmp_eq_u32 s19, 0
	s_mov_b32 s27, s19
	s_cbranch_scc1 .LBB70_52
.LBB70_54:                              ;   Parent Loop BB70_17 Depth=1
                                        ;     Parent Loop BB70_53 Depth=2
                                        ; =>    This Inner Loop Header: Depth=3
	s_add_co_i32 s27, s27, -1
	s_sleep 1
	s_cmp_eq_u32 s27, 0
	s_cbranch_scc0 .LBB70_54
	s_branch .LBB70_52
.LBB70_55:
	v_mov_b64_e32 v[16:17], v[14:15]
	v_mov_b64_e32 v[18:19], v[8:9]
	s_and_saveexec_b32 s0, s2
	s_cbranch_execnz .LBB70_57
	s_branch .LBB70_58
.LBB70_56:
	v_dual_mov_b32 v4, v18 :: v_dual_mov_b32 v5, v17
	s_and_saveexec_b32 s0, s2
	s_cbranch_execz .LBB70_58
.LBB70_57:
	s_delay_alu instid0(VALU_DEP_1) | instskip(NEXT) | instid1(VALU_DEP_3)
	v_xor_b32_e32 v7, 0x80000000, v18
	v_mov_b32_e32 v6, v17
	s_cmp_eq_u32 s6, 0
	v_lshl_add_u64 v[2:3], s[22:23], 3, v[2:3]
	s_cselect_b32 vcc_lo, -1, 0
	s_delay_alu instid0(VALU_DEP_2) | instskip(NEXT) | instid1(VALU_DEP_1)
	v_pk_mul_f32 v[6:7], v[20:21], v[6:7] op_sel_hi:[0,1]
	v_pk_fma_f32 v[6:7], v[18:19], v[16:17], v[6:7]
	s_delay_alu instid0(VALU_DEP_1)
	v_dual_cndmask_b32 v9, v4, v6 :: v_dual_cndmask_b32 v8, v5, v7
	global_store_b64 v[2:3], v[8:9], off
.LBB70_58:
	s_wait_xcnt 0x0
	s_or_b32 exec_lo, exec_lo, s0
	global_wb scope:SCOPE_DEV
	s_wait_loadcnt 0x0
	s_wait_storecnt 0x0
	global_inv scope:SCOPE_DEV
	s_wait_loadcnt 0x0
	s_barrier_signal -1
	s_barrier_wait -1
	s_mov_b32 s0, exec_lo
	v_cmpx_eq_u32_e32 0, v0
	s_cbranch_execz .LBB70_60
; %bb.59:
	s_add_co_i32 s0, s20, s7
	s_delay_alu instid0(SALU_CYCLE_1)
	v_dual_mov_b32 v0, 1 :: v_dual_mov_b32 v1, s0
	global_store_b32 v1, v0, s[16:17] scale_offset scope:SCOPE_DEV
.LBB70_60:
	s_endpgm
	.section	.rodata,"a",@progbits
	.p2align	6, 0x0
	.amdhsa_kernel _ZN9rocsparseL5csrsmILj512ELj64ELb1Eli21rocsparse_complex_numIfEEEv20rocsparse_operation_T3_S4_NS_24const_host_device_scalarIT4_EEPKT2_PKS4_PKS6_PS6_lPiSC_PS4_21rocsparse_index_base_20rocsparse_fill_mode_20rocsparse_diag_type_b
		.amdhsa_group_segment_fixed_size 6144
		.amdhsa_private_segment_fixed_size 0
		.amdhsa_kernarg_size 104
		.amdhsa_user_sgpr_count 2
		.amdhsa_user_sgpr_dispatch_ptr 0
		.amdhsa_user_sgpr_queue_ptr 0
		.amdhsa_user_sgpr_kernarg_segment_ptr 1
		.amdhsa_user_sgpr_dispatch_id 0
		.amdhsa_user_sgpr_kernarg_preload_length 0
		.amdhsa_user_sgpr_kernarg_preload_offset 0
		.amdhsa_user_sgpr_private_segment_size 0
		.amdhsa_wavefront_size32 1
		.amdhsa_uses_dynamic_stack 0
		.amdhsa_enable_private_segment 0
		.amdhsa_system_sgpr_workgroup_id_x 1
		.amdhsa_system_sgpr_workgroup_id_y 0
		.amdhsa_system_sgpr_workgroup_id_z 0
		.amdhsa_system_sgpr_workgroup_info 0
		.amdhsa_system_vgpr_workitem_id 0
		.amdhsa_next_free_vgpr 26
		.amdhsa_next_free_sgpr 29
		.amdhsa_named_barrier_count 0
		.amdhsa_reserve_vcc 1
		.amdhsa_float_round_mode_32 0
		.amdhsa_float_round_mode_16_64 0
		.amdhsa_float_denorm_mode_32 3
		.amdhsa_float_denorm_mode_16_64 3
		.amdhsa_fp16_overflow 0
		.amdhsa_memory_ordered 1
		.amdhsa_forward_progress 1
		.amdhsa_inst_pref_size 18
		.amdhsa_round_robin_scheduling 0
		.amdhsa_exception_fp_ieee_invalid_op 0
		.amdhsa_exception_fp_denorm_src 0
		.amdhsa_exception_fp_ieee_div_zero 0
		.amdhsa_exception_fp_ieee_overflow 0
		.amdhsa_exception_fp_ieee_underflow 0
		.amdhsa_exception_fp_ieee_inexact 0
		.amdhsa_exception_int_div_zero 0
	.end_amdhsa_kernel
	.section	.text._ZN9rocsparseL5csrsmILj512ELj64ELb1Eli21rocsparse_complex_numIfEEEv20rocsparse_operation_T3_S4_NS_24const_host_device_scalarIT4_EEPKT2_PKS4_PKS6_PS6_lPiSC_PS4_21rocsparse_index_base_20rocsparse_fill_mode_20rocsparse_diag_type_b,"axG",@progbits,_ZN9rocsparseL5csrsmILj512ELj64ELb1Eli21rocsparse_complex_numIfEEEv20rocsparse_operation_T3_S4_NS_24const_host_device_scalarIT4_EEPKT2_PKS4_PKS6_PS6_lPiSC_PS4_21rocsparse_index_base_20rocsparse_fill_mode_20rocsparse_diag_type_b,comdat
.Lfunc_end70:
	.size	_ZN9rocsparseL5csrsmILj512ELj64ELb1Eli21rocsparse_complex_numIfEEEv20rocsparse_operation_T3_S4_NS_24const_host_device_scalarIT4_EEPKT2_PKS4_PKS6_PS6_lPiSC_PS4_21rocsparse_index_base_20rocsparse_fill_mode_20rocsparse_diag_type_b, .Lfunc_end70-_ZN9rocsparseL5csrsmILj512ELj64ELb1Eli21rocsparse_complex_numIfEEEv20rocsparse_operation_T3_S4_NS_24const_host_device_scalarIT4_EEPKT2_PKS4_PKS6_PS6_lPiSC_PS4_21rocsparse_index_base_20rocsparse_fill_mode_20rocsparse_diag_type_b
                                        ; -- End function
	.set _ZN9rocsparseL5csrsmILj512ELj64ELb1Eli21rocsparse_complex_numIfEEEv20rocsparse_operation_T3_S4_NS_24const_host_device_scalarIT4_EEPKT2_PKS4_PKS6_PS6_lPiSC_PS4_21rocsparse_index_base_20rocsparse_fill_mode_20rocsparse_diag_type_b.num_vgpr, 26
	.set _ZN9rocsparseL5csrsmILj512ELj64ELb1Eli21rocsparse_complex_numIfEEEv20rocsparse_operation_T3_S4_NS_24const_host_device_scalarIT4_EEPKT2_PKS4_PKS6_PS6_lPiSC_PS4_21rocsparse_index_base_20rocsparse_fill_mode_20rocsparse_diag_type_b.num_agpr, 0
	.set _ZN9rocsparseL5csrsmILj512ELj64ELb1Eli21rocsparse_complex_numIfEEEv20rocsparse_operation_T3_S4_NS_24const_host_device_scalarIT4_EEPKT2_PKS4_PKS6_PS6_lPiSC_PS4_21rocsparse_index_base_20rocsparse_fill_mode_20rocsparse_diag_type_b.numbered_sgpr, 29
	.set _ZN9rocsparseL5csrsmILj512ELj64ELb1Eli21rocsparse_complex_numIfEEEv20rocsparse_operation_T3_S4_NS_24const_host_device_scalarIT4_EEPKT2_PKS4_PKS6_PS6_lPiSC_PS4_21rocsparse_index_base_20rocsparse_fill_mode_20rocsparse_diag_type_b.num_named_barrier, 0
	.set _ZN9rocsparseL5csrsmILj512ELj64ELb1Eli21rocsparse_complex_numIfEEEv20rocsparse_operation_T3_S4_NS_24const_host_device_scalarIT4_EEPKT2_PKS4_PKS6_PS6_lPiSC_PS4_21rocsparse_index_base_20rocsparse_fill_mode_20rocsparse_diag_type_b.private_seg_size, 0
	.set _ZN9rocsparseL5csrsmILj512ELj64ELb1Eli21rocsparse_complex_numIfEEEv20rocsparse_operation_T3_S4_NS_24const_host_device_scalarIT4_EEPKT2_PKS4_PKS6_PS6_lPiSC_PS4_21rocsparse_index_base_20rocsparse_fill_mode_20rocsparse_diag_type_b.uses_vcc, 1
	.set _ZN9rocsparseL5csrsmILj512ELj64ELb1Eli21rocsparse_complex_numIfEEEv20rocsparse_operation_T3_S4_NS_24const_host_device_scalarIT4_EEPKT2_PKS4_PKS6_PS6_lPiSC_PS4_21rocsparse_index_base_20rocsparse_fill_mode_20rocsparse_diag_type_b.uses_flat_scratch, 0
	.set _ZN9rocsparseL5csrsmILj512ELj64ELb1Eli21rocsparse_complex_numIfEEEv20rocsparse_operation_T3_S4_NS_24const_host_device_scalarIT4_EEPKT2_PKS4_PKS6_PS6_lPiSC_PS4_21rocsparse_index_base_20rocsparse_fill_mode_20rocsparse_diag_type_b.has_dyn_sized_stack, 0
	.set _ZN9rocsparseL5csrsmILj512ELj64ELb1Eli21rocsparse_complex_numIfEEEv20rocsparse_operation_T3_S4_NS_24const_host_device_scalarIT4_EEPKT2_PKS4_PKS6_PS6_lPiSC_PS4_21rocsparse_index_base_20rocsparse_fill_mode_20rocsparse_diag_type_b.has_recursion, 0
	.set _ZN9rocsparseL5csrsmILj512ELj64ELb1Eli21rocsparse_complex_numIfEEEv20rocsparse_operation_T3_S4_NS_24const_host_device_scalarIT4_EEPKT2_PKS4_PKS6_PS6_lPiSC_PS4_21rocsparse_index_base_20rocsparse_fill_mode_20rocsparse_diag_type_b.has_indirect_call, 0
	.section	.AMDGPU.csdata,"",@progbits
; Kernel info:
; codeLenInByte = 2244
; TotalNumSgprs: 31
; NumVgprs: 26
; ScratchSize: 0
; MemoryBound: 0
; FloatMode: 240
; IeeeMode: 1
; LDSByteSize: 6144 bytes/workgroup (compile time only)
; SGPRBlocks: 0
; VGPRBlocks: 1
; NumSGPRsForWavesPerEU: 31
; NumVGPRsForWavesPerEU: 26
; NamedBarCnt: 0
; Occupancy: 16
; WaveLimiterHint : 1
; COMPUTE_PGM_RSRC2:SCRATCH_EN: 0
; COMPUTE_PGM_RSRC2:USER_SGPR: 2
; COMPUTE_PGM_RSRC2:TRAP_HANDLER: 0
; COMPUTE_PGM_RSRC2:TGID_X_EN: 1
; COMPUTE_PGM_RSRC2:TGID_Y_EN: 0
; COMPUTE_PGM_RSRC2:TGID_Z_EN: 0
; COMPUTE_PGM_RSRC2:TIDIG_COMP_CNT: 0
	.section	.text._ZN9rocsparseL5csrsmILj512ELj64ELb0Eli21rocsparse_complex_numIfEEEv20rocsparse_operation_T3_S4_NS_24const_host_device_scalarIT4_EEPKT2_PKS4_PKS6_PS6_lPiSC_PS4_21rocsparse_index_base_20rocsparse_fill_mode_20rocsparse_diag_type_b,"axG",@progbits,_ZN9rocsparseL5csrsmILj512ELj64ELb0Eli21rocsparse_complex_numIfEEEv20rocsparse_operation_T3_S4_NS_24const_host_device_scalarIT4_EEPKT2_PKS4_PKS6_PS6_lPiSC_PS4_21rocsparse_index_base_20rocsparse_fill_mode_20rocsparse_diag_type_b,comdat
	.globl	_ZN9rocsparseL5csrsmILj512ELj64ELb0Eli21rocsparse_complex_numIfEEEv20rocsparse_operation_T3_S4_NS_24const_host_device_scalarIT4_EEPKT2_PKS4_PKS6_PS6_lPiSC_PS4_21rocsparse_index_base_20rocsparse_fill_mode_20rocsparse_diag_type_b ; -- Begin function _ZN9rocsparseL5csrsmILj512ELj64ELb0Eli21rocsparse_complex_numIfEEEv20rocsparse_operation_T3_S4_NS_24const_host_device_scalarIT4_EEPKT2_PKS4_PKS6_PS6_lPiSC_PS4_21rocsparse_index_base_20rocsparse_fill_mode_20rocsparse_diag_type_b
	.p2align	8
	.type	_ZN9rocsparseL5csrsmILj512ELj64ELb0Eli21rocsparse_complex_numIfEEEv20rocsparse_operation_T3_S4_NS_24const_host_device_scalarIT4_EEPKT2_PKS4_PKS6_PS6_lPiSC_PS4_21rocsparse_index_base_20rocsparse_fill_mode_20rocsparse_diag_type_b,@function
_ZN9rocsparseL5csrsmILj512ELj64ELb0Eli21rocsparse_complex_numIfEEEv20rocsparse_operation_T3_S4_NS_24const_host_device_scalarIT4_EEPKT2_PKS4_PKS6_PS6_lPiSC_PS4_21rocsparse_index_base_20rocsparse_fill_mode_20rocsparse_diag_type_b: ; @_ZN9rocsparseL5csrsmILj512ELj64ELb0Eli21rocsparse_complex_numIfEEEv20rocsparse_operation_T3_S4_NS_24const_host_device_scalarIT4_EEPKT2_PKS4_PKS6_PS6_lPiSC_PS4_21rocsparse_index_base_20rocsparse_fill_mode_20rocsparse_diag_type_b
; %bb.0:
	s_clause 0x1
	s_load_b128 s[4:7], s[0:1], 0x58
	s_load_b64 s[2:3], s[0:1], 0x10
	s_wait_kmcnt 0x0
	s_bitcmp1_b32 s7, 0
	s_mov_b32 s19, s2
	s_cselect_b32 s8, -1, 0
	s_delay_alu instid0(SALU_CYCLE_1)
	s_xor_b32 s7, s8, -1
	s_and_b32 vcc_lo, exec_lo, s8
	s_cbranch_vccnz .LBB71_2
; %bb.1:
	s_load_b32 s19, s[2:3], 0x0
.LBB71_2:
	s_clause 0x1
	s_load_b64 s[12:13], s[0:1], 0x18
	s_load_b64 s[8:9], s[0:1], 0x48
	s_and_not1_b32 vcc_lo, exec_lo, s7
	s_cbranch_vccnz .LBB71_4
; %bb.3:
	s_wait_xcnt 0x0
	s_load_b32 s3, s[2:3], 0x4
.LBB71_4:
	s_nop 0
	s_load_b96 s[16:18], s[0:1], 0x0
	s_bfe_u32 s10, ttmp6, 0x4000c
	s_and_b32 s7, ttmp6, 15
	s_add_co_i32 s10, s10, 1
	s_getreg_b32 s14, hwreg(HW_REG_IB_STS2, 6, 4)
	s_mul_i32 s10, ttmp9, s10
	s_delay_alu instid0(SALU_CYCLE_1) | instskip(SKIP_3) | instid1(SALU_CYCLE_2)
	s_add_co_i32 s7, s7, s10
	s_wait_kmcnt 0x0
	s_cvt_f32_u32 s2, s17
	s_sub_co_i32 s11, 0, s17
	v_rcp_iflag_f32_e32 v1, s2
	v_nop
	s_delay_alu instid0(TRANS32_DEP_1) | instskip(SKIP_1) | instid1(SALU_CYCLE_3)
	v_readfirstlane_b32 s2, v1
	s_mul_f32 s2, s2, 0x4f7ffffe
	s_cvt_u32_f32 s2, s2
	s_delay_alu instid0(SALU_CYCLE_3) | instskip(NEXT) | instid1(SALU_CYCLE_1)
	s_mul_i32 s11, s11, s2
	s_mul_hi_u32 s11, s2, s11
	s_delay_alu instid0(SALU_CYCLE_1) | instskip(SKIP_2) | instid1(SALU_CYCLE_1)
	s_add_co_i32 s2, s2, s11
	s_cmp_eq_u32 s14, 0
	s_cselect_b32 s10, ttmp9, s7
	s_mul_hi_u32 s2, s10, s2
	s_delay_alu instid0(SALU_CYCLE_1) | instskip(SKIP_2) | instid1(SALU_CYCLE_1)
	s_mul_i32 s7, s2, s17
	s_add_co_i32 s11, s2, 1
	s_sub_co_i32 s7, s10, s7
	s_sub_co_i32 s14, s7, s17
	s_cmp_ge_u32 s7, s17
	s_cselect_b32 s2, s11, s2
	s_cselect_b32 s7, s14, s7
	s_add_co_i32 s11, s2, 1
	s_cmp_ge_u32 s7, s17
	s_cselect_b32 s2, s11, s2
	s_delay_alu instid0(SALU_CYCLE_1) | instskip(SKIP_2) | instid1(SALU_CYCLE_1)
	s_mul_i32 s7, s2, s17
	v_lshl_or_b32 v2, s2, 9, v0
	s_sub_co_i32 s10, s10, s7
	s_ashr_i32 s11, s10, 31
	s_delay_alu instid0(VALU_DEP_1)
	v_ashrrev_i32_e32 v3, 31, v2
	s_lshl_b64 s[10:11], s[10:11], 2
	v_cmp_gt_i32_e64 s2, s18, v2
	s_add_nc_u64 s[14:15], s[8:9], s[10:11]
	s_load_b32 s20, s[14:15], 0x0
	s_load_b128 s[8:11], s[0:1], 0x30
	s_wait_kmcnt 0x0
	s_ashr_i32 s21, s20, 31
	s_delay_alu instid0(SALU_CYCLE_1)
	s_lshl_b64 s[14:15], s[20:21], 3
	s_cmp_lg_u32 s16, 0x71
	s_add_nc_u64 s[22:23], s[12:13], s[14:15]
	s_load_b128 s[12:15], s[22:23], 0x0
	s_wait_xcnt 0x0
	s_mul_u64 s[22:23], s[10:11], s[20:21]
	s_delay_alu instid0(SALU_CYCLE_1)
	v_add_nc_u64_e32 v[6:7], s[22:23], v[2:3]
	s_cbranch_scc0 .LBB71_8
; %bb.5:
	v_mov_b64_e32 v[4:5], 0
	s_and_saveexec_b32 s16, s2
	s_cbranch_execz .LBB71_7
; %bb.6:
	s_delay_alu instid0(VALU_DEP_2) | instskip(SKIP_1) | instid1(SALU_CYCLE_1)
	v_lshl_add_u64 v[4:5], v[6:7], 3, s[8:9]
	s_xor_b32 s17, s3, 0x80000000
	v_dual_mov_b32 v9, s19 :: v_dual_mov_b32 v11, s17
	v_dual_mov_b32 v10, s19 :: v_dual_mov_b32 v8, s3
	global_load_b64 v[4:5], v[4:5], off
	s_wait_loadcnt 0x0
	v_pk_mul_f32 v[10:11], v[4:5], v[10:11] op_sel:[1,0]
	s_delay_alu instid0(VALU_DEP_1)
	v_pk_fma_f32 v[4:5], v[8:9], v[4:5], v[10:11] op_sel_hi:[1,0,1]
.LBB71_7:
	s_or_b32 exec_lo, exec_lo, s16
	s_load_b64 s[16:17], s[0:1], 0x40
	s_cbranch_execz .LBB71_9
	s_branch .LBB71_12
.LBB71_8:
                                        ; implicit-def: $vgpr4_vgpr5
	s_load_b64 s[16:17], s[0:1], 0x40
.LBB71_9:
	v_mov_b64_e32 v[4:5], 0
	s_and_saveexec_b32 s21, s2
	s_cbranch_execz .LBB71_11
; %bb.10:
	s_delay_alu instid0(VALU_DEP_2) | instskip(SKIP_1) | instid1(SALU_CYCLE_1)
	v_lshl_add_u64 v[4:5], v[6:7], 3, s[8:9]
	s_mov_b32 s18, s3
	v_mov_b64_e32 v[6:7], s[18:19]
	global_load_b64 v[4:5], v[4:5], off
	s_wait_loadcnt 0x0
	v_pk_mul_f32 v[8:9], v[4:5], v[6:7] op_sel:[1,0] neg_hi:[1,0]
	s_delay_alu instid0(VALU_DEP_1)
	v_pk_fma_f32 v[4:5], v[6:7], v[4:5], v[8:9] op_sel:[0,0,1] op_sel_hi:[1,0,0]
.LBB71_11:
	s_or_b32 exec_lo, exec_lo, s21
.LBB71_12:
	s_wait_kmcnt 0x0
	v_cmp_ge_i64_e64 s3, s[12:13], s[14:15]
	s_delay_alu instid0(VALU_DEP_2) | instskip(SKIP_2) | instid1(VALU_DEP_3)
	v_dual_mov_b32 v9, 1.0 :: v_dual_mov_b32 v8, v4
	v_lshl_add_u64 v[2:3], v[2:3], 3, s[8:9]
	v_dual_mov_b32 v15, v5 :: v_dual_mov_b32 v20, 0
	v_mov_b32_e32 v14, v9
	s_and_b32 vcc_lo, exec_lo, s3
	v_cmp_eq_u32_e64 s3, 0, v0
	s_cbranch_vccnz .LBB71_53
; %bb.13:
	s_clause 0x1
	s_load_b128 s[24:27], s[0:1], 0x20
	s_load_b64 s[8:9], s[0:1], 0x50
	v_dual_mov_b32 v4, 0 :: v_dual_lshlrev_b32 v10, 2, v0
	v_lshlrev_b32_e32 v6, 3, v0
	s_mov_b32 s19, 0
	s_mov_b32 s18, s4
	s_delay_alu instid0(VALU_DEP_2)
	v_dual_mov_b32 v11, v4 :: v_dual_mov_b32 v7, v4
	v_mov_b32_e32 v1, v4
	v_or_b32_e32 v21, 0x1000, v10
	s_cmp_eq_u32 s6, 0
	s_wait_xcnt 0x0
	s_sub_nc_u64 s[0:1], s[12:13], s[18:19]
	s_cselect_b32 s21, -1, 0
	s_sub_nc_u64 s[12:13], s[14:15], s[18:19]
	s_mov_b64 s[14:15], s[0:1]
	s_wait_kmcnt 0x0
	v_add_nc_u64_e32 v[10:11], s[24:25], v[10:11]
	v_add_nc_u64_e32 v[12:13], s[26:27], v[6:7]
	v_mov_b32_e32 v7, 0
	s_add_co_i32 s26, s20, s4
	s_sub_co_i32 s1, s14, s0
	s_delay_alu instid0(SALU_CYCLE_1) | instskip(NEXT) | instid1(SALU_CYCLE_1)
	s_and_b32 s1, s1, 0x1ff
	s_cmp_lg_u32 s1, 0
	s_cbranch_scc1 .LBB71_17
.LBB71_14:
	s_sub_nc_u64 s[18:19], s[12:13], s[14:15]
	v_dual_mov_b32 v17, 0 :: v_dual_mov_b32 v16, -1.0
	v_cmp_gt_i64_e32 vcc_lo, s[18:19], v[0:1]
	v_mov_b32_e32 v5, -1
	s_and_saveexec_b32 s18, vcc_lo
	s_cbranch_execz .LBB71_16
; %bb.15:
	v_lshl_add_u64 v[16:17], s[14:15], 2, v[10:11]
	global_load_b32 v5, v[16:17], off
	s_wait_xcnt 0x0
	v_lshl_add_u64 v[16:17], s[14:15], 3, v[12:13]
	global_load_b64 v[16:17], v[16:17], off
	s_wait_loadcnt 0x1
	v_subrev_nc_u32_e32 v5, s4, v5
.LBB71_16:
	s_wait_xcnt 0x0
	s_or_b32 exec_lo, exec_lo, s18
	ds_store_b32 v21, v5
	s_wait_loadcnt 0x0
	ds_store_b64 v6, v[16:17]
.LBB71_17:                              ; =>This Loop Header: Depth=1
                                        ;     Child Loop BB71_43 Depth 2
	s_lshl_b32 s18, s1, 3
	s_wait_dscnt 0x0
	v_mov_b32_e32 v5, s18
	s_barrier_signal -1
	s_barrier_wait -1
	s_lshl_b32 s1, s1, 2
	ds_load_b64 v[16:17], v5
	v_mov_b32_e32 v5, s1
	ds_load_b32 v5, v5 offset:4096
	s_wait_dscnt 0x1
	v_readfirstlane_b32 s1, v16
	v_readfirstlane_b32 s24, v17
	s_cmp_eq_f32 s1, 0
	s_wait_dscnt 0x0
	v_readfirstlane_b32 s18, v5
	s_cselect_b32 s19, -1, 0
	s_cmp_eq_f32 s24, 0
	s_cselect_b32 s25, -1, 0
	s_delay_alu instid0(SALU_CYCLE_1)
	s_and_b32 s27, s19, s25
	s_cmp_eq_u32 s18, s20
	s_cselect_b32 s25, -1, 0
	s_cmp_lg_u32 s18, s20
	s_cselect_b32 s19, -1, 0
	s_and_b32 s27, s27, s25
	s_delay_alu instid0(SALU_CYCLE_1) | instskip(NEXT) | instid1(SALU_CYCLE_1)
	s_and_b32 s27, s21, s27
	s_and_b32 s28, s3, s27
	s_and_b32 s27, s27, exec_lo
	s_cselect_b32 s24, 0, s24
	s_cselect_b32 s1, 1.0, s1
	s_delay_alu instid0(SALU_CYCLE_1)
	v_dual_mov_b32 v22, s24 :: v_dual_mov_b32 v23, s1
	s_and_saveexec_b32 s1, s28
	s_cbranch_execz .LBB71_21
; %bb.18:                               ;   in Loop: Header=BB71_17 Depth=1
	v_mbcnt_lo_u32_b32 v5, exec_lo, 0
	s_mov_b32 s24, exec_lo
	s_delay_alu instid0(VALU_DEP_1)
	v_cmpx_eq_u32_e32 0, v5
	s_cbranch_execz .LBB71_20
; %bb.19:                               ;   in Loop: Header=BB71_17 Depth=1
	v_mov_b32_e32 v5, s26
	global_atomic_min_i32 v4, v5, s[8:9] scope:SCOPE_DEV
.LBB71_20:                              ;   in Loop: Header=BB71_17 Depth=1
	s_wait_xcnt 0x0
	s_or_b32 exec_lo, exec_lo, s24
	v_dual_mov_b32 v23, 1.0 :: v_dual_mov_b32 v22, 0
.LBB71_21:                              ;   in Loop: Header=BB71_17 Depth=1
	s_or_b32 exec_lo, exec_lo, s1
	s_mov_b32 s27, -1
	s_mov_b32 s1, 0
	s_cmp_lt_i32 s5, 1
	s_mov_b32 s24, 0
                                        ; implicit-def: $vgpr16_vgpr17
                                        ; implicit-def: $vgpr18_vgpr19
                                        ; implicit-def: $vgpr20
	s_cbranch_scc0 .LBB71_28
; %bb.22:                               ;   in Loop: Header=BB71_17 Depth=1
	s_and_b32 vcc_lo, exec_lo, s27
	s_mov_b32 s25, 4
	s_cbranch_vccnz .LBB71_35
.LBB71_23:                              ;   in Loop: Header=BB71_17 Depth=1
	s_and_b32 vcc_lo, exec_lo, s24
	s_cbranch_vccnz .LBB71_40
.LBB71_24:                              ;   in Loop: Header=BB71_17 Depth=1
	s_and_b32 vcc_lo, exec_lo, s1
	s_cbranch_vccnz .LBB71_47
.LBB71_25:                              ;   in Loop: Header=BB71_17 Depth=1
	s_mov_b32 s1, -1
	s_cmp_gt_i32 s25, 3
	s_mov_b32 s18, -1
	s_cbranch_scc0 .LBB71_50
.LBB71_26:                              ;   in Loop: Header=BB71_17 Depth=1
	s_and_not1_b32 vcc_lo, exec_lo, s18
	s_cbranch_vccz .LBB71_51
.LBB71_27:                              ;   in Loop: Header=BB71_17 Depth=1
	s_and_not1_b32 vcc_lo, exec_lo, s1
	s_cbranch_vccnz .LBB71_52
	s_branch .LBB71_54
.LBB71_28:                              ;   in Loop: Header=BB71_17 Depth=1
	s_cmp_eq_u32 s5, 1
	s_mov_b32 s24, -1
                                        ; implicit-def: $vgpr16_vgpr17
                                        ; implicit-def: $vgpr18_vgpr19
                                        ; implicit-def: $vgpr20
	s_cbranch_scc0 .LBB71_34
; %bb.29:                               ;   in Loop: Header=BB71_17 Depth=1
	v_mov_b64_e32 v[16:17], v[14:15]
	v_mov_b64_e32 v[18:19], v[8:9]
	v_mov_b32_e32 v20, v7
	s_cmp_ge_i32 s18, s20
	s_mov_b32 s24, 0
	s_cbranch_scc0 .LBB71_34
; %bb.30:                               ;   in Loop: Header=BB71_17 Depth=1
	s_and_b32 vcc_lo, exec_lo, s25
	s_mov_b32 s24, -1
                                        ; implicit-def: $vgpr16_vgpr17
                                        ; implicit-def: $vgpr18_vgpr19
                                        ; implicit-def: $vgpr20
	s_cbranch_vccz .LBB71_34
; %bb.31:                               ;   in Loop: Header=BB71_17 Depth=1
	v_mov_b64_e32 v[16:17], v[14:15]
	v_mov_b64_e32 v[18:19], v[8:9]
	v_mov_b32_e32 v20, v7
	s_and_not1_b32 vcc_lo, exec_lo, s21
	s_cbranch_vccnz .LBB71_33
; %bb.32:                               ;   in Loop: Header=BB71_17 Depth=1
	v_mul_f32_e32 v5, v22, v22
	s_delay_alu instid0(VALU_DEP_1) | instskip(NEXT) | instid1(VALU_DEP_1)
	v_fmac_f32_e32 v5, v23, v23
	v_div_scale_f32 v16, null, v5, v5, 1.0
	v_div_scale_f32 v19, vcc_lo, 1.0, v5, 1.0
	s_delay_alu instid0(VALU_DEP_2) | instskip(SKIP_1) | instid1(TRANS32_DEP_1)
	v_rcp_f32_e32 v17, v16
	v_nop
	v_fma_f32 v18, -v16, v17, 1.0
	s_delay_alu instid0(VALU_DEP_1) | instskip(NEXT) | instid1(VALU_DEP_1)
	v_fmac_f32_e32 v17, v18, v17
	v_mul_f32_e32 v18, v19, v17
	s_delay_alu instid0(VALU_DEP_1) | instskip(NEXT) | instid1(VALU_DEP_1)
	v_fma_f32 v20, -v16, v18, v19
	v_fmac_f32_e32 v18, v20, v17
	s_delay_alu instid0(VALU_DEP_1) | instskip(NEXT) | instid1(VALU_DEP_1)
	v_fma_f32 v16, -v16, v18, v19
	v_div_fmas_f32 v16, v16, v17, v18
	v_dual_fma_f32 v17, 0, v22, v23 :: v_dual_mov_b32 v18, v8
	s_delay_alu instid0(VALU_DEP_2) | instskip(SKIP_1) | instid1(VALU_DEP_1)
	v_div_fixup_f32 v5, v16, v5, 1.0
	v_fma_f32 v16, v23, 0, -v22
	v_dual_mul_f32 v19, v17, v5 :: v_dual_mul_f32 v20, v16, v5
	s_delay_alu instid0(VALU_DEP_1)
	v_dual_mov_b32 v17, v15 :: v_dual_mov_b32 v16, v19
.LBB71_33:                              ;   in Loop: Header=BB71_17 Depth=1
	s_mov_b32 s24, 0
.LBB71_34:                              ;   in Loop: Header=BB71_17 Depth=1
	s_mov_b32 s25, 4
	s_branch .LBB71_23
.LBB71_35:                              ;   in Loop: Header=BB71_17 Depth=1
	s_cmp_eq_u32 s5, 0
	s_cbranch_scc1 .LBB71_37
; %bb.36:                               ;   in Loop: Header=BB71_17 Depth=1
	s_mov_b32 s24, -1
	s_branch .LBB71_39
.LBB71_37:                              ;   in Loop: Header=BB71_17 Depth=1
	s_cmp_le_i32 s18, s20
	s_mov_b32 s24, 0
	s_cbranch_scc0 .LBB71_39
; %bb.38:                               ;   in Loop: Header=BB71_17 Depth=1
	s_mov_b32 s1, -1
	s_mov_b32 s24, s19
.LBB71_39:                              ;   in Loop: Header=BB71_17 Depth=1
	v_mov_b64_e32 v[16:17], v[14:15]
	v_mov_b64_e32 v[18:19], v[8:9]
	v_mov_b32_e32 v20, v7
	s_mov_b32 s25, 2
	s_and_b32 vcc_lo, exec_lo, s24
	s_cbranch_vccz .LBB71_24
.LBB71_40:                              ;   in Loop: Header=BB71_17 Depth=1
	s_and_saveexec_b32 s1, s3
	s_cbranch_execz .LBB71_44
; %bb.41:                               ;   in Loop: Header=BB71_17 Depth=1
	s_add_co_i32 s24, s18, s7
	s_delay_alu instid0(SALU_CYCLE_1)
	v_mov_b32_e32 v5, s24
	global_load_b32 v5, v5, s[16:17] scale_offset scope:SCOPE_DEV
	s_wait_loadcnt 0x0
	v_cmp_ne_u32_e32 vcc_lo, 0, v5
	s_cbranch_vccnz .LBB71_44
; %bb.42:                               ;   in Loop: Header=BB71_17 Depth=1
	s_ashr_i32 s25, s24, 31
	s_delay_alu instid0(SALU_CYCLE_1) | instskip(NEXT) | instid1(SALU_CYCLE_1)
	s_lshl_b64 s[24:25], s[24:25], 2
	s_add_nc_u64 s[24:25], s[16:17], s[24:25]
.LBB71_43:                              ;   Parent Loop BB71_17 Depth=1
                                        ; =>  This Inner Loop Header: Depth=2
	global_load_b32 v5, v4, s[24:25] scope:SCOPE_DEV
	s_wait_loadcnt 0x0
	v_cmp_eq_u32_e32 vcc_lo, 0, v5
	s_cbranch_vccnz .LBB71_43
.LBB71_44:                              ;   in Loop: Header=BB71_17 Depth=1
	s_wait_xcnt 0x0
	s_or_b32 exec_lo, exec_lo, s1
	v_dual_mov_b32 v5, v9 :: v_dual_mov_b32 v16, v9
	v_mov_b32_e32 v17, v4
	s_wait_storecnt 0x0
	s_barrier_signal -1
	s_delay_alu instid0(VALU_DEP_2)
	v_mov_b64_e32 v[18:19], v[4:5]
	s_barrier_wait -1
	global_inv scope:SCOPE_DEV
	s_and_saveexec_b32 s1, s2
	s_cbranch_execz .LBB71_46
; %bb.45:                               ;   in Loop: Header=BB71_17 Depth=1
	s_ashr_i32 s19, s18, 31
	s_delay_alu instid0(SALU_CYCLE_1) | instskip(NEXT) | instid1(SALU_CYCLE_1)
	s_mul_u64 s[18:19], s[10:11], s[18:19]
	v_lshl_add_u64 v[16:17], s[18:19], 3, v[2:3]
	global_load_b64 v[24:25], v[16:17], off
	s_wait_loadcnt 0x0
	v_dual_mov_b32 v16, v9 :: v_dual_fma_f32 v17, -v23, v24, v15
	v_dual_fma_f32 v5, -v22, v24, v8 :: v_dual_mov_b32 v19, v9
	s_delay_alu instid0(VALU_DEP_2) | instskip(NEXT) | instid1(VALU_DEP_2)
	v_fmac_f32_e32 v17, v22, v25
	v_fma_f32 v18, -v23, v25, v5
.LBB71_46:                              ;   in Loop: Header=BB71_17 Depth=1
	s_or_b32 exec_lo, exec_lo, s1
	v_mov_b32_e32 v20, v7
	s_mov_b32 s25, 0
	s_branch .LBB71_25
.LBB71_47:                              ;   in Loop: Header=BB71_17 Depth=1
	s_and_not1_b32 vcc_lo, exec_lo, s21
	s_cbranch_vccnz .LBB71_49
; %bb.48:                               ;   in Loop: Header=BB71_17 Depth=1
	v_mul_f32_e32 v5, v22, v22
	s_delay_alu instid0(VALU_DEP_1) | instskip(NEXT) | instid1(VALU_DEP_1)
	v_fmac_f32_e32 v5, v23, v23
	v_div_scale_f32 v7, null, v5, v5, 1.0
	v_div_scale_f32 v16, vcc_lo, 1.0, v5, 1.0
	s_delay_alu instid0(VALU_DEP_2) | instskip(SKIP_1) | instid1(TRANS32_DEP_1)
	v_rcp_f32_e32 v9, v7
	v_nop
	v_fma_f32 v14, -v7, v9, 1.0
	s_delay_alu instid0(VALU_DEP_1) | instskip(NEXT) | instid1(VALU_DEP_1)
	v_fmac_f32_e32 v9, v14, v9
	v_mul_f32_e32 v14, v16, v9
	s_delay_alu instid0(VALU_DEP_1) | instskip(NEXT) | instid1(VALU_DEP_1)
	v_fma_f32 v17, -v7, v14, v16
	v_fmac_f32_e32 v14, v17, v9
	s_delay_alu instid0(VALU_DEP_1) | instskip(NEXT) | instid1(VALU_DEP_1)
	v_fma_f32 v7, -v7, v14, v16
	v_div_fmas_f32 v7, v7, v9, v14
	v_fma_f32 v14, v23, 0, -v22
	s_delay_alu instid0(VALU_DEP_2) | instskip(SKIP_1) | instid1(VALU_DEP_1)
	v_div_fixup_f32 v5, v7, v5, 1.0
	v_fma_f32 v7, 0, v22, v23
	v_dual_mul_f32 v9, v7, v5 :: v_dual_mul_f32 v7, v14, v5
	s_delay_alu instid0(VALU_DEP_1)
	v_mov_b32_e32 v14, v9
.LBB71_49:                              ;   in Loop: Header=BB71_17 Depth=1
	v_mov_b64_e32 v[18:19], v[8:9]
	s_delay_alu instid0(VALU_DEP_2) | instskip(NEXT) | instid1(VALU_DEP_4)
	v_mov_b64_e32 v[16:17], v[14:15]
	v_mov_b32_e32 v20, v7
	s_mov_b32 s25, 2
	s_mov_b32 s1, -1
	s_cmp_gt_i32 s25, 3
	s_mov_b32 s18, -1
	s_cbranch_scc1 .LBB71_26
.LBB71_50:                              ;   in Loop: Header=BB71_17 Depth=1
	s_cmp_eq_u32 s25, 0
	s_cselect_b32 s18, -1, 0
	s_delay_alu instid0(SALU_CYCLE_1)
	s_and_not1_b32 vcc_lo, exec_lo, s18
	s_cbranch_vccnz .LBB71_27
.LBB71_51:                              ;   in Loop: Header=BB71_17 Depth=1
	s_add_nc_u64 s[14:15], s[14:15], 1
	s_delay_alu instid0(SALU_CYCLE_1)
	v_cmp_ge_i64_e64 s1, s[14:15], s[12:13]
	s_and_not1_b32 vcc_lo, exec_lo, s1
	s_cbranch_vccz .LBB71_54
.LBB71_52:                              ;   in Loop: Header=BB71_17 Depth=1
	v_mov_b32_e32 v7, v20
	v_mov_b64_e32 v[8:9], v[18:19]
	v_mov_b64_e32 v[14:15], v[16:17]
	s_sub_co_i32 s1, s14, s0
	s_delay_alu instid0(SALU_CYCLE_1) | instskip(NEXT) | instid1(SALU_CYCLE_1)
	s_and_b32 s1, s1, 0x1ff
	s_cmp_lg_u32 s1, 0
	s_cbranch_scc1 .LBB71_17
	s_branch .LBB71_14
.LBB71_53:
	v_mov_b64_e32 v[16:17], v[14:15]
	v_mov_b64_e32 v[18:19], v[8:9]
	s_and_saveexec_b32 s0, s2
	s_cbranch_execnz .LBB71_55
	s_branch .LBB71_56
.LBB71_54:
	v_dual_mov_b32 v4, v18 :: v_dual_mov_b32 v5, v17
	s_and_saveexec_b32 s0, s2
	s_cbranch_execz .LBB71_56
.LBB71_55:
	s_delay_alu instid0(VALU_DEP_1) | instskip(NEXT) | instid1(VALU_DEP_3)
	v_xor_b32_e32 v7, 0x80000000, v18
	v_mov_b32_e32 v6, v17
	s_cmp_eq_u32 s6, 0
	v_lshl_add_u64 v[2:3], s[22:23], 3, v[2:3]
	s_cselect_b32 vcc_lo, -1, 0
	s_delay_alu instid0(VALU_DEP_2) | instskip(NEXT) | instid1(VALU_DEP_1)
	v_pk_mul_f32 v[6:7], v[20:21], v[6:7] op_sel_hi:[0,1]
	v_pk_fma_f32 v[6:7], v[18:19], v[16:17], v[6:7]
	s_delay_alu instid0(VALU_DEP_1)
	v_dual_cndmask_b32 v9, v4, v6 :: v_dual_cndmask_b32 v8, v5, v7
	global_store_b64 v[2:3], v[8:9], off
.LBB71_56:
	s_wait_xcnt 0x0
	s_or_b32 exec_lo, exec_lo, s0
	global_wb scope:SCOPE_DEV
	s_wait_loadcnt 0x0
	s_wait_storecnt 0x0
	global_inv scope:SCOPE_DEV
	s_wait_loadcnt 0x0
	s_barrier_signal -1
	s_barrier_wait -1
	s_mov_b32 s0, exec_lo
	v_cmpx_eq_u32_e32 0, v0
	s_cbranch_execz .LBB71_58
; %bb.57:
	s_add_co_i32 s0, s20, s7
	s_delay_alu instid0(SALU_CYCLE_1)
	v_dual_mov_b32 v0, 1 :: v_dual_mov_b32 v1, s0
	global_store_b32 v1, v0, s[16:17] scale_offset scope:SCOPE_DEV
.LBB71_58:
	s_endpgm
	.section	.rodata,"a",@progbits
	.p2align	6, 0x0
	.amdhsa_kernel _ZN9rocsparseL5csrsmILj512ELj64ELb0Eli21rocsparse_complex_numIfEEEv20rocsparse_operation_T3_S4_NS_24const_host_device_scalarIT4_EEPKT2_PKS4_PKS6_PS6_lPiSC_PS4_21rocsparse_index_base_20rocsparse_fill_mode_20rocsparse_diag_type_b
		.amdhsa_group_segment_fixed_size 6144
		.amdhsa_private_segment_fixed_size 0
		.amdhsa_kernarg_size 104
		.amdhsa_user_sgpr_count 2
		.amdhsa_user_sgpr_dispatch_ptr 0
		.amdhsa_user_sgpr_queue_ptr 0
		.amdhsa_user_sgpr_kernarg_segment_ptr 1
		.amdhsa_user_sgpr_dispatch_id 0
		.amdhsa_user_sgpr_kernarg_preload_length 0
		.amdhsa_user_sgpr_kernarg_preload_offset 0
		.amdhsa_user_sgpr_private_segment_size 0
		.amdhsa_wavefront_size32 1
		.amdhsa_uses_dynamic_stack 0
		.amdhsa_enable_private_segment 0
		.amdhsa_system_sgpr_workgroup_id_x 1
		.amdhsa_system_sgpr_workgroup_id_y 0
		.amdhsa_system_sgpr_workgroup_id_z 0
		.amdhsa_system_sgpr_workgroup_info 0
		.amdhsa_system_vgpr_workitem_id 0
		.amdhsa_next_free_vgpr 26
		.amdhsa_next_free_sgpr 29
		.amdhsa_named_barrier_count 0
		.amdhsa_reserve_vcc 1
		.amdhsa_float_round_mode_32 0
		.amdhsa_float_round_mode_16_64 0
		.amdhsa_float_denorm_mode_32 3
		.amdhsa_float_denorm_mode_16_64 3
		.amdhsa_fp16_overflow 0
		.amdhsa_memory_ordered 1
		.amdhsa_forward_progress 1
		.amdhsa_inst_pref_size 18
		.amdhsa_round_robin_scheduling 0
		.amdhsa_exception_fp_ieee_invalid_op 0
		.amdhsa_exception_fp_denorm_src 0
		.amdhsa_exception_fp_ieee_div_zero 0
		.amdhsa_exception_fp_ieee_overflow 0
		.amdhsa_exception_fp_ieee_underflow 0
		.amdhsa_exception_fp_ieee_inexact 0
		.amdhsa_exception_int_div_zero 0
	.end_amdhsa_kernel
	.section	.text._ZN9rocsparseL5csrsmILj512ELj64ELb0Eli21rocsparse_complex_numIfEEEv20rocsparse_operation_T3_S4_NS_24const_host_device_scalarIT4_EEPKT2_PKS4_PKS6_PS6_lPiSC_PS4_21rocsparse_index_base_20rocsparse_fill_mode_20rocsparse_diag_type_b,"axG",@progbits,_ZN9rocsparseL5csrsmILj512ELj64ELb0Eli21rocsparse_complex_numIfEEEv20rocsparse_operation_T3_S4_NS_24const_host_device_scalarIT4_EEPKT2_PKS4_PKS6_PS6_lPiSC_PS4_21rocsparse_index_base_20rocsparse_fill_mode_20rocsparse_diag_type_b,comdat
.Lfunc_end71:
	.size	_ZN9rocsparseL5csrsmILj512ELj64ELb0Eli21rocsparse_complex_numIfEEEv20rocsparse_operation_T3_S4_NS_24const_host_device_scalarIT4_EEPKT2_PKS4_PKS6_PS6_lPiSC_PS4_21rocsparse_index_base_20rocsparse_fill_mode_20rocsparse_diag_type_b, .Lfunc_end71-_ZN9rocsparseL5csrsmILj512ELj64ELb0Eli21rocsparse_complex_numIfEEEv20rocsparse_operation_T3_S4_NS_24const_host_device_scalarIT4_EEPKT2_PKS4_PKS6_PS6_lPiSC_PS4_21rocsparse_index_base_20rocsparse_fill_mode_20rocsparse_diag_type_b
                                        ; -- End function
	.set _ZN9rocsparseL5csrsmILj512ELj64ELb0Eli21rocsparse_complex_numIfEEEv20rocsparse_operation_T3_S4_NS_24const_host_device_scalarIT4_EEPKT2_PKS4_PKS6_PS6_lPiSC_PS4_21rocsparse_index_base_20rocsparse_fill_mode_20rocsparse_diag_type_b.num_vgpr, 26
	.set _ZN9rocsparseL5csrsmILj512ELj64ELb0Eli21rocsparse_complex_numIfEEEv20rocsparse_operation_T3_S4_NS_24const_host_device_scalarIT4_EEPKT2_PKS4_PKS6_PS6_lPiSC_PS4_21rocsparse_index_base_20rocsparse_fill_mode_20rocsparse_diag_type_b.num_agpr, 0
	.set _ZN9rocsparseL5csrsmILj512ELj64ELb0Eli21rocsparse_complex_numIfEEEv20rocsparse_operation_T3_S4_NS_24const_host_device_scalarIT4_EEPKT2_PKS4_PKS6_PS6_lPiSC_PS4_21rocsparse_index_base_20rocsparse_fill_mode_20rocsparse_diag_type_b.numbered_sgpr, 29
	.set _ZN9rocsparseL5csrsmILj512ELj64ELb0Eli21rocsparse_complex_numIfEEEv20rocsparse_operation_T3_S4_NS_24const_host_device_scalarIT4_EEPKT2_PKS4_PKS6_PS6_lPiSC_PS4_21rocsparse_index_base_20rocsparse_fill_mode_20rocsparse_diag_type_b.num_named_barrier, 0
	.set _ZN9rocsparseL5csrsmILj512ELj64ELb0Eli21rocsparse_complex_numIfEEEv20rocsparse_operation_T3_S4_NS_24const_host_device_scalarIT4_EEPKT2_PKS4_PKS6_PS6_lPiSC_PS4_21rocsparse_index_base_20rocsparse_fill_mode_20rocsparse_diag_type_b.private_seg_size, 0
	.set _ZN9rocsparseL5csrsmILj512ELj64ELb0Eli21rocsparse_complex_numIfEEEv20rocsparse_operation_T3_S4_NS_24const_host_device_scalarIT4_EEPKT2_PKS4_PKS6_PS6_lPiSC_PS4_21rocsparse_index_base_20rocsparse_fill_mode_20rocsparse_diag_type_b.uses_vcc, 1
	.set _ZN9rocsparseL5csrsmILj512ELj64ELb0Eli21rocsparse_complex_numIfEEEv20rocsparse_operation_T3_S4_NS_24const_host_device_scalarIT4_EEPKT2_PKS4_PKS6_PS6_lPiSC_PS4_21rocsparse_index_base_20rocsparse_fill_mode_20rocsparse_diag_type_b.uses_flat_scratch, 0
	.set _ZN9rocsparseL5csrsmILj512ELj64ELb0Eli21rocsparse_complex_numIfEEEv20rocsparse_operation_T3_S4_NS_24const_host_device_scalarIT4_EEPKT2_PKS4_PKS6_PS6_lPiSC_PS4_21rocsparse_index_base_20rocsparse_fill_mode_20rocsparse_diag_type_b.has_dyn_sized_stack, 0
	.set _ZN9rocsparseL5csrsmILj512ELj64ELb0Eli21rocsparse_complex_numIfEEEv20rocsparse_operation_T3_S4_NS_24const_host_device_scalarIT4_EEPKT2_PKS4_PKS6_PS6_lPiSC_PS4_21rocsparse_index_base_20rocsparse_fill_mode_20rocsparse_diag_type_b.has_recursion, 0
	.set _ZN9rocsparseL5csrsmILj512ELj64ELb0Eli21rocsparse_complex_numIfEEEv20rocsparse_operation_T3_S4_NS_24const_host_device_scalarIT4_EEPKT2_PKS4_PKS6_PS6_lPiSC_PS4_21rocsparse_index_base_20rocsparse_fill_mode_20rocsparse_diag_type_b.has_indirect_call, 0
	.section	.AMDGPU.csdata,"",@progbits
; Kernel info:
; codeLenInByte = 2180
; TotalNumSgprs: 31
; NumVgprs: 26
; ScratchSize: 0
; MemoryBound: 0
; FloatMode: 240
; IeeeMode: 1
; LDSByteSize: 6144 bytes/workgroup (compile time only)
; SGPRBlocks: 0
; VGPRBlocks: 1
; NumSGPRsForWavesPerEU: 31
; NumVGPRsForWavesPerEU: 26
; NamedBarCnt: 0
; Occupancy: 16
; WaveLimiterHint : 1
; COMPUTE_PGM_RSRC2:SCRATCH_EN: 0
; COMPUTE_PGM_RSRC2:USER_SGPR: 2
; COMPUTE_PGM_RSRC2:TRAP_HANDLER: 0
; COMPUTE_PGM_RSRC2:TGID_X_EN: 1
; COMPUTE_PGM_RSRC2:TGID_Y_EN: 0
; COMPUTE_PGM_RSRC2:TGID_Z_EN: 0
; COMPUTE_PGM_RSRC2:TIDIG_COMP_CNT: 0
	.section	.text._ZN9rocsparseL5csrsmILj1024ELj64ELb1Eli21rocsparse_complex_numIfEEEv20rocsparse_operation_T3_S4_NS_24const_host_device_scalarIT4_EEPKT2_PKS4_PKS6_PS6_lPiSC_PS4_21rocsparse_index_base_20rocsparse_fill_mode_20rocsparse_diag_type_b,"axG",@progbits,_ZN9rocsparseL5csrsmILj1024ELj64ELb1Eli21rocsparse_complex_numIfEEEv20rocsparse_operation_T3_S4_NS_24const_host_device_scalarIT4_EEPKT2_PKS4_PKS6_PS6_lPiSC_PS4_21rocsparse_index_base_20rocsparse_fill_mode_20rocsparse_diag_type_b,comdat
	.globl	_ZN9rocsparseL5csrsmILj1024ELj64ELb1Eli21rocsparse_complex_numIfEEEv20rocsparse_operation_T3_S4_NS_24const_host_device_scalarIT4_EEPKT2_PKS4_PKS6_PS6_lPiSC_PS4_21rocsparse_index_base_20rocsparse_fill_mode_20rocsparse_diag_type_b ; -- Begin function _ZN9rocsparseL5csrsmILj1024ELj64ELb1Eli21rocsparse_complex_numIfEEEv20rocsparse_operation_T3_S4_NS_24const_host_device_scalarIT4_EEPKT2_PKS4_PKS6_PS6_lPiSC_PS4_21rocsparse_index_base_20rocsparse_fill_mode_20rocsparse_diag_type_b
	.p2align	8
	.type	_ZN9rocsparseL5csrsmILj1024ELj64ELb1Eli21rocsparse_complex_numIfEEEv20rocsparse_operation_T3_S4_NS_24const_host_device_scalarIT4_EEPKT2_PKS4_PKS6_PS6_lPiSC_PS4_21rocsparse_index_base_20rocsparse_fill_mode_20rocsparse_diag_type_b,@function
_ZN9rocsparseL5csrsmILj1024ELj64ELb1Eli21rocsparse_complex_numIfEEEv20rocsparse_operation_T3_S4_NS_24const_host_device_scalarIT4_EEPKT2_PKS4_PKS6_PS6_lPiSC_PS4_21rocsparse_index_base_20rocsparse_fill_mode_20rocsparse_diag_type_b: ; @_ZN9rocsparseL5csrsmILj1024ELj64ELb1Eli21rocsparse_complex_numIfEEEv20rocsparse_operation_T3_S4_NS_24const_host_device_scalarIT4_EEPKT2_PKS4_PKS6_PS6_lPiSC_PS4_21rocsparse_index_base_20rocsparse_fill_mode_20rocsparse_diag_type_b
; %bb.0:
	s_clause 0x1
	s_load_b128 s[4:7], s[0:1], 0x58
	s_load_b64 s[2:3], s[0:1], 0x10
	s_wait_kmcnt 0x0
	s_bitcmp1_b32 s7, 0
	s_mov_b32 s19, s2
	s_cselect_b32 s8, -1, 0
	s_delay_alu instid0(SALU_CYCLE_1)
	s_xor_b32 s7, s8, -1
	s_and_b32 vcc_lo, exec_lo, s8
	s_cbranch_vccnz .LBB72_2
; %bb.1:
	s_load_b32 s19, s[2:3], 0x0
.LBB72_2:
	s_clause 0x1
	s_load_b64 s[12:13], s[0:1], 0x18
	s_load_b64 s[8:9], s[0:1], 0x48
	s_and_not1_b32 vcc_lo, exec_lo, s7
	s_cbranch_vccnz .LBB72_4
; %bb.3:
	s_wait_xcnt 0x0
	s_load_b32 s3, s[2:3], 0x4
.LBB72_4:
	s_nop 0
	s_load_b96 s[16:18], s[0:1], 0x0
	s_bfe_u32 s10, ttmp6, 0x4000c
	s_and_b32 s7, ttmp6, 15
	s_add_co_i32 s10, s10, 1
	s_getreg_b32 s11, hwreg(HW_REG_IB_STS2, 6, 4)
	s_mul_i32 s10, ttmp9, s10
	s_delay_alu instid0(SALU_CYCLE_1) | instskip(SKIP_3) | instid1(SALU_CYCLE_2)
	s_add_co_i32 s7, s7, s10
	s_wait_kmcnt 0x0
	s_cvt_f32_u32 s2, s17
	s_sub_co_i32 s14, 0, s17
	v_rcp_iflag_f32_e32 v1, s2
	v_nop
	s_delay_alu instid0(TRANS32_DEP_1) | instskip(SKIP_1) | instid1(SALU_CYCLE_3)
	v_readfirstlane_b32 s2, v1
	s_mul_f32 s2, s2, 0x4f7ffffe
	s_cvt_u32_f32 s2, s2
	s_delay_alu instid0(SALU_CYCLE_3) | instskip(NEXT) | instid1(SALU_CYCLE_1)
	s_mul_i32 s14, s14, s2
	s_mul_hi_u32 s14, s2, s14
	s_delay_alu instid0(SALU_CYCLE_1) | instskip(SKIP_2) | instid1(SALU_CYCLE_1)
	s_add_co_i32 s2, s2, s14
	s_cmp_eq_u32 s11, 0
	s_cselect_b32 s10, ttmp9, s7
	s_mul_hi_u32 s2, s10, s2
	s_delay_alu instid0(SALU_CYCLE_1) | instskip(SKIP_2) | instid1(SALU_CYCLE_1)
	s_mul_i32 s7, s2, s17
	s_add_co_i32 s11, s2, 1
	s_sub_co_i32 s7, s10, s7
	s_sub_co_i32 s14, s7, s17
	s_cmp_ge_u32 s7, s17
	s_cselect_b32 s2, s11, s2
	s_cselect_b32 s7, s14, s7
	s_add_co_i32 s11, s2, 1
	s_cmp_ge_u32 s7, s17
	s_cselect_b32 s2, s11, s2
	s_delay_alu instid0(SALU_CYCLE_1) | instskip(SKIP_2) | instid1(SALU_CYCLE_1)
	s_mul_i32 s7, s2, s17
	v_lshl_or_b32 v4, s2, 10, v0
	s_sub_co_i32 s10, s10, s7
	s_ashr_i32 s11, s10, 31
	s_delay_alu instid0(VALU_DEP_1) | instskip(SKIP_1) | instid1(SALU_CYCLE_1)
	v_ashrrev_i32_e32 v5, 31, v4
	s_lshl_b64 s[10:11], s[10:11], 2
	s_add_nc_u64 s[14:15], s[8:9], s[10:11]
	s_load_b32 s20, s[14:15], 0x0
	s_load_b128 s[8:11], s[0:1], 0x30
	s_wait_kmcnt 0x0
	s_ashr_i32 s21, s20, 31
	v_mad_nc_u64_u32 v[2:3], s10, s20, v[4:5]
	s_lshl_b64 s[14:15], s[20:21], 3
	s_mul_i32 s2, s10, s21
	s_add_nc_u64 s[22:23], s[12:13], s[14:15]
	s_mul_i32 s17, s11, s20
	s_load_b128 s[12:15], s[22:23], 0x0
	s_cmp_lg_u32 s16, 0x71
	s_delay_alu instid0(VALU_DEP_1)
	v_add3_u32 v3, s2, s17, v3
	v_cmp_gt_i32_e64 s2, s18, v4
	s_cbranch_scc0 .LBB72_8
; %bb.5:
	v_mov_b64_e32 v[6:7], 0
	s_and_saveexec_b32 s16, s2
	s_cbranch_execz .LBB72_7
; %bb.6:
	v_lshl_add_u64 v[6:7], v[2:3], 3, s[8:9]
	s_xor_b32 s17, s3, 0x80000000
	s_delay_alu instid0(SALU_CYCLE_1) | instskip(SKIP_4) | instid1(VALU_DEP_1)
	v_dual_mov_b32 v9, s19 :: v_dual_mov_b32 v11, s17
	v_dual_mov_b32 v10, s19 :: v_dual_mov_b32 v8, s3
	global_load_b64 v[6:7], v[6:7], off
	s_wait_loadcnt 0x0
	v_pk_mul_f32 v[10:11], v[6:7], v[10:11] op_sel:[1,0]
	v_pk_fma_f32 v[6:7], v[8:9], v[6:7], v[10:11] op_sel_hi:[1,0,1]
.LBB72_7:
	s_or_b32 exec_lo, exec_lo, s16
	s_load_b64 s[16:17], s[0:1], 0x40
	s_cbranch_execz .LBB72_9
	s_branch .LBB72_12
.LBB72_8:
                                        ; implicit-def: $vgpr6_vgpr7
	s_load_b64 s[16:17], s[0:1], 0x40
.LBB72_9:
	v_mov_b64_e32 v[6:7], 0
	s_and_saveexec_b32 s21, s2
	s_cbranch_execz .LBB72_11
; %bb.10:
	v_lshl_add_u64 v[6:7], v[2:3], 3, s[8:9]
	s_mov_b32 s18, s3
	s_delay_alu instid0(SALU_CYCLE_1) | instskip(SKIP_3) | instid1(VALU_DEP_1)
	v_mov_b64_e32 v[8:9], s[18:19]
	global_load_b64 v[6:7], v[6:7], off
	s_wait_loadcnt 0x0
	v_pk_mul_f32 v[10:11], v[6:7], v[8:9] op_sel:[1,0] neg_hi:[1,0]
	v_pk_fma_f32 v[6:7], v[8:9], v[6:7], v[10:11] op_sel:[0,0,1] op_sel_hi:[1,0,0]
.LBB72_11:
	s_or_b32 exec_lo, exec_lo, s21
.LBB72_12:
	s_wait_kmcnt 0x0
	v_cmp_ge_i64_e64 s3, s[12:13], s[14:15]
	s_delay_alu instid0(VALU_DEP_2) | instskip(SKIP_1) | instid1(VALU_DEP_2)
	v_dual_mov_b32 v11, 1.0 :: v_dual_mov_b32 v10, v6
	v_dual_mov_b32 v17, v7 :: v_dual_mov_b32 v22, 0
	v_mov_b32_e32 v16, v11
	s_and_b32 vcc_lo, exec_lo, s3
	v_cmp_eq_u32_e64 s3, 0, v0
	s_cbranch_vccnz .LBB72_55
; %bb.13:
	s_clause 0x1
	s_load_b128 s[24:27], s[0:1], 0x20
	s_load_b64 s[18:19], s[0:1], 0x50
	v_dual_mov_b32 v6, 0 :: v_dual_lshlrev_b32 v12, 2, v0
	v_lshlrev_b32_e32 v8, 3, v0
	s_mov_b32 s23, 0
	s_mov_b32 s22, s4
	s_delay_alu instid0(VALU_DEP_2)
	v_dual_mov_b32 v13, v6 :: v_dual_mov_b32 v9, v6
	v_mov_b32_e32 v1, v6
	v_or_b32_e32 v23, 0x2000, v12
	v_lshl_add_u64 v[4:5], v[4:5], 3, s[8:9]
	s_cmp_eq_u32 s6, 0
	s_wait_xcnt 0x0
	s_sub_nc_u64 s[0:1], s[12:13], s[22:23]
	s_cselect_b32 s21, -1, 0
	s_sub_nc_u64 s[12:13], s[14:15], s[22:23]
	s_mov_b64 s[14:15], s[0:1]
	s_wait_kmcnt 0x0
	v_add_nc_u64_e32 v[12:13], s[24:25], v[12:13]
	v_add_nc_u64_e32 v[14:15], s[26:27], v[8:9]
	v_mov_b32_e32 v9, 0
	s_add_co_i32 s26, s20, s4
	s_sub_co_i32 s1, s14, s0
	s_delay_alu instid0(SALU_CYCLE_1) | instskip(NEXT) | instid1(SALU_CYCLE_1)
	s_and_b32 s1, s1, 0x3ff
	s_cmp_lg_u32 s1, 0
	s_cbranch_scc1 .LBB72_17
.LBB72_14:
	s_sub_nc_u64 s[22:23], s[12:13], s[14:15]
	v_dual_mov_b32 v19, 0 :: v_dual_mov_b32 v18, -1.0
	v_cmp_gt_i64_e32 vcc_lo, s[22:23], v[0:1]
	v_mov_b32_e32 v7, -1
	s_and_saveexec_b32 s22, vcc_lo
	s_cbranch_execz .LBB72_16
; %bb.15:
	v_lshl_add_u64 v[18:19], s[14:15], 2, v[12:13]
	global_load_b32 v7, v[18:19], off
	s_wait_xcnt 0x0
	v_lshl_add_u64 v[18:19], s[14:15], 3, v[14:15]
	global_load_b64 v[18:19], v[18:19], off
	s_wait_loadcnt 0x1
	v_subrev_nc_u32_e32 v7, s4, v7
.LBB72_16:
	s_wait_xcnt 0x0
	s_or_b32 exec_lo, exec_lo, s22
	ds_store_b32 v23, v7
	s_wait_loadcnt 0x0
	ds_store_b64 v8, v[18:19]
.LBB72_17:                              ; =>This Loop Header: Depth=1
                                        ;     Child Loop BB72_53 Depth 2
                                        ;       Child Loop BB72_54 Depth 3
	s_lshl_b32 s22, s1, 3
	s_wait_dscnt 0x0
	v_mov_b32_e32 v7, s22
	s_barrier_signal -1
	s_barrier_wait -1
	s_lshl_b32 s1, s1, 2
	ds_load_b64 v[18:19], v7
	v_mov_b32_e32 v7, s1
	ds_load_b32 v7, v7 offset:8192
	s_wait_dscnt 0x1
	v_readfirstlane_b32 s1, v18
	v_readfirstlane_b32 s24, v19
	s_cmp_eq_f32 s1, 0
	s_wait_dscnt 0x0
	v_readfirstlane_b32 s22, v7
	s_cselect_b32 s23, -1, 0
	s_cmp_eq_f32 s24, 0
	s_cselect_b32 s25, -1, 0
	s_delay_alu instid0(SALU_CYCLE_1)
	s_and_b32 s27, s23, s25
	s_cmp_eq_u32 s22, s20
	s_cselect_b32 s25, -1, 0
	s_cmp_lg_u32 s22, s20
	s_cselect_b32 s23, -1, 0
	s_and_b32 s27, s27, s25
	s_delay_alu instid0(SALU_CYCLE_1) | instskip(NEXT) | instid1(SALU_CYCLE_1)
	s_and_b32 s27, s21, s27
	s_and_b32 s28, s3, s27
	s_and_b32 s27, s27, exec_lo
	s_cselect_b32 s24, 0, s24
	s_cselect_b32 s1, 1.0, s1
	s_delay_alu instid0(SALU_CYCLE_1)
	v_dual_mov_b32 v24, s24 :: v_dual_mov_b32 v25, s1
	s_and_saveexec_b32 s1, s28
	s_cbranch_execz .LBB72_21
; %bb.18:                               ;   in Loop: Header=BB72_17 Depth=1
	v_mbcnt_lo_u32_b32 v7, exec_lo, 0
	s_mov_b32 s24, exec_lo
	s_delay_alu instid0(VALU_DEP_1)
	v_cmpx_eq_u32_e32 0, v7
	s_cbranch_execz .LBB72_20
; %bb.19:                               ;   in Loop: Header=BB72_17 Depth=1
	v_mov_b32_e32 v7, s26
	global_atomic_min_i32 v6, v7, s[18:19] scope:SCOPE_DEV
.LBB72_20:                              ;   in Loop: Header=BB72_17 Depth=1
	s_wait_xcnt 0x0
	s_or_b32 exec_lo, exec_lo, s24
	v_dual_mov_b32 v25, 1.0 :: v_dual_mov_b32 v24, 0
.LBB72_21:                              ;   in Loop: Header=BB72_17 Depth=1
	s_or_b32 exec_lo, exec_lo, s1
	s_mov_b32 s27, -1
	s_mov_b32 s1, 0
	s_cmp_lt_i32 s5, 1
	s_mov_b32 s24, 0
                                        ; implicit-def: $vgpr18_vgpr19
                                        ; implicit-def: $vgpr20_vgpr21
                                        ; implicit-def: $vgpr22
	s_cbranch_scc0 .LBB72_28
; %bb.22:                               ;   in Loop: Header=BB72_17 Depth=1
	s_and_b32 vcc_lo, exec_lo, s27
	s_mov_b32 s25, 4
	s_cbranch_vccnz .LBB72_35
.LBB72_23:                              ;   in Loop: Header=BB72_17 Depth=1
	s_and_b32 vcc_lo, exec_lo, s24
	s_cbranch_vccnz .LBB72_40
.LBB72_24:                              ;   in Loop: Header=BB72_17 Depth=1
	s_and_b32 vcc_lo, exec_lo, s1
	s_cbranch_vccnz .LBB72_45
.LBB72_25:                              ;   in Loop: Header=BB72_17 Depth=1
	s_mov_b32 s1, -1
	s_cmp_gt_i32 s25, 3
	s_mov_b32 s22, -1
	s_cbranch_scc0 .LBB72_48
.LBB72_26:                              ;   in Loop: Header=BB72_17 Depth=1
	s_and_not1_b32 vcc_lo, exec_lo, s22
	s_cbranch_vccz .LBB72_49
.LBB72_27:                              ;   in Loop: Header=BB72_17 Depth=1
	s_and_not1_b32 vcc_lo, exec_lo, s1
	s_cbranch_vccnz .LBB72_50
	s_branch .LBB72_56
.LBB72_28:                              ;   in Loop: Header=BB72_17 Depth=1
	s_cmp_eq_u32 s5, 1
	s_mov_b32 s24, -1
                                        ; implicit-def: $vgpr18_vgpr19
                                        ; implicit-def: $vgpr20_vgpr21
                                        ; implicit-def: $vgpr22
	s_cbranch_scc0 .LBB72_34
; %bb.29:                               ;   in Loop: Header=BB72_17 Depth=1
	v_mov_b64_e32 v[18:19], v[16:17]
	v_mov_b64_e32 v[20:21], v[10:11]
	v_mov_b32_e32 v22, v9
	s_cmp_ge_i32 s22, s20
	s_mov_b32 s24, 0
	s_cbranch_scc0 .LBB72_34
; %bb.30:                               ;   in Loop: Header=BB72_17 Depth=1
	s_and_b32 vcc_lo, exec_lo, s25
	s_mov_b32 s24, -1
                                        ; implicit-def: $vgpr18_vgpr19
                                        ; implicit-def: $vgpr20_vgpr21
                                        ; implicit-def: $vgpr22
	s_cbranch_vccz .LBB72_34
; %bb.31:                               ;   in Loop: Header=BB72_17 Depth=1
	v_mov_b64_e32 v[18:19], v[16:17]
	v_mov_b64_e32 v[20:21], v[10:11]
	v_mov_b32_e32 v22, v9
	s_and_not1_b32 vcc_lo, exec_lo, s21
	s_cbranch_vccnz .LBB72_33
; %bb.32:                               ;   in Loop: Header=BB72_17 Depth=1
	v_mul_f32_e32 v7, v24, v24
	s_delay_alu instid0(VALU_DEP_1) | instskip(NEXT) | instid1(VALU_DEP_1)
	v_fmac_f32_e32 v7, v25, v25
	v_div_scale_f32 v18, null, v7, v7, 1.0
	v_div_scale_f32 v21, vcc_lo, 1.0, v7, 1.0
	s_delay_alu instid0(VALU_DEP_2) | instskip(SKIP_1) | instid1(TRANS32_DEP_1)
	v_rcp_f32_e32 v19, v18
	v_nop
	v_fma_f32 v20, -v18, v19, 1.0
	s_delay_alu instid0(VALU_DEP_1) | instskip(NEXT) | instid1(VALU_DEP_1)
	v_fmac_f32_e32 v19, v20, v19
	v_mul_f32_e32 v20, v21, v19
	s_delay_alu instid0(VALU_DEP_1) | instskip(NEXT) | instid1(VALU_DEP_1)
	v_fma_f32 v22, -v18, v20, v21
	v_fmac_f32_e32 v20, v22, v19
	s_delay_alu instid0(VALU_DEP_1) | instskip(NEXT) | instid1(VALU_DEP_1)
	v_fma_f32 v18, -v18, v20, v21
	v_div_fmas_f32 v18, v18, v19, v20
	v_dual_fma_f32 v19, 0, v24, v25 :: v_dual_mov_b32 v20, v10
	s_delay_alu instid0(VALU_DEP_2) | instskip(SKIP_1) | instid1(VALU_DEP_1)
	v_div_fixup_f32 v7, v18, v7, 1.0
	v_fma_f32 v18, v25, 0, -v24
	v_dual_mul_f32 v21, v19, v7 :: v_dual_mul_f32 v22, v18, v7
	s_delay_alu instid0(VALU_DEP_1)
	v_dual_mov_b32 v19, v17 :: v_dual_mov_b32 v18, v21
.LBB72_33:                              ;   in Loop: Header=BB72_17 Depth=1
	s_mov_b32 s24, 0
.LBB72_34:                              ;   in Loop: Header=BB72_17 Depth=1
	s_mov_b32 s25, 4
	s_branch .LBB72_23
.LBB72_35:                              ;   in Loop: Header=BB72_17 Depth=1
	s_cmp_eq_u32 s5, 0
	s_cbranch_scc1 .LBB72_37
; %bb.36:                               ;   in Loop: Header=BB72_17 Depth=1
	s_mov_b32 s24, -1
	s_branch .LBB72_39
.LBB72_37:                              ;   in Loop: Header=BB72_17 Depth=1
	s_cmp_le_i32 s22, s20
	s_mov_b32 s24, 0
	s_cbranch_scc0 .LBB72_39
; %bb.38:                               ;   in Loop: Header=BB72_17 Depth=1
	s_mov_b32 s1, -1
	s_mov_b32 s24, s23
.LBB72_39:                              ;   in Loop: Header=BB72_17 Depth=1
	v_mov_b64_e32 v[18:19], v[16:17]
	v_mov_b64_e32 v[20:21], v[10:11]
	v_mov_b32_e32 v22, v9
	s_mov_b32 s25, 2
	s_and_b32 vcc_lo, exec_lo, s24
	s_cbranch_vccz .LBB72_24
.LBB72_40:                              ;   in Loop: Header=BB72_17 Depth=1
	s_and_saveexec_b32 s1, s3
	s_cbranch_execz .LBB72_42
; %bb.41:                               ;   in Loop: Header=BB72_17 Depth=1
	s_add_co_i32 s24, s22, s7
	s_delay_alu instid0(SALU_CYCLE_1)
	v_mov_b32_e32 v7, s24
	global_load_b32 v7, v7, s[16:17] scale_offset scope:SCOPE_DEV
	s_wait_loadcnt 0x0
	v_cmp_ne_u32_e32 vcc_lo, 0, v7
	s_cbranch_vccz .LBB72_51
.LBB72_42:                              ;   in Loop: Header=BB72_17 Depth=1
	s_wait_xcnt 0x0
	s_or_b32 exec_lo, exec_lo, s1
	v_dual_mov_b32 v7, v11 :: v_dual_mov_b32 v18, v11
	v_mov_b32_e32 v19, v6
	s_wait_storecnt 0x0
	s_barrier_signal -1
	s_delay_alu instid0(VALU_DEP_2)
	v_mov_b64_e32 v[20:21], v[6:7]
	s_barrier_wait -1
	global_inv scope:SCOPE_DEV
	s_and_saveexec_b32 s1, s2
	s_cbranch_execz .LBB72_44
; %bb.43:                               ;   in Loop: Header=BB72_17 Depth=1
	s_ashr_i32 s23, s22, 31
	s_delay_alu instid0(SALU_CYCLE_1) | instskip(NEXT) | instid1(SALU_CYCLE_1)
	s_mul_u64 s[22:23], s[10:11], s[22:23]
	v_lshl_add_u64 v[18:19], s[22:23], 3, v[4:5]
	global_load_b64 v[26:27], v[18:19], off
	s_wait_loadcnt 0x0
	v_dual_mov_b32 v18, v11 :: v_dual_fma_f32 v19, -v25, v26, v17
	v_dual_fma_f32 v7, -v24, v26, v10 :: v_dual_mov_b32 v21, v11
	s_delay_alu instid0(VALU_DEP_2) | instskip(NEXT) | instid1(VALU_DEP_2)
	v_fmac_f32_e32 v19, v24, v27
	v_fma_f32 v20, -v25, v27, v7
.LBB72_44:                              ;   in Loop: Header=BB72_17 Depth=1
	s_or_b32 exec_lo, exec_lo, s1
	v_mov_b32_e32 v22, v9
	s_mov_b32 s25, 0
	s_branch .LBB72_25
.LBB72_45:                              ;   in Loop: Header=BB72_17 Depth=1
	s_and_not1_b32 vcc_lo, exec_lo, s21
	s_cbranch_vccnz .LBB72_47
; %bb.46:                               ;   in Loop: Header=BB72_17 Depth=1
	v_mul_f32_e32 v7, v24, v24
	s_delay_alu instid0(VALU_DEP_1) | instskip(NEXT) | instid1(VALU_DEP_1)
	v_fmac_f32_e32 v7, v25, v25
	v_div_scale_f32 v9, null, v7, v7, 1.0
	v_div_scale_f32 v18, vcc_lo, 1.0, v7, 1.0
	s_delay_alu instid0(VALU_DEP_2) | instskip(SKIP_1) | instid1(TRANS32_DEP_1)
	v_rcp_f32_e32 v11, v9
	v_nop
	v_fma_f32 v16, -v9, v11, 1.0
	s_delay_alu instid0(VALU_DEP_1) | instskip(NEXT) | instid1(VALU_DEP_1)
	v_fmac_f32_e32 v11, v16, v11
	v_mul_f32_e32 v16, v18, v11
	s_delay_alu instid0(VALU_DEP_1) | instskip(NEXT) | instid1(VALU_DEP_1)
	v_fma_f32 v19, -v9, v16, v18
	v_fmac_f32_e32 v16, v19, v11
	s_delay_alu instid0(VALU_DEP_1) | instskip(NEXT) | instid1(VALU_DEP_1)
	v_fma_f32 v9, -v9, v16, v18
	v_div_fmas_f32 v9, v9, v11, v16
	v_fma_f32 v16, v25, 0, -v24
	s_delay_alu instid0(VALU_DEP_2) | instskip(SKIP_1) | instid1(VALU_DEP_1)
	v_div_fixup_f32 v7, v9, v7, 1.0
	v_fma_f32 v9, 0, v24, v25
	v_dual_mul_f32 v11, v9, v7 :: v_dual_mul_f32 v9, v16, v7
	s_delay_alu instid0(VALU_DEP_1)
	v_mov_b32_e32 v16, v11
.LBB72_47:                              ;   in Loop: Header=BB72_17 Depth=1
	v_mov_b64_e32 v[20:21], v[10:11]
	s_delay_alu instid0(VALU_DEP_2) | instskip(NEXT) | instid1(VALU_DEP_4)
	v_mov_b64_e32 v[18:19], v[16:17]
	v_mov_b32_e32 v22, v9
	s_mov_b32 s25, 2
	s_mov_b32 s1, -1
	s_cmp_gt_i32 s25, 3
	s_mov_b32 s22, -1
	s_cbranch_scc1 .LBB72_26
.LBB72_48:                              ;   in Loop: Header=BB72_17 Depth=1
	s_cmp_eq_u32 s25, 0
	s_cselect_b32 s22, -1, 0
	s_delay_alu instid0(SALU_CYCLE_1)
	s_and_not1_b32 vcc_lo, exec_lo, s22
	s_cbranch_vccnz .LBB72_27
.LBB72_49:                              ;   in Loop: Header=BB72_17 Depth=1
	s_add_nc_u64 s[14:15], s[14:15], 1
	s_delay_alu instid0(SALU_CYCLE_1)
	v_cmp_ge_i64_e64 s1, s[14:15], s[12:13]
	s_and_not1_b32 vcc_lo, exec_lo, s1
	s_cbranch_vccz .LBB72_56
.LBB72_50:                              ;   in Loop: Header=BB72_17 Depth=1
	v_mov_b32_e32 v9, v22
	v_mov_b64_e32 v[10:11], v[20:21]
	v_mov_b64_e32 v[16:17], v[18:19]
	s_sub_co_i32 s1, s14, s0
	s_delay_alu instid0(SALU_CYCLE_1) | instskip(NEXT) | instid1(SALU_CYCLE_1)
	s_and_b32 s1, s1, 0x3ff
	s_cmp_lg_u32 s1, 0
	s_cbranch_scc1 .LBB72_17
	s_branch .LBB72_14
.LBB72_51:                              ;   in Loop: Header=BB72_17 Depth=1
	s_ashr_i32 s25, s24, 31
	s_mov_b32 s23, 0
	s_lshl_b64 s[24:25], s[24:25], 2
	s_delay_alu instid0(SALU_CYCLE_1)
	s_add_nc_u64 s[24:25], s[16:17], s[24:25]
	s_branch .LBB72_53
.LBB72_52:                              ;   in Loop: Header=BB72_53 Depth=2
	global_load_b32 v7, v6, s[24:25] scope:SCOPE_DEV
	s_cmp_lt_u32 s23, 0xf43
	s_cselect_b32 s27, -1, 0
	s_delay_alu instid0(SALU_CYCLE_1)
	s_cmp_lg_u32 s27, 0
	s_add_co_ci_u32 s23, s23, 0
	s_wait_loadcnt 0x0
	v_cmp_ne_u32_e32 vcc_lo, 0, v7
	s_cbranch_vccnz .LBB72_42
.LBB72_53:                              ;   Parent Loop BB72_17 Depth=1
                                        ; =>  This Loop Header: Depth=2
                                        ;       Child Loop BB72_54 Depth 3
	s_cmp_eq_u32 s23, 0
	s_mov_b32 s27, s23
	s_cbranch_scc1 .LBB72_52
.LBB72_54:                              ;   Parent Loop BB72_17 Depth=1
                                        ;     Parent Loop BB72_53 Depth=2
                                        ; =>    This Inner Loop Header: Depth=3
	s_add_co_i32 s27, s27, -1
	s_sleep 1
	s_cmp_eq_u32 s27, 0
	s_cbranch_scc0 .LBB72_54
	s_branch .LBB72_52
.LBB72_55:
	v_mov_b64_e32 v[18:19], v[16:17]
	v_mov_b64_e32 v[20:21], v[10:11]
	s_and_saveexec_b32 s0, s2
	s_cbranch_execnz .LBB72_57
	s_branch .LBB72_58
.LBB72_56:
	v_dual_mov_b32 v6, v20 :: v_dual_mov_b32 v7, v19
	s_and_saveexec_b32 s0, s2
	s_cbranch_execz .LBB72_58
.LBB72_57:
	s_delay_alu instid0(VALU_DEP_1) | instskip(NEXT) | instid1(VALU_DEP_3)
	v_xor_b32_e32 v5, 0x80000000, v20
	v_mov_b32_e32 v4, v19
	s_cmp_eq_u32 s6, 0
	v_lshl_add_u64 v[2:3], v[2:3], 3, s[8:9]
	s_cselect_b32 vcc_lo, -1, 0
	s_delay_alu instid0(VALU_DEP_2) | instskip(NEXT) | instid1(VALU_DEP_1)
	v_pk_mul_f32 v[4:5], v[22:23], v[4:5] op_sel_hi:[0,1]
	v_pk_fma_f32 v[4:5], v[20:21], v[18:19], v[4:5]
	s_delay_alu instid0(VALU_DEP_1)
	v_dual_cndmask_b32 v9, v6, v4 :: v_dual_cndmask_b32 v8, v7, v5
	global_store_b64 v[2:3], v[8:9], off
.LBB72_58:
	s_wait_xcnt 0x0
	s_or_b32 exec_lo, exec_lo, s0
	global_wb scope:SCOPE_DEV
	s_wait_loadcnt 0x0
	s_wait_storecnt 0x0
	global_inv scope:SCOPE_DEV
	s_wait_loadcnt 0x0
	s_barrier_signal -1
	s_barrier_wait -1
	s_mov_b32 s0, exec_lo
	v_cmpx_eq_u32_e32 0, v0
	s_cbranch_execz .LBB72_60
; %bb.59:
	s_add_co_i32 s0, s20, s7
	s_delay_alu instid0(SALU_CYCLE_1)
	v_dual_mov_b32 v0, 1 :: v_dual_mov_b32 v1, s0
	global_store_b32 v1, v0, s[16:17] scale_offset scope:SCOPE_DEV
.LBB72_60:
	s_endpgm
	.section	.rodata,"a",@progbits
	.p2align	6, 0x0
	.amdhsa_kernel _ZN9rocsparseL5csrsmILj1024ELj64ELb1Eli21rocsparse_complex_numIfEEEv20rocsparse_operation_T3_S4_NS_24const_host_device_scalarIT4_EEPKT2_PKS4_PKS6_PS6_lPiSC_PS4_21rocsparse_index_base_20rocsparse_fill_mode_20rocsparse_diag_type_b
		.amdhsa_group_segment_fixed_size 12288
		.amdhsa_private_segment_fixed_size 0
		.amdhsa_kernarg_size 104
		.amdhsa_user_sgpr_count 2
		.amdhsa_user_sgpr_dispatch_ptr 0
		.amdhsa_user_sgpr_queue_ptr 0
		.amdhsa_user_sgpr_kernarg_segment_ptr 1
		.amdhsa_user_sgpr_dispatch_id 0
		.amdhsa_user_sgpr_kernarg_preload_length 0
		.amdhsa_user_sgpr_kernarg_preload_offset 0
		.amdhsa_user_sgpr_private_segment_size 0
		.amdhsa_wavefront_size32 1
		.amdhsa_uses_dynamic_stack 0
		.amdhsa_enable_private_segment 0
		.amdhsa_system_sgpr_workgroup_id_x 1
		.amdhsa_system_sgpr_workgroup_id_y 0
		.amdhsa_system_sgpr_workgroup_id_z 0
		.amdhsa_system_sgpr_workgroup_info 0
		.amdhsa_system_vgpr_workitem_id 0
		.amdhsa_next_free_vgpr 28
		.amdhsa_next_free_sgpr 29
		.amdhsa_named_barrier_count 0
		.amdhsa_reserve_vcc 1
		.amdhsa_float_round_mode_32 0
		.amdhsa_float_round_mode_16_64 0
		.amdhsa_float_denorm_mode_32 3
		.amdhsa_float_denorm_mode_16_64 3
		.amdhsa_fp16_overflow 0
		.amdhsa_memory_ordered 1
		.amdhsa_forward_progress 1
		.amdhsa_inst_pref_size 18
		.amdhsa_round_robin_scheduling 0
		.amdhsa_exception_fp_ieee_invalid_op 0
		.amdhsa_exception_fp_denorm_src 0
		.amdhsa_exception_fp_ieee_div_zero 0
		.amdhsa_exception_fp_ieee_overflow 0
		.amdhsa_exception_fp_ieee_underflow 0
		.amdhsa_exception_fp_ieee_inexact 0
		.amdhsa_exception_int_div_zero 0
	.end_amdhsa_kernel
	.section	.text._ZN9rocsparseL5csrsmILj1024ELj64ELb1Eli21rocsparse_complex_numIfEEEv20rocsparse_operation_T3_S4_NS_24const_host_device_scalarIT4_EEPKT2_PKS4_PKS6_PS6_lPiSC_PS4_21rocsparse_index_base_20rocsparse_fill_mode_20rocsparse_diag_type_b,"axG",@progbits,_ZN9rocsparseL5csrsmILj1024ELj64ELb1Eli21rocsparse_complex_numIfEEEv20rocsparse_operation_T3_S4_NS_24const_host_device_scalarIT4_EEPKT2_PKS4_PKS6_PS6_lPiSC_PS4_21rocsparse_index_base_20rocsparse_fill_mode_20rocsparse_diag_type_b,comdat
.Lfunc_end72:
	.size	_ZN9rocsparseL5csrsmILj1024ELj64ELb1Eli21rocsparse_complex_numIfEEEv20rocsparse_operation_T3_S4_NS_24const_host_device_scalarIT4_EEPKT2_PKS4_PKS6_PS6_lPiSC_PS4_21rocsparse_index_base_20rocsparse_fill_mode_20rocsparse_diag_type_b, .Lfunc_end72-_ZN9rocsparseL5csrsmILj1024ELj64ELb1Eli21rocsparse_complex_numIfEEEv20rocsparse_operation_T3_S4_NS_24const_host_device_scalarIT4_EEPKT2_PKS4_PKS6_PS6_lPiSC_PS4_21rocsparse_index_base_20rocsparse_fill_mode_20rocsparse_diag_type_b
                                        ; -- End function
	.set _ZN9rocsparseL5csrsmILj1024ELj64ELb1Eli21rocsparse_complex_numIfEEEv20rocsparse_operation_T3_S4_NS_24const_host_device_scalarIT4_EEPKT2_PKS4_PKS6_PS6_lPiSC_PS4_21rocsparse_index_base_20rocsparse_fill_mode_20rocsparse_diag_type_b.num_vgpr, 28
	.set _ZN9rocsparseL5csrsmILj1024ELj64ELb1Eli21rocsparse_complex_numIfEEEv20rocsparse_operation_T3_S4_NS_24const_host_device_scalarIT4_EEPKT2_PKS4_PKS6_PS6_lPiSC_PS4_21rocsparse_index_base_20rocsparse_fill_mode_20rocsparse_diag_type_b.num_agpr, 0
	.set _ZN9rocsparseL5csrsmILj1024ELj64ELb1Eli21rocsparse_complex_numIfEEEv20rocsparse_operation_T3_S4_NS_24const_host_device_scalarIT4_EEPKT2_PKS4_PKS6_PS6_lPiSC_PS4_21rocsparse_index_base_20rocsparse_fill_mode_20rocsparse_diag_type_b.numbered_sgpr, 29
	.set _ZN9rocsparseL5csrsmILj1024ELj64ELb1Eli21rocsparse_complex_numIfEEEv20rocsparse_operation_T3_S4_NS_24const_host_device_scalarIT4_EEPKT2_PKS4_PKS6_PS6_lPiSC_PS4_21rocsparse_index_base_20rocsparse_fill_mode_20rocsparse_diag_type_b.num_named_barrier, 0
	.set _ZN9rocsparseL5csrsmILj1024ELj64ELb1Eli21rocsparse_complex_numIfEEEv20rocsparse_operation_T3_S4_NS_24const_host_device_scalarIT4_EEPKT2_PKS4_PKS6_PS6_lPiSC_PS4_21rocsparse_index_base_20rocsparse_fill_mode_20rocsparse_diag_type_b.private_seg_size, 0
	.set _ZN9rocsparseL5csrsmILj1024ELj64ELb1Eli21rocsparse_complex_numIfEEEv20rocsparse_operation_T3_S4_NS_24const_host_device_scalarIT4_EEPKT2_PKS4_PKS6_PS6_lPiSC_PS4_21rocsparse_index_base_20rocsparse_fill_mode_20rocsparse_diag_type_b.uses_vcc, 1
	.set _ZN9rocsparseL5csrsmILj1024ELj64ELb1Eli21rocsparse_complex_numIfEEEv20rocsparse_operation_T3_S4_NS_24const_host_device_scalarIT4_EEPKT2_PKS4_PKS6_PS6_lPiSC_PS4_21rocsparse_index_base_20rocsparse_fill_mode_20rocsparse_diag_type_b.uses_flat_scratch, 0
	.set _ZN9rocsparseL5csrsmILj1024ELj64ELb1Eli21rocsparse_complex_numIfEEEv20rocsparse_operation_T3_S4_NS_24const_host_device_scalarIT4_EEPKT2_PKS4_PKS6_PS6_lPiSC_PS4_21rocsparse_index_base_20rocsparse_fill_mode_20rocsparse_diag_type_b.has_dyn_sized_stack, 0
	.set _ZN9rocsparseL5csrsmILj1024ELj64ELb1Eli21rocsparse_complex_numIfEEEv20rocsparse_operation_T3_S4_NS_24const_host_device_scalarIT4_EEPKT2_PKS4_PKS6_PS6_lPiSC_PS4_21rocsparse_index_base_20rocsparse_fill_mode_20rocsparse_diag_type_b.has_recursion, 0
	.set _ZN9rocsparseL5csrsmILj1024ELj64ELb1Eli21rocsparse_complex_numIfEEEv20rocsparse_operation_T3_S4_NS_24const_host_device_scalarIT4_EEPKT2_PKS4_PKS6_PS6_lPiSC_PS4_21rocsparse_index_base_20rocsparse_fill_mode_20rocsparse_diag_type_b.has_indirect_call, 0
	.section	.AMDGPU.csdata,"",@progbits
; Kernel info:
; codeLenInByte = 2244
; TotalNumSgprs: 31
; NumVgprs: 28
; ScratchSize: 0
; MemoryBound: 0
; FloatMode: 240
; IeeeMode: 1
; LDSByteSize: 12288 bytes/workgroup (compile time only)
; SGPRBlocks: 0
; VGPRBlocks: 1
; NumSGPRsForWavesPerEU: 31
; NumVGPRsForWavesPerEU: 28
; NamedBarCnt: 0
; Occupancy: 16
; WaveLimiterHint : 1
; COMPUTE_PGM_RSRC2:SCRATCH_EN: 0
; COMPUTE_PGM_RSRC2:USER_SGPR: 2
; COMPUTE_PGM_RSRC2:TRAP_HANDLER: 0
; COMPUTE_PGM_RSRC2:TGID_X_EN: 1
; COMPUTE_PGM_RSRC2:TGID_Y_EN: 0
; COMPUTE_PGM_RSRC2:TGID_Z_EN: 0
; COMPUTE_PGM_RSRC2:TIDIG_COMP_CNT: 0
	.section	.text._ZN9rocsparseL5csrsmILj1024ELj64ELb0Eli21rocsparse_complex_numIfEEEv20rocsparse_operation_T3_S4_NS_24const_host_device_scalarIT4_EEPKT2_PKS4_PKS6_PS6_lPiSC_PS4_21rocsparse_index_base_20rocsparse_fill_mode_20rocsparse_diag_type_b,"axG",@progbits,_ZN9rocsparseL5csrsmILj1024ELj64ELb0Eli21rocsparse_complex_numIfEEEv20rocsparse_operation_T3_S4_NS_24const_host_device_scalarIT4_EEPKT2_PKS4_PKS6_PS6_lPiSC_PS4_21rocsparse_index_base_20rocsparse_fill_mode_20rocsparse_diag_type_b,comdat
	.globl	_ZN9rocsparseL5csrsmILj1024ELj64ELb0Eli21rocsparse_complex_numIfEEEv20rocsparse_operation_T3_S4_NS_24const_host_device_scalarIT4_EEPKT2_PKS4_PKS6_PS6_lPiSC_PS4_21rocsparse_index_base_20rocsparse_fill_mode_20rocsparse_diag_type_b ; -- Begin function _ZN9rocsparseL5csrsmILj1024ELj64ELb0Eli21rocsparse_complex_numIfEEEv20rocsparse_operation_T3_S4_NS_24const_host_device_scalarIT4_EEPKT2_PKS4_PKS6_PS6_lPiSC_PS4_21rocsparse_index_base_20rocsparse_fill_mode_20rocsparse_diag_type_b
	.p2align	8
	.type	_ZN9rocsparseL5csrsmILj1024ELj64ELb0Eli21rocsparse_complex_numIfEEEv20rocsparse_operation_T3_S4_NS_24const_host_device_scalarIT4_EEPKT2_PKS4_PKS6_PS6_lPiSC_PS4_21rocsparse_index_base_20rocsparse_fill_mode_20rocsparse_diag_type_b,@function
_ZN9rocsparseL5csrsmILj1024ELj64ELb0Eli21rocsparse_complex_numIfEEEv20rocsparse_operation_T3_S4_NS_24const_host_device_scalarIT4_EEPKT2_PKS4_PKS6_PS6_lPiSC_PS4_21rocsparse_index_base_20rocsparse_fill_mode_20rocsparse_diag_type_b: ; @_ZN9rocsparseL5csrsmILj1024ELj64ELb0Eli21rocsparse_complex_numIfEEEv20rocsparse_operation_T3_S4_NS_24const_host_device_scalarIT4_EEPKT2_PKS4_PKS6_PS6_lPiSC_PS4_21rocsparse_index_base_20rocsparse_fill_mode_20rocsparse_diag_type_b
; %bb.0:
	s_clause 0x1
	s_load_b128 s[4:7], s[0:1], 0x58
	s_load_b64 s[2:3], s[0:1], 0x10
	s_wait_kmcnt 0x0
	s_bitcmp1_b32 s7, 0
	s_mov_b32 s19, s2
	s_cselect_b32 s8, -1, 0
	s_delay_alu instid0(SALU_CYCLE_1)
	s_xor_b32 s7, s8, -1
	s_and_b32 vcc_lo, exec_lo, s8
	s_cbranch_vccnz .LBB73_2
; %bb.1:
	s_load_b32 s19, s[2:3], 0x0
.LBB73_2:
	s_clause 0x1
	s_load_b64 s[12:13], s[0:1], 0x18
	s_load_b64 s[8:9], s[0:1], 0x48
	s_and_not1_b32 vcc_lo, exec_lo, s7
	s_cbranch_vccnz .LBB73_4
; %bb.3:
	s_wait_xcnt 0x0
	s_load_b32 s3, s[2:3], 0x4
.LBB73_4:
	s_nop 0
	s_load_b96 s[16:18], s[0:1], 0x0
	s_bfe_u32 s10, ttmp6, 0x4000c
	s_and_b32 s7, ttmp6, 15
	s_add_co_i32 s10, s10, 1
	s_getreg_b32 s11, hwreg(HW_REG_IB_STS2, 6, 4)
	s_mul_i32 s10, ttmp9, s10
	s_delay_alu instid0(SALU_CYCLE_1) | instskip(SKIP_3) | instid1(SALU_CYCLE_2)
	s_add_co_i32 s7, s7, s10
	s_wait_kmcnt 0x0
	s_cvt_f32_u32 s2, s17
	s_sub_co_i32 s14, 0, s17
	v_rcp_iflag_f32_e32 v1, s2
	v_nop
	s_delay_alu instid0(TRANS32_DEP_1) | instskip(SKIP_1) | instid1(SALU_CYCLE_3)
	v_readfirstlane_b32 s2, v1
	s_mul_f32 s2, s2, 0x4f7ffffe
	s_cvt_u32_f32 s2, s2
	s_delay_alu instid0(SALU_CYCLE_3) | instskip(NEXT) | instid1(SALU_CYCLE_1)
	s_mul_i32 s14, s14, s2
	s_mul_hi_u32 s14, s2, s14
	s_delay_alu instid0(SALU_CYCLE_1) | instskip(SKIP_2) | instid1(SALU_CYCLE_1)
	s_add_co_i32 s2, s2, s14
	s_cmp_eq_u32 s11, 0
	s_cselect_b32 s10, ttmp9, s7
	s_mul_hi_u32 s2, s10, s2
	s_delay_alu instid0(SALU_CYCLE_1) | instskip(SKIP_2) | instid1(SALU_CYCLE_1)
	s_mul_i32 s7, s2, s17
	s_add_co_i32 s11, s2, 1
	s_sub_co_i32 s7, s10, s7
	s_sub_co_i32 s14, s7, s17
	s_cmp_ge_u32 s7, s17
	s_cselect_b32 s2, s11, s2
	s_cselect_b32 s7, s14, s7
	s_add_co_i32 s11, s2, 1
	s_cmp_ge_u32 s7, s17
	s_cselect_b32 s2, s11, s2
	s_delay_alu instid0(SALU_CYCLE_1) | instskip(SKIP_2) | instid1(SALU_CYCLE_1)
	s_mul_i32 s7, s2, s17
	v_lshl_or_b32 v4, s2, 10, v0
	s_sub_co_i32 s10, s10, s7
	s_ashr_i32 s11, s10, 31
	s_delay_alu instid0(VALU_DEP_1) | instskip(SKIP_1) | instid1(SALU_CYCLE_1)
	v_ashrrev_i32_e32 v5, 31, v4
	s_lshl_b64 s[10:11], s[10:11], 2
	s_add_nc_u64 s[14:15], s[8:9], s[10:11]
	s_load_b32 s20, s[14:15], 0x0
	s_load_b128 s[8:11], s[0:1], 0x30
	s_wait_kmcnt 0x0
	s_ashr_i32 s21, s20, 31
	v_mad_nc_u64_u32 v[2:3], s10, s20, v[4:5]
	s_lshl_b64 s[14:15], s[20:21], 3
	s_mul_i32 s2, s10, s21
	s_add_nc_u64 s[22:23], s[12:13], s[14:15]
	s_mul_i32 s17, s11, s20
	s_load_b128 s[12:15], s[22:23], 0x0
	s_cmp_lg_u32 s16, 0x71
	s_delay_alu instid0(VALU_DEP_1)
	v_add3_u32 v3, s2, s17, v3
	v_cmp_gt_i32_e64 s2, s18, v4
	s_cbranch_scc0 .LBB73_8
; %bb.5:
	v_mov_b64_e32 v[6:7], 0
	s_and_saveexec_b32 s16, s2
	s_cbranch_execz .LBB73_7
; %bb.6:
	v_lshl_add_u64 v[6:7], v[2:3], 3, s[8:9]
	s_xor_b32 s17, s3, 0x80000000
	s_delay_alu instid0(SALU_CYCLE_1) | instskip(SKIP_4) | instid1(VALU_DEP_1)
	v_dual_mov_b32 v9, s19 :: v_dual_mov_b32 v11, s17
	v_dual_mov_b32 v10, s19 :: v_dual_mov_b32 v8, s3
	global_load_b64 v[6:7], v[6:7], off
	s_wait_loadcnt 0x0
	v_pk_mul_f32 v[10:11], v[6:7], v[10:11] op_sel:[1,0]
	v_pk_fma_f32 v[6:7], v[8:9], v[6:7], v[10:11] op_sel_hi:[1,0,1]
.LBB73_7:
	s_or_b32 exec_lo, exec_lo, s16
	s_load_b64 s[16:17], s[0:1], 0x40
	s_cbranch_execz .LBB73_9
	s_branch .LBB73_12
.LBB73_8:
                                        ; implicit-def: $vgpr6_vgpr7
	s_load_b64 s[16:17], s[0:1], 0x40
.LBB73_9:
	v_mov_b64_e32 v[6:7], 0
	s_and_saveexec_b32 s21, s2
	s_cbranch_execz .LBB73_11
; %bb.10:
	v_lshl_add_u64 v[6:7], v[2:3], 3, s[8:9]
	s_mov_b32 s18, s3
	s_delay_alu instid0(SALU_CYCLE_1) | instskip(SKIP_3) | instid1(VALU_DEP_1)
	v_mov_b64_e32 v[8:9], s[18:19]
	global_load_b64 v[6:7], v[6:7], off
	s_wait_loadcnt 0x0
	v_pk_mul_f32 v[10:11], v[6:7], v[8:9] op_sel:[1,0] neg_hi:[1,0]
	v_pk_fma_f32 v[6:7], v[8:9], v[6:7], v[10:11] op_sel:[0,0,1] op_sel_hi:[1,0,0]
.LBB73_11:
	s_or_b32 exec_lo, exec_lo, s21
.LBB73_12:
	s_wait_kmcnt 0x0
	v_cmp_ge_i64_e64 s3, s[12:13], s[14:15]
	s_delay_alu instid0(VALU_DEP_2) | instskip(SKIP_1) | instid1(VALU_DEP_2)
	v_dual_mov_b32 v11, 1.0 :: v_dual_mov_b32 v10, v6
	v_dual_mov_b32 v17, v7 :: v_dual_mov_b32 v22, 0
	v_mov_b32_e32 v16, v11
	s_and_b32 vcc_lo, exec_lo, s3
	v_cmp_eq_u32_e64 s3, 0, v0
	s_cbranch_vccnz .LBB73_53
; %bb.13:
	s_clause 0x1
	s_load_b128 s[24:27], s[0:1], 0x20
	s_load_b64 s[18:19], s[0:1], 0x50
	v_dual_mov_b32 v6, 0 :: v_dual_lshlrev_b32 v12, 2, v0
	v_lshlrev_b32_e32 v8, 3, v0
	s_mov_b32 s23, 0
	s_mov_b32 s22, s4
	s_delay_alu instid0(VALU_DEP_2)
	v_dual_mov_b32 v13, v6 :: v_dual_mov_b32 v9, v6
	v_mov_b32_e32 v1, v6
	v_or_b32_e32 v23, 0x2000, v12
	v_lshl_add_u64 v[4:5], v[4:5], 3, s[8:9]
	s_cmp_eq_u32 s6, 0
	s_wait_xcnt 0x0
	s_sub_nc_u64 s[0:1], s[12:13], s[22:23]
	s_cselect_b32 s21, -1, 0
	s_sub_nc_u64 s[12:13], s[14:15], s[22:23]
	s_mov_b64 s[14:15], s[0:1]
	s_wait_kmcnt 0x0
	v_add_nc_u64_e32 v[12:13], s[24:25], v[12:13]
	v_add_nc_u64_e32 v[14:15], s[26:27], v[8:9]
	v_mov_b32_e32 v9, 0
	s_add_co_i32 s26, s20, s4
	s_sub_co_i32 s1, s14, s0
	s_delay_alu instid0(SALU_CYCLE_1) | instskip(NEXT) | instid1(SALU_CYCLE_1)
	s_and_b32 s1, s1, 0x3ff
	s_cmp_lg_u32 s1, 0
	s_cbranch_scc1 .LBB73_17
.LBB73_14:
	s_sub_nc_u64 s[22:23], s[12:13], s[14:15]
	v_dual_mov_b32 v19, 0 :: v_dual_mov_b32 v18, -1.0
	v_cmp_gt_i64_e32 vcc_lo, s[22:23], v[0:1]
	v_mov_b32_e32 v7, -1
	s_and_saveexec_b32 s22, vcc_lo
	s_cbranch_execz .LBB73_16
; %bb.15:
	v_lshl_add_u64 v[18:19], s[14:15], 2, v[12:13]
	global_load_b32 v7, v[18:19], off
	s_wait_xcnt 0x0
	v_lshl_add_u64 v[18:19], s[14:15], 3, v[14:15]
	global_load_b64 v[18:19], v[18:19], off
	s_wait_loadcnt 0x1
	v_subrev_nc_u32_e32 v7, s4, v7
.LBB73_16:
	s_wait_xcnt 0x0
	s_or_b32 exec_lo, exec_lo, s22
	ds_store_b32 v23, v7
	s_wait_loadcnt 0x0
	ds_store_b64 v8, v[18:19]
.LBB73_17:                              ; =>This Loop Header: Depth=1
                                        ;     Child Loop BB73_43 Depth 2
	s_lshl_b32 s22, s1, 3
	s_wait_dscnt 0x0
	v_mov_b32_e32 v7, s22
	s_barrier_signal -1
	s_barrier_wait -1
	s_lshl_b32 s1, s1, 2
	ds_load_b64 v[18:19], v7
	v_mov_b32_e32 v7, s1
	ds_load_b32 v7, v7 offset:8192
	s_wait_dscnt 0x1
	v_readfirstlane_b32 s1, v18
	v_readfirstlane_b32 s24, v19
	s_cmp_eq_f32 s1, 0
	s_wait_dscnt 0x0
	v_readfirstlane_b32 s22, v7
	s_cselect_b32 s23, -1, 0
	s_cmp_eq_f32 s24, 0
	s_cselect_b32 s25, -1, 0
	s_delay_alu instid0(SALU_CYCLE_1)
	s_and_b32 s27, s23, s25
	s_cmp_eq_u32 s22, s20
	s_cselect_b32 s25, -1, 0
	s_cmp_lg_u32 s22, s20
	s_cselect_b32 s23, -1, 0
	s_and_b32 s27, s27, s25
	s_delay_alu instid0(SALU_CYCLE_1) | instskip(NEXT) | instid1(SALU_CYCLE_1)
	s_and_b32 s27, s21, s27
	s_and_b32 s28, s3, s27
	s_and_b32 s27, s27, exec_lo
	s_cselect_b32 s24, 0, s24
	s_cselect_b32 s1, 1.0, s1
	s_delay_alu instid0(SALU_CYCLE_1)
	v_dual_mov_b32 v24, s24 :: v_dual_mov_b32 v25, s1
	s_and_saveexec_b32 s1, s28
	s_cbranch_execz .LBB73_21
; %bb.18:                               ;   in Loop: Header=BB73_17 Depth=1
	v_mbcnt_lo_u32_b32 v7, exec_lo, 0
	s_mov_b32 s24, exec_lo
	s_delay_alu instid0(VALU_DEP_1)
	v_cmpx_eq_u32_e32 0, v7
	s_cbranch_execz .LBB73_20
; %bb.19:                               ;   in Loop: Header=BB73_17 Depth=1
	v_mov_b32_e32 v7, s26
	global_atomic_min_i32 v6, v7, s[18:19] scope:SCOPE_DEV
.LBB73_20:                              ;   in Loop: Header=BB73_17 Depth=1
	s_wait_xcnt 0x0
	s_or_b32 exec_lo, exec_lo, s24
	v_dual_mov_b32 v25, 1.0 :: v_dual_mov_b32 v24, 0
.LBB73_21:                              ;   in Loop: Header=BB73_17 Depth=1
	s_or_b32 exec_lo, exec_lo, s1
	s_mov_b32 s27, -1
	s_mov_b32 s1, 0
	s_cmp_lt_i32 s5, 1
	s_mov_b32 s24, 0
                                        ; implicit-def: $vgpr18_vgpr19
                                        ; implicit-def: $vgpr20_vgpr21
                                        ; implicit-def: $vgpr22
	s_cbranch_scc0 .LBB73_28
; %bb.22:                               ;   in Loop: Header=BB73_17 Depth=1
	s_and_b32 vcc_lo, exec_lo, s27
	s_mov_b32 s25, 4
	s_cbranch_vccnz .LBB73_35
.LBB73_23:                              ;   in Loop: Header=BB73_17 Depth=1
	s_and_b32 vcc_lo, exec_lo, s24
	s_cbranch_vccnz .LBB73_40
.LBB73_24:                              ;   in Loop: Header=BB73_17 Depth=1
	s_and_b32 vcc_lo, exec_lo, s1
	s_cbranch_vccnz .LBB73_47
.LBB73_25:                              ;   in Loop: Header=BB73_17 Depth=1
	s_mov_b32 s1, -1
	s_cmp_gt_i32 s25, 3
	s_mov_b32 s22, -1
	s_cbranch_scc0 .LBB73_50
.LBB73_26:                              ;   in Loop: Header=BB73_17 Depth=1
	s_and_not1_b32 vcc_lo, exec_lo, s22
	s_cbranch_vccz .LBB73_51
.LBB73_27:                              ;   in Loop: Header=BB73_17 Depth=1
	s_and_not1_b32 vcc_lo, exec_lo, s1
	s_cbranch_vccnz .LBB73_52
	s_branch .LBB73_54
.LBB73_28:                              ;   in Loop: Header=BB73_17 Depth=1
	s_cmp_eq_u32 s5, 1
	s_mov_b32 s24, -1
                                        ; implicit-def: $vgpr18_vgpr19
                                        ; implicit-def: $vgpr20_vgpr21
                                        ; implicit-def: $vgpr22
	s_cbranch_scc0 .LBB73_34
; %bb.29:                               ;   in Loop: Header=BB73_17 Depth=1
	v_mov_b64_e32 v[18:19], v[16:17]
	v_mov_b64_e32 v[20:21], v[10:11]
	v_mov_b32_e32 v22, v9
	s_cmp_ge_i32 s22, s20
	s_mov_b32 s24, 0
	s_cbranch_scc0 .LBB73_34
; %bb.30:                               ;   in Loop: Header=BB73_17 Depth=1
	s_and_b32 vcc_lo, exec_lo, s25
	s_mov_b32 s24, -1
                                        ; implicit-def: $vgpr18_vgpr19
                                        ; implicit-def: $vgpr20_vgpr21
                                        ; implicit-def: $vgpr22
	s_cbranch_vccz .LBB73_34
; %bb.31:                               ;   in Loop: Header=BB73_17 Depth=1
	v_mov_b64_e32 v[18:19], v[16:17]
	v_mov_b64_e32 v[20:21], v[10:11]
	v_mov_b32_e32 v22, v9
	s_and_not1_b32 vcc_lo, exec_lo, s21
	s_cbranch_vccnz .LBB73_33
; %bb.32:                               ;   in Loop: Header=BB73_17 Depth=1
	v_mul_f32_e32 v7, v24, v24
	s_delay_alu instid0(VALU_DEP_1) | instskip(NEXT) | instid1(VALU_DEP_1)
	v_fmac_f32_e32 v7, v25, v25
	v_div_scale_f32 v18, null, v7, v7, 1.0
	v_div_scale_f32 v21, vcc_lo, 1.0, v7, 1.0
	s_delay_alu instid0(VALU_DEP_2) | instskip(SKIP_1) | instid1(TRANS32_DEP_1)
	v_rcp_f32_e32 v19, v18
	v_nop
	v_fma_f32 v20, -v18, v19, 1.0
	s_delay_alu instid0(VALU_DEP_1) | instskip(NEXT) | instid1(VALU_DEP_1)
	v_fmac_f32_e32 v19, v20, v19
	v_mul_f32_e32 v20, v21, v19
	s_delay_alu instid0(VALU_DEP_1) | instskip(NEXT) | instid1(VALU_DEP_1)
	v_fma_f32 v22, -v18, v20, v21
	v_fmac_f32_e32 v20, v22, v19
	s_delay_alu instid0(VALU_DEP_1) | instskip(NEXT) | instid1(VALU_DEP_1)
	v_fma_f32 v18, -v18, v20, v21
	v_div_fmas_f32 v18, v18, v19, v20
	v_dual_fma_f32 v19, 0, v24, v25 :: v_dual_mov_b32 v20, v10
	s_delay_alu instid0(VALU_DEP_2) | instskip(SKIP_1) | instid1(VALU_DEP_1)
	v_div_fixup_f32 v7, v18, v7, 1.0
	v_fma_f32 v18, v25, 0, -v24
	v_dual_mul_f32 v21, v19, v7 :: v_dual_mul_f32 v22, v18, v7
	s_delay_alu instid0(VALU_DEP_1)
	v_dual_mov_b32 v19, v17 :: v_dual_mov_b32 v18, v21
.LBB73_33:                              ;   in Loop: Header=BB73_17 Depth=1
	s_mov_b32 s24, 0
.LBB73_34:                              ;   in Loop: Header=BB73_17 Depth=1
	s_mov_b32 s25, 4
	s_branch .LBB73_23
.LBB73_35:                              ;   in Loop: Header=BB73_17 Depth=1
	s_cmp_eq_u32 s5, 0
	s_cbranch_scc1 .LBB73_37
; %bb.36:                               ;   in Loop: Header=BB73_17 Depth=1
	s_mov_b32 s24, -1
	s_branch .LBB73_39
.LBB73_37:                              ;   in Loop: Header=BB73_17 Depth=1
	s_cmp_le_i32 s22, s20
	s_mov_b32 s24, 0
	s_cbranch_scc0 .LBB73_39
; %bb.38:                               ;   in Loop: Header=BB73_17 Depth=1
	s_mov_b32 s1, -1
	s_mov_b32 s24, s23
.LBB73_39:                              ;   in Loop: Header=BB73_17 Depth=1
	v_mov_b64_e32 v[18:19], v[16:17]
	v_mov_b64_e32 v[20:21], v[10:11]
	v_mov_b32_e32 v22, v9
	s_mov_b32 s25, 2
	s_and_b32 vcc_lo, exec_lo, s24
	s_cbranch_vccz .LBB73_24
.LBB73_40:                              ;   in Loop: Header=BB73_17 Depth=1
	s_and_saveexec_b32 s1, s3
	s_cbranch_execz .LBB73_44
; %bb.41:                               ;   in Loop: Header=BB73_17 Depth=1
	s_add_co_i32 s24, s22, s7
	s_delay_alu instid0(SALU_CYCLE_1)
	v_mov_b32_e32 v7, s24
	global_load_b32 v7, v7, s[16:17] scale_offset scope:SCOPE_DEV
	s_wait_loadcnt 0x0
	v_cmp_ne_u32_e32 vcc_lo, 0, v7
	s_cbranch_vccnz .LBB73_44
; %bb.42:                               ;   in Loop: Header=BB73_17 Depth=1
	s_ashr_i32 s25, s24, 31
	s_delay_alu instid0(SALU_CYCLE_1) | instskip(NEXT) | instid1(SALU_CYCLE_1)
	s_lshl_b64 s[24:25], s[24:25], 2
	s_add_nc_u64 s[24:25], s[16:17], s[24:25]
.LBB73_43:                              ;   Parent Loop BB73_17 Depth=1
                                        ; =>  This Inner Loop Header: Depth=2
	global_load_b32 v7, v6, s[24:25] scope:SCOPE_DEV
	s_wait_loadcnt 0x0
	v_cmp_eq_u32_e32 vcc_lo, 0, v7
	s_cbranch_vccnz .LBB73_43
.LBB73_44:                              ;   in Loop: Header=BB73_17 Depth=1
	s_wait_xcnt 0x0
	s_or_b32 exec_lo, exec_lo, s1
	v_dual_mov_b32 v7, v11 :: v_dual_mov_b32 v18, v11
	v_mov_b32_e32 v19, v6
	s_wait_storecnt 0x0
	s_barrier_signal -1
	s_delay_alu instid0(VALU_DEP_2)
	v_mov_b64_e32 v[20:21], v[6:7]
	s_barrier_wait -1
	global_inv scope:SCOPE_DEV
	s_and_saveexec_b32 s1, s2
	s_cbranch_execz .LBB73_46
; %bb.45:                               ;   in Loop: Header=BB73_17 Depth=1
	s_ashr_i32 s23, s22, 31
	s_delay_alu instid0(SALU_CYCLE_1) | instskip(NEXT) | instid1(SALU_CYCLE_1)
	s_mul_u64 s[22:23], s[10:11], s[22:23]
	v_lshl_add_u64 v[18:19], s[22:23], 3, v[4:5]
	global_load_b64 v[26:27], v[18:19], off
	s_wait_loadcnt 0x0
	v_dual_mov_b32 v18, v11 :: v_dual_fma_f32 v19, -v25, v26, v17
	v_dual_fma_f32 v7, -v24, v26, v10 :: v_dual_mov_b32 v21, v11
	s_delay_alu instid0(VALU_DEP_2) | instskip(NEXT) | instid1(VALU_DEP_2)
	v_fmac_f32_e32 v19, v24, v27
	v_fma_f32 v20, -v25, v27, v7
.LBB73_46:                              ;   in Loop: Header=BB73_17 Depth=1
	s_or_b32 exec_lo, exec_lo, s1
	v_mov_b32_e32 v22, v9
	s_mov_b32 s25, 0
	s_branch .LBB73_25
.LBB73_47:                              ;   in Loop: Header=BB73_17 Depth=1
	s_and_not1_b32 vcc_lo, exec_lo, s21
	s_cbranch_vccnz .LBB73_49
; %bb.48:                               ;   in Loop: Header=BB73_17 Depth=1
	v_mul_f32_e32 v7, v24, v24
	s_delay_alu instid0(VALU_DEP_1) | instskip(NEXT) | instid1(VALU_DEP_1)
	v_fmac_f32_e32 v7, v25, v25
	v_div_scale_f32 v9, null, v7, v7, 1.0
	v_div_scale_f32 v18, vcc_lo, 1.0, v7, 1.0
	s_delay_alu instid0(VALU_DEP_2) | instskip(SKIP_1) | instid1(TRANS32_DEP_1)
	v_rcp_f32_e32 v11, v9
	v_nop
	v_fma_f32 v16, -v9, v11, 1.0
	s_delay_alu instid0(VALU_DEP_1) | instskip(NEXT) | instid1(VALU_DEP_1)
	v_fmac_f32_e32 v11, v16, v11
	v_mul_f32_e32 v16, v18, v11
	s_delay_alu instid0(VALU_DEP_1) | instskip(NEXT) | instid1(VALU_DEP_1)
	v_fma_f32 v19, -v9, v16, v18
	v_fmac_f32_e32 v16, v19, v11
	s_delay_alu instid0(VALU_DEP_1) | instskip(NEXT) | instid1(VALU_DEP_1)
	v_fma_f32 v9, -v9, v16, v18
	v_div_fmas_f32 v9, v9, v11, v16
	v_fma_f32 v16, v25, 0, -v24
	s_delay_alu instid0(VALU_DEP_2) | instskip(SKIP_1) | instid1(VALU_DEP_1)
	v_div_fixup_f32 v7, v9, v7, 1.0
	v_fma_f32 v9, 0, v24, v25
	v_dual_mul_f32 v11, v9, v7 :: v_dual_mul_f32 v9, v16, v7
	s_delay_alu instid0(VALU_DEP_1)
	v_mov_b32_e32 v16, v11
.LBB73_49:                              ;   in Loop: Header=BB73_17 Depth=1
	v_mov_b64_e32 v[20:21], v[10:11]
	s_delay_alu instid0(VALU_DEP_2) | instskip(NEXT) | instid1(VALU_DEP_4)
	v_mov_b64_e32 v[18:19], v[16:17]
	v_mov_b32_e32 v22, v9
	s_mov_b32 s25, 2
	s_mov_b32 s1, -1
	s_cmp_gt_i32 s25, 3
	s_mov_b32 s22, -1
	s_cbranch_scc1 .LBB73_26
.LBB73_50:                              ;   in Loop: Header=BB73_17 Depth=1
	s_cmp_eq_u32 s25, 0
	s_cselect_b32 s22, -1, 0
	s_delay_alu instid0(SALU_CYCLE_1)
	s_and_not1_b32 vcc_lo, exec_lo, s22
	s_cbranch_vccnz .LBB73_27
.LBB73_51:                              ;   in Loop: Header=BB73_17 Depth=1
	s_add_nc_u64 s[14:15], s[14:15], 1
	s_delay_alu instid0(SALU_CYCLE_1)
	v_cmp_ge_i64_e64 s1, s[14:15], s[12:13]
	s_and_not1_b32 vcc_lo, exec_lo, s1
	s_cbranch_vccz .LBB73_54
.LBB73_52:                              ;   in Loop: Header=BB73_17 Depth=1
	v_mov_b32_e32 v9, v22
	v_mov_b64_e32 v[10:11], v[20:21]
	v_mov_b64_e32 v[16:17], v[18:19]
	s_sub_co_i32 s1, s14, s0
	s_delay_alu instid0(SALU_CYCLE_1) | instskip(NEXT) | instid1(SALU_CYCLE_1)
	s_and_b32 s1, s1, 0x3ff
	s_cmp_lg_u32 s1, 0
	s_cbranch_scc1 .LBB73_17
	s_branch .LBB73_14
.LBB73_53:
	v_mov_b64_e32 v[18:19], v[16:17]
	v_mov_b64_e32 v[20:21], v[10:11]
	s_and_saveexec_b32 s0, s2
	s_cbranch_execnz .LBB73_55
	s_branch .LBB73_56
.LBB73_54:
	v_dual_mov_b32 v6, v20 :: v_dual_mov_b32 v7, v19
	s_and_saveexec_b32 s0, s2
	s_cbranch_execz .LBB73_56
.LBB73_55:
	s_delay_alu instid0(VALU_DEP_1) | instskip(NEXT) | instid1(VALU_DEP_3)
	v_xor_b32_e32 v5, 0x80000000, v20
	v_mov_b32_e32 v4, v19
	s_cmp_eq_u32 s6, 0
	v_lshl_add_u64 v[2:3], v[2:3], 3, s[8:9]
	s_cselect_b32 vcc_lo, -1, 0
	s_delay_alu instid0(VALU_DEP_2) | instskip(NEXT) | instid1(VALU_DEP_1)
	v_pk_mul_f32 v[4:5], v[22:23], v[4:5] op_sel_hi:[0,1]
	v_pk_fma_f32 v[4:5], v[20:21], v[18:19], v[4:5]
	s_delay_alu instid0(VALU_DEP_1)
	v_dual_cndmask_b32 v9, v6, v4 :: v_dual_cndmask_b32 v8, v7, v5
	global_store_b64 v[2:3], v[8:9], off
.LBB73_56:
	s_wait_xcnt 0x0
	s_or_b32 exec_lo, exec_lo, s0
	global_wb scope:SCOPE_DEV
	s_wait_loadcnt 0x0
	s_wait_storecnt 0x0
	global_inv scope:SCOPE_DEV
	s_wait_loadcnt 0x0
	s_barrier_signal -1
	s_barrier_wait -1
	s_mov_b32 s0, exec_lo
	v_cmpx_eq_u32_e32 0, v0
	s_cbranch_execz .LBB73_58
; %bb.57:
	s_add_co_i32 s0, s20, s7
	s_delay_alu instid0(SALU_CYCLE_1)
	v_dual_mov_b32 v0, 1 :: v_dual_mov_b32 v1, s0
	global_store_b32 v1, v0, s[16:17] scale_offset scope:SCOPE_DEV
.LBB73_58:
	s_endpgm
	.section	.rodata,"a",@progbits
	.p2align	6, 0x0
	.amdhsa_kernel _ZN9rocsparseL5csrsmILj1024ELj64ELb0Eli21rocsparse_complex_numIfEEEv20rocsparse_operation_T3_S4_NS_24const_host_device_scalarIT4_EEPKT2_PKS4_PKS6_PS6_lPiSC_PS4_21rocsparse_index_base_20rocsparse_fill_mode_20rocsparse_diag_type_b
		.amdhsa_group_segment_fixed_size 12288
		.amdhsa_private_segment_fixed_size 0
		.amdhsa_kernarg_size 104
		.amdhsa_user_sgpr_count 2
		.amdhsa_user_sgpr_dispatch_ptr 0
		.amdhsa_user_sgpr_queue_ptr 0
		.amdhsa_user_sgpr_kernarg_segment_ptr 1
		.amdhsa_user_sgpr_dispatch_id 0
		.amdhsa_user_sgpr_kernarg_preload_length 0
		.amdhsa_user_sgpr_kernarg_preload_offset 0
		.amdhsa_user_sgpr_private_segment_size 0
		.amdhsa_wavefront_size32 1
		.amdhsa_uses_dynamic_stack 0
		.amdhsa_enable_private_segment 0
		.amdhsa_system_sgpr_workgroup_id_x 1
		.amdhsa_system_sgpr_workgroup_id_y 0
		.amdhsa_system_sgpr_workgroup_id_z 0
		.amdhsa_system_sgpr_workgroup_info 0
		.amdhsa_system_vgpr_workitem_id 0
		.amdhsa_next_free_vgpr 28
		.amdhsa_next_free_sgpr 29
		.amdhsa_named_barrier_count 0
		.amdhsa_reserve_vcc 1
		.amdhsa_float_round_mode_32 0
		.amdhsa_float_round_mode_16_64 0
		.amdhsa_float_denorm_mode_32 3
		.amdhsa_float_denorm_mode_16_64 3
		.amdhsa_fp16_overflow 0
		.amdhsa_memory_ordered 1
		.amdhsa_forward_progress 1
		.amdhsa_inst_pref_size 18
		.amdhsa_round_robin_scheduling 0
		.amdhsa_exception_fp_ieee_invalid_op 0
		.amdhsa_exception_fp_denorm_src 0
		.amdhsa_exception_fp_ieee_div_zero 0
		.amdhsa_exception_fp_ieee_overflow 0
		.amdhsa_exception_fp_ieee_underflow 0
		.amdhsa_exception_fp_ieee_inexact 0
		.amdhsa_exception_int_div_zero 0
	.end_amdhsa_kernel
	.section	.text._ZN9rocsparseL5csrsmILj1024ELj64ELb0Eli21rocsparse_complex_numIfEEEv20rocsparse_operation_T3_S4_NS_24const_host_device_scalarIT4_EEPKT2_PKS4_PKS6_PS6_lPiSC_PS4_21rocsparse_index_base_20rocsparse_fill_mode_20rocsparse_diag_type_b,"axG",@progbits,_ZN9rocsparseL5csrsmILj1024ELj64ELb0Eli21rocsparse_complex_numIfEEEv20rocsparse_operation_T3_S4_NS_24const_host_device_scalarIT4_EEPKT2_PKS4_PKS6_PS6_lPiSC_PS4_21rocsparse_index_base_20rocsparse_fill_mode_20rocsparse_diag_type_b,comdat
.Lfunc_end73:
	.size	_ZN9rocsparseL5csrsmILj1024ELj64ELb0Eli21rocsparse_complex_numIfEEEv20rocsparse_operation_T3_S4_NS_24const_host_device_scalarIT4_EEPKT2_PKS4_PKS6_PS6_lPiSC_PS4_21rocsparse_index_base_20rocsparse_fill_mode_20rocsparse_diag_type_b, .Lfunc_end73-_ZN9rocsparseL5csrsmILj1024ELj64ELb0Eli21rocsparse_complex_numIfEEEv20rocsparse_operation_T3_S4_NS_24const_host_device_scalarIT4_EEPKT2_PKS4_PKS6_PS6_lPiSC_PS4_21rocsparse_index_base_20rocsparse_fill_mode_20rocsparse_diag_type_b
                                        ; -- End function
	.set _ZN9rocsparseL5csrsmILj1024ELj64ELb0Eli21rocsparse_complex_numIfEEEv20rocsparse_operation_T3_S4_NS_24const_host_device_scalarIT4_EEPKT2_PKS4_PKS6_PS6_lPiSC_PS4_21rocsparse_index_base_20rocsparse_fill_mode_20rocsparse_diag_type_b.num_vgpr, 28
	.set _ZN9rocsparseL5csrsmILj1024ELj64ELb0Eli21rocsparse_complex_numIfEEEv20rocsparse_operation_T3_S4_NS_24const_host_device_scalarIT4_EEPKT2_PKS4_PKS6_PS6_lPiSC_PS4_21rocsparse_index_base_20rocsparse_fill_mode_20rocsparse_diag_type_b.num_agpr, 0
	.set _ZN9rocsparseL5csrsmILj1024ELj64ELb0Eli21rocsparse_complex_numIfEEEv20rocsparse_operation_T3_S4_NS_24const_host_device_scalarIT4_EEPKT2_PKS4_PKS6_PS6_lPiSC_PS4_21rocsparse_index_base_20rocsparse_fill_mode_20rocsparse_diag_type_b.numbered_sgpr, 29
	.set _ZN9rocsparseL5csrsmILj1024ELj64ELb0Eli21rocsparse_complex_numIfEEEv20rocsparse_operation_T3_S4_NS_24const_host_device_scalarIT4_EEPKT2_PKS4_PKS6_PS6_lPiSC_PS4_21rocsparse_index_base_20rocsparse_fill_mode_20rocsparse_diag_type_b.num_named_barrier, 0
	.set _ZN9rocsparseL5csrsmILj1024ELj64ELb0Eli21rocsparse_complex_numIfEEEv20rocsparse_operation_T3_S4_NS_24const_host_device_scalarIT4_EEPKT2_PKS4_PKS6_PS6_lPiSC_PS4_21rocsparse_index_base_20rocsparse_fill_mode_20rocsparse_diag_type_b.private_seg_size, 0
	.set _ZN9rocsparseL5csrsmILj1024ELj64ELb0Eli21rocsparse_complex_numIfEEEv20rocsparse_operation_T3_S4_NS_24const_host_device_scalarIT4_EEPKT2_PKS4_PKS6_PS6_lPiSC_PS4_21rocsparse_index_base_20rocsparse_fill_mode_20rocsparse_diag_type_b.uses_vcc, 1
	.set _ZN9rocsparseL5csrsmILj1024ELj64ELb0Eli21rocsparse_complex_numIfEEEv20rocsparse_operation_T3_S4_NS_24const_host_device_scalarIT4_EEPKT2_PKS4_PKS6_PS6_lPiSC_PS4_21rocsparse_index_base_20rocsparse_fill_mode_20rocsparse_diag_type_b.uses_flat_scratch, 0
	.set _ZN9rocsparseL5csrsmILj1024ELj64ELb0Eli21rocsparse_complex_numIfEEEv20rocsparse_operation_T3_S4_NS_24const_host_device_scalarIT4_EEPKT2_PKS4_PKS6_PS6_lPiSC_PS4_21rocsparse_index_base_20rocsparse_fill_mode_20rocsparse_diag_type_b.has_dyn_sized_stack, 0
	.set _ZN9rocsparseL5csrsmILj1024ELj64ELb0Eli21rocsparse_complex_numIfEEEv20rocsparse_operation_T3_S4_NS_24const_host_device_scalarIT4_EEPKT2_PKS4_PKS6_PS6_lPiSC_PS4_21rocsparse_index_base_20rocsparse_fill_mode_20rocsparse_diag_type_b.has_recursion, 0
	.set _ZN9rocsparseL5csrsmILj1024ELj64ELb0Eli21rocsparse_complex_numIfEEEv20rocsparse_operation_T3_S4_NS_24const_host_device_scalarIT4_EEPKT2_PKS4_PKS6_PS6_lPiSC_PS4_21rocsparse_index_base_20rocsparse_fill_mode_20rocsparse_diag_type_b.has_indirect_call, 0
	.section	.AMDGPU.csdata,"",@progbits
; Kernel info:
; codeLenInByte = 2180
; TotalNumSgprs: 31
; NumVgprs: 28
; ScratchSize: 0
; MemoryBound: 0
; FloatMode: 240
; IeeeMode: 1
; LDSByteSize: 12288 bytes/workgroup (compile time only)
; SGPRBlocks: 0
; VGPRBlocks: 1
; NumSGPRsForWavesPerEU: 31
; NumVGPRsForWavesPerEU: 28
; NamedBarCnt: 0
; Occupancy: 16
; WaveLimiterHint : 1
; COMPUTE_PGM_RSRC2:SCRATCH_EN: 0
; COMPUTE_PGM_RSRC2:USER_SGPR: 2
; COMPUTE_PGM_RSRC2:TRAP_HANDLER: 0
; COMPUTE_PGM_RSRC2:TGID_X_EN: 1
; COMPUTE_PGM_RSRC2:TGID_Y_EN: 0
; COMPUTE_PGM_RSRC2:TGID_Z_EN: 0
; COMPUTE_PGM_RSRC2:TIDIG_COMP_CNT: 0
	.section	.text._ZN9rocsparseL5csrsmILj64ELj64ELb1Eli21rocsparse_complex_numIdEEEv20rocsparse_operation_T3_S4_NS_24const_host_device_scalarIT4_EEPKT2_PKS4_PKS6_PS6_lPiSC_PS4_21rocsparse_index_base_20rocsparse_fill_mode_20rocsparse_diag_type_b,"axG",@progbits,_ZN9rocsparseL5csrsmILj64ELj64ELb1Eli21rocsparse_complex_numIdEEEv20rocsparse_operation_T3_S4_NS_24const_host_device_scalarIT4_EEPKT2_PKS4_PKS6_PS6_lPiSC_PS4_21rocsparse_index_base_20rocsparse_fill_mode_20rocsparse_diag_type_b,comdat
	.globl	_ZN9rocsparseL5csrsmILj64ELj64ELb1Eli21rocsparse_complex_numIdEEEv20rocsparse_operation_T3_S4_NS_24const_host_device_scalarIT4_EEPKT2_PKS4_PKS6_PS6_lPiSC_PS4_21rocsparse_index_base_20rocsparse_fill_mode_20rocsparse_diag_type_b ; -- Begin function _ZN9rocsparseL5csrsmILj64ELj64ELb1Eli21rocsparse_complex_numIdEEEv20rocsparse_operation_T3_S4_NS_24const_host_device_scalarIT4_EEPKT2_PKS4_PKS6_PS6_lPiSC_PS4_21rocsparse_index_base_20rocsparse_fill_mode_20rocsparse_diag_type_b
	.p2align	8
	.type	_ZN9rocsparseL5csrsmILj64ELj64ELb1Eli21rocsparse_complex_numIdEEEv20rocsparse_operation_T3_S4_NS_24const_host_device_scalarIT4_EEPKT2_PKS4_PKS6_PS6_lPiSC_PS4_21rocsparse_index_base_20rocsparse_fill_mode_20rocsparse_diag_type_b,@function
_ZN9rocsparseL5csrsmILj64ELj64ELb1Eli21rocsparse_complex_numIdEEEv20rocsparse_operation_T3_S4_NS_24const_host_device_scalarIT4_EEPKT2_PKS4_PKS6_PS6_lPiSC_PS4_21rocsparse_index_base_20rocsparse_fill_mode_20rocsparse_diag_type_b: ; @_ZN9rocsparseL5csrsmILj64ELj64ELb1Eli21rocsparse_complex_numIdEEEv20rocsparse_operation_T3_S4_NS_24const_host_device_scalarIT4_EEPKT2_PKS4_PKS6_PS6_lPiSC_PS4_21rocsparse_index_base_20rocsparse_fill_mode_20rocsparse_diag_type_b
; %bb.0:
	s_clause 0x1
	s_load_b128 s[4:7], s[0:1], 0x60
	s_load_b128 s[8:11], s[0:1], 0x10
	v_mbcnt_lo_u32_b32 v1, -1, 0
	s_clause 0x1
	s_load_b64 s[2:3], s[0:1], 0x20
	s_load_b64 s[12:13], s[0:1], 0x50
	s_delay_alu instid0(VALU_DEP_1) | instskip(NEXT) | instid1(VALU_DEP_1)
	v_dual_mov_b32 v2, 0 :: v_dual_lshlrev_b32 v3, 20, v1
	v_add_nc_u64_e32 v[2:3], src_flat_scratch_base_lo, v[2:3]
	s_wait_kmcnt 0x0
	s_bitcmp1_b32 s7, 0
	v_mov_b64_e32 v[4:5], s[8:9]
	s_cselect_b32 vcc_lo, -1, 0
	v_mov_b64_e32 v[8:9], s[10:11]
	s_delay_alu instid0(VALU_DEP_3)
	v_cndmask_b32_e32 v3, s9, v3, vcc_lo
	v_cndmask_b32_e32 v2, s8, v2, vcc_lo
	s_and_b32 vcc_lo, exec_lo, vcc_lo
	scratch_store_b64 off, v[4:5], off
	flat_load_b64 v[6:7], v[2:3]
	s_cbranch_vccnz .LBB74_2
; %bb.1:
	v_mov_b32_e32 v1, 0
	flat_load_b64 v[8:9], v1, s[8:9] offset:8
.LBB74_2:
	s_load_b96 s[16:18], s[0:1], 0x0
	s_bfe_u32 s9, ttmp6, 0x4000c
	s_and_b32 s8, ttmp6, 15
	s_add_co_i32 s9, s9, 1
	s_getreg_b32 s11, hwreg(HW_REG_IB_STS2, 6, 4)
	s_mul_i32 s9, ttmp9, s9
	s_delay_alu instid0(SALU_CYCLE_1) | instskip(SKIP_3) | instid1(SALU_CYCLE_2)
	s_add_co_i32 s8, s8, s9
	s_wait_kmcnt 0x0
	s_cvt_f32_u32 s7, s17
	s_sub_co_i32 s10, 0, s17
	v_rcp_iflag_f32_e32 v1, s7
	v_nop
	s_delay_alu instid0(TRANS32_DEP_1) | instskip(SKIP_1) | instid1(SALU_CYCLE_3)
	v_readfirstlane_b32 s7, v1
	s_mul_f32 s7, s7, 0x4f7ffffe
	s_cvt_u32_f32 s7, s7
	s_delay_alu instid0(SALU_CYCLE_3) | instskip(NEXT) | instid1(SALU_CYCLE_1)
	s_mul_i32 s10, s10, s7
	s_mul_hi_u32 s10, s7, s10
	s_delay_alu instid0(SALU_CYCLE_1) | instskip(SKIP_2) | instid1(SALU_CYCLE_1)
	s_add_co_i32 s7, s7, s10
	s_cmp_eq_u32 s11, 0
	s_cselect_b32 s8, ttmp9, s8
	s_mul_hi_u32 s7, s8, s7
	s_delay_alu instid0(SALU_CYCLE_1) | instskip(SKIP_2) | instid1(SALU_CYCLE_1)
	s_mul_i32 s9, s7, s17
	s_add_co_i32 s10, s7, 1
	s_sub_co_i32 s9, s8, s9
	s_sub_co_i32 s11, s9, s17
	s_cmp_ge_u32 s9, s17
	s_cselect_b32 s7, s10, s7
	s_cselect_b32 s9, s11, s9
	s_add_co_i32 s10, s7, 1
	s_cmp_ge_u32 s9, s17
	s_cselect_b32 s19, s10, s7
	s_delay_alu instid0(SALU_CYCLE_1) | instskip(SKIP_2) | instid1(SALU_CYCLE_1)
	s_mul_i32 s7, s19, s17
	v_lshl_or_b32 v10, s19, 6, v0
	s_sub_co_i32 s8, s8, s7
	s_ashr_i32 s9, s8, 31
	s_delay_alu instid0(VALU_DEP_1) | instskip(SKIP_1) | instid1(SALU_CYCLE_1)
	v_ashrrev_i32_e32 v11, 31, v10
	s_lshl_b64 s[8:9], s[8:9], 2
	s_add_nc_u64 s[12:13], s[12:13], s[8:9]
	s_load_b32 s20, s[12:13], 0x0
	s_load_b128 s[8:11], s[0:1], 0x38
	s_wait_kmcnt 0x0
	s_ashr_i32 s21, s20, 31
	s_delay_alu instid0(SALU_CYCLE_1)
	s_lshl_b64 s[12:13], s[20:21], 3
	s_mul_u64 s[22:23], s[10:11], s[20:21]
	s_add_nc_u64 s[2:3], s[2:3], s[12:13]
	v_add_nc_u64_e32 v[12:13], s[22:23], v[10:11]
	s_load_b128 s[12:15], s[2:3], 0x0
	s_wait_xcnt 0x0
	v_cmp_gt_i32_e64 s2, s18, v10
	s_cmp_lg_u32 s16, 0x71
	s_cbranch_scc0 .LBB74_6
; %bb.3:
	v_mov_b64_e32 v[4:5], 0
	v_mov_b64_e32 v[2:3], 0
	s_and_saveexec_b32 s3, s2
	s_cbranch_execz .LBB74_5
; %bb.4:
	v_lshl_add_u64 v[2:3], v[12:13], 4, s[8:9]
	global_load_b128 v[14:17], v[2:3], off
	s_wait_loadcnt_dscnt 0x0
	v_mul_f64_e64 v[2:3], v[16:17], -v[8:9]
	v_mul_f64_e32 v[4:5], v[6:7], v[16:17]
	s_delay_alu instid0(VALU_DEP_2) | instskip(NEXT) | instid1(VALU_DEP_2)
	v_fmac_f64_e32 v[2:3], v[6:7], v[14:15]
	v_fmac_f64_e32 v[4:5], v[8:9], v[14:15]
.LBB74_5:
	s_or_b32 exec_lo, exec_lo, s3
	s_load_b64 s[16:17], s[0:1], 0x48
	s_cbranch_execz .LBB74_7
	s_branch .LBB74_10
.LBB74_6:
                                        ; implicit-def: $vgpr4_vgpr5
	s_load_b64 s[16:17], s[0:1], 0x48
.LBB74_7:
	v_mov_b64_e32 v[4:5], 0
	v_mov_b64_e32 v[2:3], 0
	s_and_saveexec_b32 s3, s2
	s_cbranch_execz .LBB74_9
; %bb.8:
	v_lshl_add_u64 v[2:3], v[12:13], 4, s[8:9]
	global_load_b128 v[12:15], v[2:3], off
	s_wait_loadcnt_dscnt 0x0
	v_mul_f64_e32 v[2:3], v[8:9], v[14:15]
	v_mul_f64_e64 v[4:5], v[6:7], -v[14:15]
	s_delay_alu instid0(VALU_DEP_2) | instskip(NEXT) | instid1(VALU_DEP_2)
	v_fmac_f64_e32 v[2:3], v[6:7], v[12:13]
	v_fmac_f64_e32 v[4:5], v[8:9], v[12:13]
.LBB74_9:
	s_or_b32 exec_lo, exec_lo, s3
.LBB74_10:
	s_wait_kmcnt 0x0
	v_cmp_ge_i64_e64 s3, s[12:13], s[14:15]
	v_lshl_add_u64 v[10:11], v[10:11], 4, s[8:9]
	s_and_b32 vcc_lo, exec_lo, s3
	v_cmp_eq_u32_e64 s3, 0, v0
	s_cbranch_vccnz .LBB74_53
; %bb.11:
	s_clause 0x1
	s_load_b128 s[24:27], s[0:1], 0x28
	s_load_b64 s[8:9], s[0:1], 0x58
	s_wait_loadcnt_dscnt 0x0
	v_dual_mov_b32 v1, 0 :: v_dual_lshlrev_b32 v6, 2, v0
	v_lshlrev_b32_e32 v12, 4, v0
	v_mov_b64_e32 v[18:19], 1.0
	v_mov_b64_e32 v[20:21], 0
	s_delay_alu instid0(VALU_DEP_4)
	v_dual_mov_b32 v7, v1 :: v_dual_mov_b32 v13, v1
	s_wait_xcnt 0x0
	s_mov_b32 s1, 0
	s_mov_b32 s0, s4
	v_or_b32_e32 v30, 0x400, v6
	s_cmp_eq_u32 s6, 0
	s_sub_nc_u64 s[12:13], s[12:13], s[0:1]
	s_cselect_b32 s21, -1, 0
	s_sub_nc_u64 s[14:15], s[14:15], s[0:1]
	s_mov_b64 s[18:19], s[12:13]
	s_wait_kmcnt 0x0
	v_add_nc_u64_e32 v[14:15], s[24:25], v[6:7]
	v_add_nc_u64_e32 v[16:17], s[26:27], v[12:13]
	s_add_co_i32 s26, s20, s4
	s_sub_co_i32 s0, s18, s12
	s_delay_alu instid0(SALU_CYCLE_1) | instskip(NEXT) | instid1(SALU_CYCLE_1)
	s_and_b32 s1, s0, 63
	s_cmp_lg_u32 s1, 0
	s_cbranch_scc1 .LBB74_15
.LBB74_12:
	v_mov_b64_e32 v[6:7], -1.0
	v_mov_b64_e32 v[8:9], 0
	v_mov_b32_e32 v13, -1
	s_sub_nc_u64 s[24:25], s[14:15], s[18:19]
	s_mov_b32 s0, exec_lo
	v_cmpx_gt_i64_e64 s[24:25], v[0:1]
	s_cbranch_execz .LBB74_14
; %bb.13:
	v_lshl_add_u64 v[6:7], s[18:19], 2, v[14:15]
	global_load_b32 v13, v[6:7], off
	s_wait_xcnt 0x0
	v_lshl_add_u64 v[6:7], s[18:19], 4, v[16:17]
	global_load_b128 v[6:9], v[6:7], off
	s_wait_loadcnt 0x1
	v_subrev_nc_u32_e32 v13, s4, v13
.LBB74_14:
	s_wait_xcnt 0x0
	s_or_b32 exec_lo, exec_lo, s0
	ds_store_b32 v30, v13
	s_wait_loadcnt 0x0
	ds_store_b128 v12, v[6:9]
.LBB74_15:                              ; =>This Loop Header: Depth=1
                                        ;     Child Loop BB74_51 Depth 2
                                        ;       Child Loop BB74_52 Depth 3
	s_lshl_b32 s0, s1, 4
	s_wait_storecnt_dscnt 0x0
	v_mov_b32_e32 v6, s0
	s_barrier_signal -1
	s_barrier_wait -1
	s_lshl_b32 s1, s1, 2
	ds_load_b128 v[22:25], v6
	v_mov_b32_e32 v6, s1
	ds_load_b32 v6, v6 offset:1024
	s_wait_dscnt 0x1
	v_cmp_eq_f64_e32 vcc_lo, 0, v[22:23]
	v_cmp_eq_f64_e64 s0, 0, v[24:25]
	s_wait_dscnt 0x0
	v_readfirstlane_b32 s24, v6
	s_and_b32 s0, vcc_lo, s0
	s_cmp_eq_u32 s24, s20
	s_cselect_b32 s25, -1, 0
	s_cmp_lg_u32 s24, s20
	s_cselect_b32 s1, -1, 0
	s_and_b32 s0, s0, s25
	s_delay_alu instid0(SALU_CYCLE_1) | instskip(NEXT) | instid1(SALU_CYCLE_1)
	s_and_b32 s0, s21, s0
	v_cndmask_b32_e64 v7, v25, 0, s0
	v_cndmask_b32_e64 v6, v24, 0, s0
	;; [unrolled: 1-line block ×4, first 2 shown]
	s_and_b32 s13, s3, s0
	s_delay_alu instid0(SALU_CYCLE_1)
	s_and_saveexec_b32 s0, s13
	s_cbranch_execz .LBB74_19
; %bb.16:                               ;   in Loop: Header=BB74_15 Depth=1
	v_mbcnt_lo_u32_b32 v6, exec_lo, 0
	s_mov_b32 s13, exec_lo
	s_delay_alu instid0(VALU_DEP_1)
	v_cmpx_eq_u32_e32 0, v6
	s_cbranch_execz .LBB74_18
; %bb.17:                               ;   in Loop: Header=BB74_15 Depth=1
	v_mov_b32_e32 v6, s26
	global_atomic_min_i32 v1, v6, s[8:9] scope:SCOPE_DEV
.LBB74_18:                              ;   in Loop: Header=BB74_15 Depth=1
	s_wait_xcnt 0x0
	s_or_b32 exec_lo, exec_lo, s13
	v_mov_b64_e32 v[8:9], 1.0
	v_mov_b64_e32 v[6:7], 0
.LBB74_19:                              ;   in Loop: Header=BB74_15 Depth=1
	s_or_b32 exec_lo, exec_lo, s0
	s_mov_b32 s27, -1
	s_mov_b32 s0, 0
	s_cmp_lt_i32 s5, 1
	s_mov_b32 s13, 0
                                        ; implicit-def: $vgpr22_vgpr23
                                        ; implicit-def: $vgpr24_vgpr25
	s_cbranch_scc0 .LBB74_26
; %bb.20:                               ;   in Loop: Header=BB74_15 Depth=1
	s_and_b32 vcc_lo, exec_lo, s27
	s_mov_b32 s25, 4
	s_cbranch_vccnz .LBB74_33
.LBB74_21:                              ;   in Loop: Header=BB74_15 Depth=1
	v_mov_b64_e32 v[28:29], v[4:5]
	v_mov_b64_e32 v[26:27], v[2:3]
	s_and_b32 vcc_lo, exec_lo, s13
	s_cbranch_vccnz .LBB74_38
.LBB74_22:                              ;   in Loop: Header=BB74_15 Depth=1
	s_and_b32 vcc_lo, exec_lo, s0
	s_cbranch_vccnz .LBB74_43
.LBB74_23:                              ;   in Loop: Header=BB74_15 Depth=1
	s_mov_b32 s0, -1
	s_cmp_gt_i32 s25, 3
	s_mov_b32 s1, -1
	s_cbranch_scc0 .LBB74_46
.LBB74_24:                              ;   in Loop: Header=BB74_15 Depth=1
	s_and_not1_b32 vcc_lo, exec_lo, s1
	s_cbranch_vccz .LBB74_47
.LBB74_25:                              ;   in Loop: Header=BB74_15 Depth=1
	s_delay_alu instid0(VALU_DEP_1) | instskip(NEXT) | instid1(VALU_DEP_2)
	v_mov_b64_e32 v[4:5], v[28:29]
	v_mov_b64_e32 v[2:3], v[26:27]
	s_and_not1_b32 vcc_lo, exec_lo, s0
	s_cbranch_vccnz .LBB74_48
	s_branch .LBB74_54
.LBB74_26:                              ;   in Loop: Header=BB74_15 Depth=1
	s_cmp_eq_u32 s5, 1
	s_mov_b32 s13, -1
                                        ; implicit-def: $vgpr22_vgpr23
                                        ; implicit-def: $vgpr24_vgpr25
	s_cbranch_scc0 .LBB74_32
; %bb.27:                               ;   in Loop: Header=BB74_15 Depth=1
	v_mov_b64_e32 v[22:23], v[20:21]
	v_mov_b64_e32 v[24:25], v[18:19]
	s_cmp_ge_i32 s24, s20
	s_mov_b32 s13, 0
	s_cbranch_scc0 .LBB74_32
; %bb.28:                               ;   in Loop: Header=BB74_15 Depth=1
	s_and_b32 vcc_lo, exec_lo, s25
	s_mov_b32 s13, -1
                                        ; implicit-def: $vgpr22_vgpr23
                                        ; implicit-def: $vgpr24_vgpr25
	s_cbranch_vccz .LBB74_32
; %bb.29:                               ;   in Loop: Header=BB74_15 Depth=1
	v_mov_b64_e32 v[22:23], v[20:21]
	v_mov_b64_e32 v[24:25], v[18:19]
	s_and_not1_b32 vcc_lo, exec_lo, s21
	s_cbranch_vccnz .LBB74_31
; %bb.30:                               ;   in Loop: Header=BB74_15 Depth=1
	v_mul_f64_e32 v[22:23], v[6:7], v[6:7]
	s_delay_alu instid0(VALU_DEP_1) | instskip(NEXT) | instid1(VALU_DEP_1)
	v_fmac_f64_e32 v[22:23], v[8:9], v[8:9]
	v_div_scale_f64 v[24:25], null, v[22:23], v[22:23], 1.0
	v_div_scale_f64 v[32:33], vcc_lo, 1.0, v[22:23], 1.0
	s_delay_alu instid0(VALU_DEP_2) | instskip(SKIP_1) | instid1(TRANS32_DEP_1)
	v_rcp_f64_e32 v[26:27], v[24:25]
	v_nop
	v_fma_f64 v[28:29], -v[24:25], v[26:27], 1.0
	s_delay_alu instid0(VALU_DEP_1) | instskip(NEXT) | instid1(VALU_DEP_1)
	v_fmac_f64_e32 v[26:27], v[26:27], v[28:29]
	v_fma_f64 v[28:29], -v[24:25], v[26:27], 1.0
	s_delay_alu instid0(VALU_DEP_1) | instskip(NEXT) | instid1(VALU_DEP_1)
	v_fmac_f64_e32 v[26:27], v[26:27], v[28:29]
	v_mul_f64_e32 v[28:29], v[32:33], v[26:27]
	s_delay_alu instid0(VALU_DEP_1) | instskip(NEXT) | instid1(VALU_DEP_1)
	v_fma_f64 v[24:25], -v[24:25], v[28:29], v[32:33]
	v_div_fmas_f64 v[24:25], v[24:25], v[26:27], v[28:29]
	v_fma_f64 v[26:27], 0, v[6:7], v[8:9]
	v_fma_f64 v[28:29], v[8:9], 0, -v[6:7]
	s_delay_alu instid0(VALU_DEP_3) | instskip(NEXT) | instid1(VALU_DEP_1)
	v_div_fixup_f64 v[22:23], v[24:25], v[22:23], 1.0
	v_mul_f64_e32 v[24:25], v[26:27], v[22:23]
	s_delay_alu instid0(VALU_DEP_3)
	v_mul_f64_e32 v[22:23], v[28:29], v[22:23]
.LBB74_31:                              ;   in Loop: Header=BB74_15 Depth=1
	s_mov_b32 s13, 0
.LBB74_32:                              ;   in Loop: Header=BB74_15 Depth=1
	s_mov_b32 s25, 4
	s_branch .LBB74_21
.LBB74_33:                              ;   in Loop: Header=BB74_15 Depth=1
	s_cmp_eq_u32 s5, 0
	s_cbranch_scc1 .LBB74_35
; %bb.34:                               ;   in Loop: Header=BB74_15 Depth=1
	s_mov_b32 s13, -1
	s_branch .LBB74_37
.LBB74_35:                              ;   in Loop: Header=BB74_15 Depth=1
	s_cmp_le_i32 s24, s20
	s_mov_b32 s13, 0
	s_cbranch_scc0 .LBB74_37
; %bb.36:                               ;   in Loop: Header=BB74_15 Depth=1
	s_mov_b32 s0, -1
	s_mov_b32 s13, s1
.LBB74_37:                              ;   in Loop: Header=BB74_15 Depth=1
	v_mov_b64_e32 v[22:23], v[20:21]
	v_mov_b64_e32 v[24:25], v[18:19]
	s_mov_b32 s25, 2
	v_mov_b64_e32 v[28:29], v[4:5]
	v_mov_b64_e32 v[26:27], v[2:3]
	s_and_b32 vcc_lo, exec_lo, s13
	s_cbranch_vccz .LBB74_22
.LBB74_38:                              ;   in Loop: Header=BB74_15 Depth=1
	s_and_saveexec_b32 s13, s3
	s_cbranch_execz .LBB74_40
; %bb.39:                               ;   in Loop: Header=BB74_15 Depth=1
	s_add_co_i32 s0, s24, s7
	s_delay_alu instid0(SALU_CYCLE_1)
	v_mov_b32_e32 v13, s0
	global_load_b32 v13, v13, s[16:17] scale_offset scope:SCOPE_DEV
	s_wait_loadcnt 0x0
	v_cmp_ne_u32_e32 vcc_lo, 0, v13
	s_cbranch_vccz .LBB74_49
.LBB74_40:                              ;   in Loop: Header=BB74_15 Depth=1
	s_wait_xcnt 0x0
	s_or_b32 exec_lo, exec_lo, s13
	v_mov_b64_e32 v[28:29], 0
	v_mov_b64_e32 v[26:27], 0
	s_wait_storecnt 0x0
	s_barrier_signal -1
	s_barrier_wait -1
	global_inv scope:SCOPE_DEV
	s_and_saveexec_b32 s0, s2
	s_cbranch_execz .LBB74_42
; %bb.41:                               ;   in Loop: Header=BB74_15 Depth=1
	s_ashr_i32 s25, s24, 31
	s_delay_alu instid0(SALU_CYCLE_1) | instskip(NEXT) | instid1(SALU_CYCLE_1)
	s_mul_u64 s[24:25], s[10:11], s[24:25]
	v_lshl_add_u64 v[22:23], s[24:25], 4, v[10:11]
	global_load_b128 v[22:25], v[22:23], off
	s_wait_loadcnt 0x0
	v_fma_f64 v[26:27], -v[8:9], v[22:23], v[2:3]
	v_fma_f64 v[22:23], -v[6:7], v[22:23], v[4:5]
	s_delay_alu instid0(VALU_DEP_2) | instskip(NEXT) | instid1(VALU_DEP_2)
	v_fmac_f64_e32 v[26:27], v[6:7], v[24:25]
	v_fma_f64 v[28:29], -v[8:9], v[24:25], v[22:23]
.LBB74_42:                              ;   in Loop: Header=BB74_15 Depth=1
	s_or_b32 exec_lo, exec_lo, s0
	v_mov_b64_e32 v[22:23], v[20:21]
	v_mov_b64_e32 v[24:25], v[18:19]
	s_mov_b32 s25, 0
	s_branch .LBB74_23
.LBB74_43:                              ;   in Loop: Header=BB74_15 Depth=1
	s_and_not1_b32 vcc_lo, exec_lo, s21
	s_cbranch_vccnz .LBB74_45
; %bb.44:                               ;   in Loop: Header=BB74_15 Depth=1
	v_mul_f64_e32 v[18:19], v[6:7], v[6:7]
	s_delay_alu instid0(VALU_DEP_1) | instskip(NEXT) | instid1(VALU_DEP_1)
	v_fmac_f64_e32 v[18:19], v[8:9], v[8:9]
	v_div_scale_f64 v[20:21], null, v[18:19], v[18:19], 1.0
	v_div_scale_f64 v[26:27], vcc_lo, 1.0, v[18:19], 1.0
	s_delay_alu instid0(VALU_DEP_2) | instskip(SKIP_1) | instid1(TRANS32_DEP_1)
	v_rcp_f64_e32 v[22:23], v[20:21]
	v_nop
	v_fma_f64 v[24:25], -v[20:21], v[22:23], 1.0
	s_delay_alu instid0(VALU_DEP_1) | instskip(NEXT) | instid1(VALU_DEP_1)
	v_fmac_f64_e32 v[22:23], v[22:23], v[24:25]
	v_fma_f64 v[24:25], -v[20:21], v[22:23], 1.0
	s_delay_alu instid0(VALU_DEP_1) | instskip(NEXT) | instid1(VALU_DEP_1)
	v_fmac_f64_e32 v[22:23], v[22:23], v[24:25]
	v_mul_f64_e32 v[24:25], v[26:27], v[22:23]
	s_delay_alu instid0(VALU_DEP_1) | instskip(NEXT) | instid1(VALU_DEP_1)
	v_fma_f64 v[20:21], -v[20:21], v[24:25], v[26:27]
	v_div_fmas_f64 v[20:21], v[20:21], v[22:23], v[24:25]
	v_fma_f64 v[22:23], 0, v[6:7], v[8:9]
	v_fma_f64 v[6:7], v[8:9], 0, -v[6:7]
	s_delay_alu instid0(VALU_DEP_3) | instskip(NEXT) | instid1(VALU_DEP_1)
	v_div_fixup_f64 v[20:21], v[20:21], v[18:19], 1.0
	v_mul_f64_e32 v[18:19], v[22:23], v[20:21]
	s_delay_alu instid0(VALU_DEP_3)
	v_mul_f64_e32 v[20:21], v[6:7], v[20:21]
.LBB74_45:                              ;   in Loop: Header=BB74_15 Depth=1
	s_delay_alu instid0(VALU_DEP_2) | instskip(NEXT) | instid1(VALU_DEP_2)
	v_mov_b64_e32 v[24:25], v[18:19]
	v_mov_b64_e32 v[22:23], v[20:21]
	;; [unrolled: 1-line block ×4, first 2 shown]
	s_mov_b32 s25, 2
	s_mov_b32 s0, -1
	s_cmp_gt_i32 s25, 3
	s_mov_b32 s1, -1
	s_cbranch_scc1 .LBB74_24
.LBB74_46:                              ;   in Loop: Header=BB74_15 Depth=1
	s_cmp_eq_u32 s25, 0
	s_cselect_b32 s1, -1, 0
	s_delay_alu instid0(SALU_CYCLE_1)
	s_and_not1_b32 vcc_lo, exec_lo, s1
	s_cbranch_vccnz .LBB74_25
.LBB74_47:                              ;   in Loop: Header=BB74_15 Depth=1
	s_add_nc_u64 s[18:19], s[18:19], 1
	s_delay_alu instid0(SALU_CYCLE_1) | instskip(NEXT) | instid1(VALU_DEP_2)
	v_cmp_ge_i64_e64 s0, s[18:19], s[14:15]
	v_mov_b64_e32 v[4:5], v[28:29]
	s_delay_alu instid0(VALU_DEP_3)
	v_mov_b64_e32 v[2:3], v[26:27]
	s_and_not1_b32 vcc_lo, exec_lo, s0
	s_cbranch_vccz .LBB74_54
.LBB74_48:                              ;   in Loop: Header=BB74_15 Depth=1
	s_delay_alu instid0(VALU_DEP_4) | instskip(NEXT) | instid1(VALU_DEP_4)
	v_mov_b64_e32 v[20:21], v[22:23]
	v_mov_b64_e32 v[18:19], v[24:25]
	s_sub_co_i32 s0, s18, s12
	s_delay_alu instid0(SALU_CYCLE_1) | instskip(NEXT) | instid1(SALU_CYCLE_1)
	s_and_b32 s1, s0, 63
	s_cmp_lg_u32 s1, 0
	s_cbranch_scc1 .LBB74_15
	s_branch .LBB74_12
.LBB74_49:                              ;   in Loop: Header=BB74_15 Depth=1
	s_ashr_i32 s1, s0, 31
	s_mov_b32 s25, 0
	s_lshl_b64 s[0:1], s[0:1], 2
	s_delay_alu instid0(SALU_CYCLE_1)
	s_add_nc_u64 s[0:1], s[16:17], s[0:1]
	s_branch .LBB74_51
.LBB74_50:                              ;   in Loop: Header=BB74_51 Depth=2
	global_load_b32 v13, v1, s[0:1] scope:SCOPE_DEV
	s_cmp_lt_u32 s25, 0xf43
	s_cselect_b32 s27, -1, 0
	s_delay_alu instid0(SALU_CYCLE_1)
	s_cmp_lg_u32 s27, 0
	s_add_co_ci_u32 s25, s25, 0
	s_wait_loadcnt 0x0
	v_cmp_ne_u32_e32 vcc_lo, 0, v13
	s_cbranch_vccnz .LBB74_40
.LBB74_51:                              ;   Parent Loop BB74_15 Depth=1
                                        ; =>  This Loop Header: Depth=2
                                        ;       Child Loop BB74_52 Depth 3
	s_cmp_eq_u32 s25, 0
	s_mov_b32 s27, s25
	s_cbranch_scc1 .LBB74_50
.LBB74_52:                              ;   Parent Loop BB74_15 Depth=1
                                        ;     Parent Loop BB74_51 Depth=2
                                        ; =>    This Inner Loop Header: Depth=3
	s_add_co_i32 s27, s27, -1
	s_sleep 1
	s_cmp_eq_u32 s27, 0
	s_cbranch_scc0 .LBB74_52
	s_branch .LBB74_50
.LBB74_53:
	v_mov_b64_e32 v[24:25], 1.0
	v_mov_b64_e32 v[22:23], 0
.LBB74_54:
	s_cmp_lg_u32 s6, 0
	s_cbranch_scc0 .LBB74_60
; %bb.55:
	s_and_saveexec_b32 s0, s2
	s_cbranch_execz .LBB74_57
.LBB74_56:
	s_wait_loadcnt_dscnt 0x0
	v_lshl_add_u64 v[6:7], s[22:23], 4, v[10:11]
	global_store_b128 v[6:7], v[2:5], off
.LBB74_57:
	s_wait_xcnt 0x0
	s_or_b32 exec_lo, exec_lo, s0
	global_wb scope:SCOPE_DEV
	s_wait_storecnt 0x0
	s_wait_loadcnt_dscnt 0x0
	global_inv scope:SCOPE_DEV
	s_wait_loadcnt 0x0
	s_barrier_signal -1
	s_barrier_wait -1
	s_mov_b32 s0, exec_lo
	v_cmpx_eq_u32_e32 0, v0
	s_cbranch_execz .LBB74_59
; %bb.58:
	s_add_co_i32 s0, s20, s7
	s_delay_alu instid0(SALU_CYCLE_1)
	v_dual_mov_b32 v0, 1 :: v_dual_mov_b32 v1, s0
	global_store_b32 v1, v0, s[16:17] scale_offset scope:SCOPE_DEV
.LBB74_59:
	s_endpgm
.LBB74_60:
	s_wait_loadcnt_dscnt 0x0
	s_delay_alu instid0(VALU_DEP_1) | instskip(SKIP_1) | instid1(VALU_DEP_2)
	v_mul_f64_e64 v[6:7], v[22:23], -v[4:5]
	v_mul_f64_e32 v[8:9], v[22:23], v[2:3]
	v_fmac_f64_e32 v[6:7], v[2:3], v[24:25]
	s_delay_alu instid0(VALU_DEP_2) | instskip(NEXT) | instid1(VALU_DEP_2)
	v_fmac_f64_e32 v[8:9], v[4:5], v[24:25]
	v_mov_b64_e32 v[2:3], v[6:7]
	s_delay_alu instid0(VALU_DEP_2)
	v_mov_b64_e32 v[4:5], v[8:9]
	s_and_saveexec_b32 s0, s2
	s_cbranch_execnz .LBB74_56
	s_branch .LBB74_57
	.section	.rodata,"a",@progbits
	.p2align	6, 0x0
	.amdhsa_kernel _ZN9rocsparseL5csrsmILj64ELj64ELb1Eli21rocsparse_complex_numIdEEEv20rocsparse_operation_T3_S4_NS_24const_host_device_scalarIT4_EEPKT2_PKS4_PKS6_PS6_lPiSC_PS4_21rocsparse_index_base_20rocsparse_fill_mode_20rocsparse_diag_type_b
		.amdhsa_group_segment_fixed_size 1280
		.amdhsa_private_segment_fixed_size 16
		.amdhsa_kernarg_size 112
		.amdhsa_user_sgpr_count 2
		.amdhsa_user_sgpr_dispatch_ptr 0
		.amdhsa_user_sgpr_queue_ptr 0
		.amdhsa_user_sgpr_kernarg_segment_ptr 1
		.amdhsa_user_sgpr_dispatch_id 0
		.amdhsa_user_sgpr_kernarg_preload_length 0
		.amdhsa_user_sgpr_kernarg_preload_offset 0
		.amdhsa_user_sgpr_private_segment_size 0
		.amdhsa_wavefront_size32 1
		.amdhsa_uses_dynamic_stack 0
		.amdhsa_enable_private_segment 1
		.amdhsa_system_sgpr_workgroup_id_x 1
		.amdhsa_system_sgpr_workgroup_id_y 0
		.amdhsa_system_sgpr_workgroup_id_z 0
		.amdhsa_system_sgpr_workgroup_info 0
		.amdhsa_system_vgpr_workitem_id 0
		.amdhsa_next_free_vgpr 34
		.amdhsa_next_free_sgpr 28
		.amdhsa_named_barrier_count 0
		.amdhsa_reserve_vcc 1
		.amdhsa_float_round_mode_32 0
		.amdhsa_float_round_mode_16_64 0
		.amdhsa_float_denorm_mode_32 3
		.amdhsa_float_denorm_mode_16_64 3
		.amdhsa_fp16_overflow 0
		.amdhsa_memory_ordered 1
		.amdhsa_forward_progress 1
		.amdhsa_inst_pref_size 18
		.amdhsa_round_robin_scheduling 0
		.amdhsa_exception_fp_ieee_invalid_op 0
		.amdhsa_exception_fp_denorm_src 0
		.amdhsa_exception_fp_ieee_div_zero 0
		.amdhsa_exception_fp_ieee_overflow 0
		.amdhsa_exception_fp_ieee_underflow 0
		.amdhsa_exception_fp_ieee_inexact 0
		.amdhsa_exception_int_div_zero 0
	.end_amdhsa_kernel
	.section	.text._ZN9rocsparseL5csrsmILj64ELj64ELb1Eli21rocsparse_complex_numIdEEEv20rocsparse_operation_T3_S4_NS_24const_host_device_scalarIT4_EEPKT2_PKS4_PKS6_PS6_lPiSC_PS4_21rocsparse_index_base_20rocsparse_fill_mode_20rocsparse_diag_type_b,"axG",@progbits,_ZN9rocsparseL5csrsmILj64ELj64ELb1Eli21rocsparse_complex_numIdEEEv20rocsparse_operation_T3_S4_NS_24const_host_device_scalarIT4_EEPKT2_PKS4_PKS6_PS6_lPiSC_PS4_21rocsparse_index_base_20rocsparse_fill_mode_20rocsparse_diag_type_b,comdat
.Lfunc_end74:
	.size	_ZN9rocsparseL5csrsmILj64ELj64ELb1Eli21rocsparse_complex_numIdEEEv20rocsparse_operation_T3_S4_NS_24const_host_device_scalarIT4_EEPKT2_PKS4_PKS6_PS6_lPiSC_PS4_21rocsparse_index_base_20rocsparse_fill_mode_20rocsparse_diag_type_b, .Lfunc_end74-_ZN9rocsparseL5csrsmILj64ELj64ELb1Eli21rocsparse_complex_numIdEEEv20rocsparse_operation_T3_S4_NS_24const_host_device_scalarIT4_EEPKT2_PKS4_PKS6_PS6_lPiSC_PS4_21rocsparse_index_base_20rocsparse_fill_mode_20rocsparse_diag_type_b
                                        ; -- End function
	.set _ZN9rocsparseL5csrsmILj64ELj64ELb1Eli21rocsparse_complex_numIdEEEv20rocsparse_operation_T3_S4_NS_24const_host_device_scalarIT4_EEPKT2_PKS4_PKS6_PS6_lPiSC_PS4_21rocsparse_index_base_20rocsparse_fill_mode_20rocsparse_diag_type_b.num_vgpr, 34
	.set _ZN9rocsparseL5csrsmILj64ELj64ELb1Eli21rocsparse_complex_numIdEEEv20rocsparse_operation_T3_S4_NS_24const_host_device_scalarIT4_EEPKT2_PKS4_PKS6_PS6_lPiSC_PS4_21rocsparse_index_base_20rocsparse_fill_mode_20rocsparse_diag_type_b.num_agpr, 0
	.set _ZN9rocsparseL5csrsmILj64ELj64ELb1Eli21rocsparse_complex_numIdEEEv20rocsparse_operation_T3_S4_NS_24const_host_device_scalarIT4_EEPKT2_PKS4_PKS6_PS6_lPiSC_PS4_21rocsparse_index_base_20rocsparse_fill_mode_20rocsparse_diag_type_b.numbered_sgpr, 28
	.set _ZN9rocsparseL5csrsmILj64ELj64ELb1Eli21rocsparse_complex_numIdEEEv20rocsparse_operation_T3_S4_NS_24const_host_device_scalarIT4_EEPKT2_PKS4_PKS6_PS6_lPiSC_PS4_21rocsparse_index_base_20rocsparse_fill_mode_20rocsparse_diag_type_b.num_named_barrier, 0
	.set _ZN9rocsparseL5csrsmILj64ELj64ELb1Eli21rocsparse_complex_numIdEEEv20rocsparse_operation_T3_S4_NS_24const_host_device_scalarIT4_EEPKT2_PKS4_PKS6_PS6_lPiSC_PS4_21rocsparse_index_base_20rocsparse_fill_mode_20rocsparse_diag_type_b.private_seg_size, 16
	.set _ZN9rocsparseL5csrsmILj64ELj64ELb1Eli21rocsparse_complex_numIdEEEv20rocsparse_operation_T3_S4_NS_24const_host_device_scalarIT4_EEPKT2_PKS4_PKS6_PS6_lPiSC_PS4_21rocsparse_index_base_20rocsparse_fill_mode_20rocsparse_diag_type_b.uses_vcc, 1
	.set _ZN9rocsparseL5csrsmILj64ELj64ELb1Eli21rocsparse_complex_numIdEEEv20rocsparse_operation_T3_S4_NS_24const_host_device_scalarIT4_EEPKT2_PKS4_PKS6_PS6_lPiSC_PS4_21rocsparse_index_base_20rocsparse_fill_mode_20rocsparse_diag_type_b.uses_flat_scratch, 0
	.set _ZN9rocsparseL5csrsmILj64ELj64ELb1Eli21rocsparse_complex_numIdEEEv20rocsparse_operation_T3_S4_NS_24const_host_device_scalarIT4_EEPKT2_PKS4_PKS6_PS6_lPiSC_PS4_21rocsparse_index_base_20rocsparse_fill_mode_20rocsparse_diag_type_b.has_dyn_sized_stack, 0
	.set _ZN9rocsparseL5csrsmILj64ELj64ELb1Eli21rocsparse_complex_numIdEEEv20rocsparse_operation_T3_S4_NS_24const_host_device_scalarIT4_EEPKT2_PKS4_PKS6_PS6_lPiSC_PS4_21rocsparse_index_base_20rocsparse_fill_mode_20rocsparse_diag_type_b.has_recursion, 0
	.set _ZN9rocsparseL5csrsmILj64ELj64ELb1Eli21rocsparse_complex_numIdEEEv20rocsparse_operation_T3_S4_NS_24const_host_device_scalarIT4_EEPKT2_PKS4_PKS6_PS6_lPiSC_PS4_21rocsparse_index_base_20rocsparse_fill_mode_20rocsparse_diag_type_b.has_indirect_call, 0
	.section	.AMDGPU.csdata,"",@progbits
; Kernel info:
; codeLenInByte = 2208
; TotalNumSgprs: 30
; NumVgprs: 34
; ScratchSize: 16
; MemoryBound: 1
; FloatMode: 240
; IeeeMode: 1
; LDSByteSize: 1280 bytes/workgroup (compile time only)
; SGPRBlocks: 0
; VGPRBlocks: 2
; NumSGPRsForWavesPerEU: 30
; NumVGPRsForWavesPerEU: 34
; NamedBarCnt: 0
; Occupancy: 16
; WaveLimiterHint : 1
; COMPUTE_PGM_RSRC2:SCRATCH_EN: 1
; COMPUTE_PGM_RSRC2:USER_SGPR: 2
; COMPUTE_PGM_RSRC2:TRAP_HANDLER: 0
; COMPUTE_PGM_RSRC2:TGID_X_EN: 1
; COMPUTE_PGM_RSRC2:TGID_Y_EN: 0
; COMPUTE_PGM_RSRC2:TGID_Z_EN: 0
; COMPUTE_PGM_RSRC2:TIDIG_COMP_CNT: 0
	.section	.text._ZN9rocsparseL5csrsmILj64ELj64ELb0Eli21rocsparse_complex_numIdEEEv20rocsparse_operation_T3_S4_NS_24const_host_device_scalarIT4_EEPKT2_PKS4_PKS6_PS6_lPiSC_PS4_21rocsparse_index_base_20rocsparse_fill_mode_20rocsparse_diag_type_b,"axG",@progbits,_ZN9rocsparseL5csrsmILj64ELj64ELb0Eli21rocsparse_complex_numIdEEEv20rocsparse_operation_T3_S4_NS_24const_host_device_scalarIT4_EEPKT2_PKS4_PKS6_PS6_lPiSC_PS4_21rocsparse_index_base_20rocsparse_fill_mode_20rocsparse_diag_type_b,comdat
	.globl	_ZN9rocsparseL5csrsmILj64ELj64ELb0Eli21rocsparse_complex_numIdEEEv20rocsparse_operation_T3_S4_NS_24const_host_device_scalarIT4_EEPKT2_PKS4_PKS6_PS6_lPiSC_PS4_21rocsparse_index_base_20rocsparse_fill_mode_20rocsparse_diag_type_b ; -- Begin function _ZN9rocsparseL5csrsmILj64ELj64ELb0Eli21rocsparse_complex_numIdEEEv20rocsparse_operation_T3_S4_NS_24const_host_device_scalarIT4_EEPKT2_PKS4_PKS6_PS6_lPiSC_PS4_21rocsparse_index_base_20rocsparse_fill_mode_20rocsparse_diag_type_b
	.p2align	8
	.type	_ZN9rocsparseL5csrsmILj64ELj64ELb0Eli21rocsparse_complex_numIdEEEv20rocsparse_operation_T3_S4_NS_24const_host_device_scalarIT4_EEPKT2_PKS4_PKS6_PS6_lPiSC_PS4_21rocsparse_index_base_20rocsparse_fill_mode_20rocsparse_diag_type_b,@function
_ZN9rocsparseL5csrsmILj64ELj64ELb0Eli21rocsparse_complex_numIdEEEv20rocsparse_operation_T3_S4_NS_24const_host_device_scalarIT4_EEPKT2_PKS4_PKS6_PS6_lPiSC_PS4_21rocsparse_index_base_20rocsparse_fill_mode_20rocsparse_diag_type_b: ; @_ZN9rocsparseL5csrsmILj64ELj64ELb0Eli21rocsparse_complex_numIdEEEv20rocsparse_operation_T3_S4_NS_24const_host_device_scalarIT4_EEPKT2_PKS4_PKS6_PS6_lPiSC_PS4_21rocsparse_index_base_20rocsparse_fill_mode_20rocsparse_diag_type_b
; %bb.0:
	s_clause 0x1
	s_load_b128 s[4:7], s[0:1], 0x60
	s_load_b128 s[8:11], s[0:1], 0x10
	v_mbcnt_lo_u32_b32 v1, -1, 0
	s_clause 0x1
	s_load_b64 s[2:3], s[0:1], 0x20
	s_load_b64 s[12:13], s[0:1], 0x50
	s_delay_alu instid0(VALU_DEP_1) | instskip(NEXT) | instid1(VALU_DEP_1)
	v_dual_mov_b32 v2, 0 :: v_dual_lshlrev_b32 v3, 20, v1
	v_add_nc_u64_e32 v[2:3], src_flat_scratch_base_lo, v[2:3]
	s_wait_kmcnt 0x0
	s_bitcmp1_b32 s7, 0
	v_mov_b64_e32 v[4:5], s[8:9]
	s_cselect_b32 vcc_lo, -1, 0
	v_mov_b64_e32 v[8:9], s[10:11]
	s_delay_alu instid0(VALU_DEP_3)
	v_cndmask_b32_e32 v3, s9, v3, vcc_lo
	v_cndmask_b32_e32 v2, s8, v2, vcc_lo
	s_and_b32 vcc_lo, exec_lo, vcc_lo
	scratch_store_b64 off, v[4:5], off
	flat_load_b64 v[6:7], v[2:3]
	s_cbranch_vccnz .LBB75_2
; %bb.1:
	v_mov_b32_e32 v1, 0
	flat_load_b64 v[8:9], v1, s[8:9] offset:8
.LBB75_2:
	s_load_b96 s[16:18], s[0:1], 0x0
	s_bfe_u32 s9, ttmp6, 0x4000c
	s_and_b32 s8, ttmp6, 15
	s_add_co_i32 s9, s9, 1
	s_getreg_b32 s11, hwreg(HW_REG_IB_STS2, 6, 4)
	s_mul_i32 s9, ttmp9, s9
	s_delay_alu instid0(SALU_CYCLE_1) | instskip(SKIP_3) | instid1(SALU_CYCLE_2)
	s_add_co_i32 s8, s8, s9
	s_wait_kmcnt 0x0
	s_cvt_f32_u32 s7, s17
	s_sub_co_i32 s10, 0, s17
	v_rcp_iflag_f32_e32 v1, s7
	v_nop
	s_delay_alu instid0(TRANS32_DEP_1) | instskip(SKIP_1) | instid1(SALU_CYCLE_3)
	v_readfirstlane_b32 s7, v1
	s_mul_f32 s7, s7, 0x4f7ffffe
	s_cvt_u32_f32 s7, s7
	s_delay_alu instid0(SALU_CYCLE_3) | instskip(NEXT) | instid1(SALU_CYCLE_1)
	s_mul_i32 s10, s10, s7
	s_mul_hi_u32 s10, s7, s10
	s_delay_alu instid0(SALU_CYCLE_1) | instskip(SKIP_2) | instid1(SALU_CYCLE_1)
	s_add_co_i32 s7, s7, s10
	s_cmp_eq_u32 s11, 0
	s_cselect_b32 s8, ttmp9, s8
	s_mul_hi_u32 s7, s8, s7
	s_delay_alu instid0(SALU_CYCLE_1) | instskip(SKIP_2) | instid1(SALU_CYCLE_1)
	s_mul_i32 s9, s7, s17
	s_add_co_i32 s10, s7, 1
	s_sub_co_i32 s9, s8, s9
	s_sub_co_i32 s11, s9, s17
	s_cmp_ge_u32 s9, s17
	s_cselect_b32 s7, s10, s7
	s_cselect_b32 s9, s11, s9
	s_add_co_i32 s10, s7, 1
	s_cmp_ge_u32 s9, s17
	s_cselect_b32 s19, s10, s7
	s_delay_alu instid0(SALU_CYCLE_1) | instskip(SKIP_2) | instid1(SALU_CYCLE_1)
	s_mul_i32 s7, s19, s17
	v_lshl_or_b32 v10, s19, 6, v0
	s_sub_co_i32 s8, s8, s7
	s_ashr_i32 s9, s8, 31
	s_delay_alu instid0(VALU_DEP_1) | instskip(SKIP_1) | instid1(SALU_CYCLE_1)
	v_ashrrev_i32_e32 v11, 31, v10
	s_lshl_b64 s[8:9], s[8:9], 2
	s_add_nc_u64 s[12:13], s[12:13], s[8:9]
	s_load_b32 s20, s[12:13], 0x0
	s_load_b128 s[8:11], s[0:1], 0x38
	s_wait_kmcnt 0x0
	s_ashr_i32 s21, s20, 31
	s_delay_alu instid0(SALU_CYCLE_1)
	s_lshl_b64 s[12:13], s[20:21], 3
	s_mul_u64 s[22:23], s[10:11], s[20:21]
	s_add_nc_u64 s[2:3], s[2:3], s[12:13]
	v_add_nc_u64_e32 v[12:13], s[22:23], v[10:11]
	s_load_b128 s[12:15], s[2:3], 0x0
	s_wait_xcnt 0x0
	v_cmp_gt_i32_e64 s2, s18, v10
	s_cmp_lg_u32 s16, 0x71
	s_cbranch_scc0 .LBB75_6
; %bb.3:
	v_mov_b64_e32 v[4:5], 0
	v_mov_b64_e32 v[2:3], 0
	s_and_saveexec_b32 s3, s2
	s_cbranch_execz .LBB75_5
; %bb.4:
	v_lshl_add_u64 v[2:3], v[12:13], 4, s[8:9]
	global_load_b128 v[14:17], v[2:3], off
	s_wait_loadcnt_dscnt 0x0
	v_mul_f64_e64 v[2:3], v[16:17], -v[8:9]
	v_mul_f64_e32 v[4:5], v[6:7], v[16:17]
	s_delay_alu instid0(VALU_DEP_2) | instskip(NEXT) | instid1(VALU_DEP_2)
	v_fmac_f64_e32 v[2:3], v[6:7], v[14:15]
	v_fmac_f64_e32 v[4:5], v[8:9], v[14:15]
.LBB75_5:
	s_or_b32 exec_lo, exec_lo, s3
	s_load_b64 s[16:17], s[0:1], 0x48
	s_cbranch_execz .LBB75_7
	s_branch .LBB75_10
.LBB75_6:
                                        ; implicit-def: $vgpr4_vgpr5
	s_load_b64 s[16:17], s[0:1], 0x48
.LBB75_7:
	v_mov_b64_e32 v[4:5], 0
	v_mov_b64_e32 v[2:3], 0
	s_and_saveexec_b32 s3, s2
	s_cbranch_execz .LBB75_9
; %bb.8:
	v_lshl_add_u64 v[2:3], v[12:13], 4, s[8:9]
	global_load_b128 v[12:15], v[2:3], off
	s_wait_loadcnt_dscnt 0x0
	v_mul_f64_e32 v[2:3], v[8:9], v[14:15]
	v_mul_f64_e64 v[4:5], v[6:7], -v[14:15]
	s_delay_alu instid0(VALU_DEP_2) | instskip(NEXT) | instid1(VALU_DEP_2)
	v_fmac_f64_e32 v[2:3], v[6:7], v[12:13]
	v_fmac_f64_e32 v[4:5], v[8:9], v[12:13]
.LBB75_9:
	s_or_b32 exec_lo, exec_lo, s3
.LBB75_10:
	s_wait_kmcnt 0x0
	v_cmp_ge_i64_e64 s3, s[12:13], s[14:15]
	v_lshl_add_u64 v[10:11], v[10:11], 4, s[8:9]
	s_and_b32 vcc_lo, exec_lo, s3
	v_cmp_eq_u32_e64 s3, 0, v0
	s_cbranch_vccnz .LBB75_51
; %bb.11:
	s_clause 0x1
	s_load_b128 s[24:27], s[0:1], 0x28
	s_load_b64 s[8:9], s[0:1], 0x58
	s_wait_loadcnt_dscnt 0x0
	v_dual_mov_b32 v1, 0 :: v_dual_lshlrev_b32 v6, 2, v0
	v_lshlrev_b32_e32 v12, 4, v0
	v_mov_b64_e32 v[18:19], 1.0
	v_mov_b64_e32 v[20:21], 0
	s_delay_alu instid0(VALU_DEP_4)
	v_dual_mov_b32 v7, v1 :: v_dual_mov_b32 v13, v1
	s_wait_xcnt 0x0
	s_mov_b32 s1, 0
	s_mov_b32 s0, s4
	v_or_b32_e32 v30, 0x400, v6
	s_cmp_eq_u32 s6, 0
	s_sub_nc_u64 s[12:13], s[12:13], s[0:1]
	s_cselect_b32 s21, -1, 0
	s_sub_nc_u64 s[14:15], s[14:15], s[0:1]
	s_mov_b64 s[18:19], s[12:13]
	s_wait_kmcnt 0x0
	v_add_nc_u64_e32 v[14:15], s[24:25], v[6:7]
	v_add_nc_u64_e32 v[16:17], s[26:27], v[12:13]
	s_add_co_i32 s26, s20, s4
	s_sub_co_i32 s0, s18, s12
	s_delay_alu instid0(SALU_CYCLE_1) | instskip(NEXT) | instid1(SALU_CYCLE_1)
	s_and_b32 s1, s0, 63
	s_cmp_lg_u32 s1, 0
	s_cbranch_scc1 .LBB75_15
.LBB75_12:
	v_mov_b64_e32 v[6:7], -1.0
	v_mov_b64_e32 v[8:9], 0
	v_mov_b32_e32 v13, -1
	s_sub_nc_u64 s[24:25], s[14:15], s[18:19]
	s_mov_b32 s0, exec_lo
	v_cmpx_gt_i64_e64 s[24:25], v[0:1]
	s_cbranch_execz .LBB75_14
; %bb.13:
	v_lshl_add_u64 v[6:7], s[18:19], 2, v[14:15]
	global_load_b32 v13, v[6:7], off
	s_wait_xcnt 0x0
	v_lshl_add_u64 v[6:7], s[18:19], 4, v[16:17]
	global_load_b128 v[6:9], v[6:7], off
	s_wait_loadcnt 0x1
	v_subrev_nc_u32_e32 v13, s4, v13
.LBB75_14:
	s_wait_xcnt 0x0
	s_or_b32 exec_lo, exec_lo, s0
	ds_store_b32 v30, v13
	s_wait_loadcnt 0x0
	ds_store_b128 v12, v[6:9]
.LBB75_15:                              ; =>This Loop Header: Depth=1
                                        ;     Child Loop BB75_41 Depth 2
	s_lshl_b32 s0, s1, 4
	s_wait_storecnt_dscnt 0x0
	v_mov_b32_e32 v6, s0
	s_barrier_signal -1
	s_barrier_wait -1
	s_lshl_b32 s1, s1, 2
	ds_load_b128 v[22:25], v6
	v_mov_b32_e32 v6, s1
	ds_load_b32 v6, v6 offset:1024
	s_wait_dscnt 0x1
	v_cmp_eq_f64_e32 vcc_lo, 0, v[22:23]
	v_cmp_eq_f64_e64 s0, 0, v[24:25]
	s_wait_dscnt 0x0
	v_readfirstlane_b32 s24, v6
	s_and_b32 s0, vcc_lo, s0
	s_cmp_eq_u32 s24, s20
	s_cselect_b32 s25, -1, 0
	s_cmp_lg_u32 s24, s20
	s_cselect_b32 s1, -1, 0
	s_and_b32 s0, s0, s25
	s_delay_alu instid0(SALU_CYCLE_1) | instskip(NEXT) | instid1(SALU_CYCLE_1)
	s_and_b32 s0, s21, s0
	v_cndmask_b32_e64 v7, v25, 0, s0
	v_cndmask_b32_e64 v6, v24, 0, s0
	;; [unrolled: 1-line block ×4, first 2 shown]
	s_and_b32 s13, s3, s0
	s_delay_alu instid0(SALU_CYCLE_1)
	s_and_saveexec_b32 s0, s13
	s_cbranch_execz .LBB75_19
; %bb.16:                               ;   in Loop: Header=BB75_15 Depth=1
	v_mbcnt_lo_u32_b32 v6, exec_lo, 0
	s_mov_b32 s13, exec_lo
	s_delay_alu instid0(VALU_DEP_1)
	v_cmpx_eq_u32_e32 0, v6
	s_cbranch_execz .LBB75_18
; %bb.17:                               ;   in Loop: Header=BB75_15 Depth=1
	v_mov_b32_e32 v6, s26
	global_atomic_min_i32 v1, v6, s[8:9] scope:SCOPE_DEV
.LBB75_18:                              ;   in Loop: Header=BB75_15 Depth=1
	s_wait_xcnt 0x0
	s_or_b32 exec_lo, exec_lo, s13
	v_mov_b64_e32 v[8:9], 1.0
	v_mov_b64_e32 v[6:7], 0
.LBB75_19:                              ;   in Loop: Header=BB75_15 Depth=1
	s_or_b32 exec_lo, exec_lo, s0
	s_mov_b32 s27, -1
	s_mov_b32 s0, 0
	s_cmp_lt_i32 s5, 1
	s_mov_b32 s13, 0
                                        ; implicit-def: $vgpr22_vgpr23
                                        ; implicit-def: $vgpr24_vgpr25
	s_cbranch_scc0 .LBB75_26
; %bb.20:                               ;   in Loop: Header=BB75_15 Depth=1
	s_and_b32 vcc_lo, exec_lo, s27
	s_mov_b32 s25, 4
	s_cbranch_vccnz .LBB75_33
.LBB75_21:                              ;   in Loop: Header=BB75_15 Depth=1
	v_mov_b64_e32 v[28:29], v[4:5]
	v_mov_b64_e32 v[26:27], v[2:3]
	s_and_b32 vcc_lo, exec_lo, s13
	s_cbranch_vccnz .LBB75_38
.LBB75_22:                              ;   in Loop: Header=BB75_15 Depth=1
	s_and_b32 vcc_lo, exec_lo, s0
	s_cbranch_vccnz .LBB75_45
.LBB75_23:                              ;   in Loop: Header=BB75_15 Depth=1
	s_mov_b32 s0, -1
	s_cmp_gt_i32 s25, 3
	s_mov_b32 s1, -1
	s_cbranch_scc0 .LBB75_48
.LBB75_24:                              ;   in Loop: Header=BB75_15 Depth=1
	s_and_not1_b32 vcc_lo, exec_lo, s1
	s_cbranch_vccz .LBB75_49
.LBB75_25:                              ;   in Loop: Header=BB75_15 Depth=1
	s_delay_alu instid0(VALU_DEP_1) | instskip(NEXT) | instid1(VALU_DEP_2)
	v_mov_b64_e32 v[4:5], v[28:29]
	v_mov_b64_e32 v[2:3], v[26:27]
	s_and_not1_b32 vcc_lo, exec_lo, s0
	s_cbranch_vccnz .LBB75_50
	s_branch .LBB75_52
.LBB75_26:                              ;   in Loop: Header=BB75_15 Depth=1
	s_cmp_eq_u32 s5, 1
	s_mov_b32 s13, -1
                                        ; implicit-def: $vgpr22_vgpr23
                                        ; implicit-def: $vgpr24_vgpr25
	s_cbranch_scc0 .LBB75_32
; %bb.27:                               ;   in Loop: Header=BB75_15 Depth=1
	v_mov_b64_e32 v[22:23], v[20:21]
	v_mov_b64_e32 v[24:25], v[18:19]
	s_cmp_ge_i32 s24, s20
	s_mov_b32 s13, 0
	s_cbranch_scc0 .LBB75_32
; %bb.28:                               ;   in Loop: Header=BB75_15 Depth=1
	s_and_b32 vcc_lo, exec_lo, s25
	s_mov_b32 s13, -1
                                        ; implicit-def: $vgpr22_vgpr23
                                        ; implicit-def: $vgpr24_vgpr25
	s_cbranch_vccz .LBB75_32
; %bb.29:                               ;   in Loop: Header=BB75_15 Depth=1
	v_mov_b64_e32 v[22:23], v[20:21]
	v_mov_b64_e32 v[24:25], v[18:19]
	s_and_not1_b32 vcc_lo, exec_lo, s21
	s_cbranch_vccnz .LBB75_31
; %bb.30:                               ;   in Loop: Header=BB75_15 Depth=1
	v_mul_f64_e32 v[22:23], v[6:7], v[6:7]
	s_delay_alu instid0(VALU_DEP_1) | instskip(NEXT) | instid1(VALU_DEP_1)
	v_fmac_f64_e32 v[22:23], v[8:9], v[8:9]
	v_div_scale_f64 v[24:25], null, v[22:23], v[22:23], 1.0
	v_div_scale_f64 v[32:33], vcc_lo, 1.0, v[22:23], 1.0
	s_delay_alu instid0(VALU_DEP_2) | instskip(SKIP_1) | instid1(TRANS32_DEP_1)
	v_rcp_f64_e32 v[26:27], v[24:25]
	v_nop
	v_fma_f64 v[28:29], -v[24:25], v[26:27], 1.0
	s_delay_alu instid0(VALU_DEP_1) | instskip(NEXT) | instid1(VALU_DEP_1)
	v_fmac_f64_e32 v[26:27], v[26:27], v[28:29]
	v_fma_f64 v[28:29], -v[24:25], v[26:27], 1.0
	s_delay_alu instid0(VALU_DEP_1) | instskip(NEXT) | instid1(VALU_DEP_1)
	v_fmac_f64_e32 v[26:27], v[26:27], v[28:29]
	v_mul_f64_e32 v[28:29], v[32:33], v[26:27]
	s_delay_alu instid0(VALU_DEP_1) | instskip(NEXT) | instid1(VALU_DEP_1)
	v_fma_f64 v[24:25], -v[24:25], v[28:29], v[32:33]
	v_div_fmas_f64 v[24:25], v[24:25], v[26:27], v[28:29]
	v_fma_f64 v[26:27], 0, v[6:7], v[8:9]
	v_fma_f64 v[28:29], v[8:9], 0, -v[6:7]
	s_delay_alu instid0(VALU_DEP_3) | instskip(NEXT) | instid1(VALU_DEP_1)
	v_div_fixup_f64 v[22:23], v[24:25], v[22:23], 1.0
	v_mul_f64_e32 v[24:25], v[26:27], v[22:23]
	s_delay_alu instid0(VALU_DEP_3)
	v_mul_f64_e32 v[22:23], v[28:29], v[22:23]
.LBB75_31:                              ;   in Loop: Header=BB75_15 Depth=1
	s_mov_b32 s13, 0
.LBB75_32:                              ;   in Loop: Header=BB75_15 Depth=1
	s_mov_b32 s25, 4
	s_branch .LBB75_21
.LBB75_33:                              ;   in Loop: Header=BB75_15 Depth=1
	s_cmp_eq_u32 s5, 0
	s_cbranch_scc1 .LBB75_35
; %bb.34:                               ;   in Loop: Header=BB75_15 Depth=1
	s_mov_b32 s13, -1
	s_branch .LBB75_37
.LBB75_35:                              ;   in Loop: Header=BB75_15 Depth=1
	s_cmp_le_i32 s24, s20
	s_mov_b32 s13, 0
	s_cbranch_scc0 .LBB75_37
; %bb.36:                               ;   in Loop: Header=BB75_15 Depth=1
	s_mov_b32 s0, -1
	s_mov_b32 s13, s1
.LBB75_37:                              ;   in Loop: Header=BB75_15 Depth=1
	v_mov_b64_e32 v[22:23], v[20:21]
	v_mov_b64_e32 v[24:25], v[18:19]
	s_mov_b32 s25, 2
	v_mov_b64_e32 v[28:29], v[4:5]
	v_mov_b64_e32 v[26:27], v[2:3]
	s_and_b32 vcc_lo, exec_lo, s13
	s_cbranch_vccz .LBB75_22
.LBB75_38:                              ;   in Loop: Header=BB75_15 Depth=1
	s_and_saveexec_b32 s13, s3
	s_cbranch_execz .LBB75_42
; %bb.39:                               ;   in Loop: Header=BB75_15 Depth=1
	s_add_co_i32 s0, s24, s7
	s_delay_alu instid0(SALU_CYCLE_1)
	v_mov_b32_e32 v13, s0
	global_load_b32 v13, v13, s[16:17] scale_offset scope:SCOPE_DEV
	s_wait_loadcnt 0x0
	v_cmp_ne_u32_e32 vcc_lo, 0, v13
	s_cbranch_vccnz .LBB75_42
; %bb.40:                               ;   in Loop: Header=BB75_15 Depth=1
	s_ashr_i32 s1, s0, 31
	s_delay_alu instid0(SALU_CYCLE_1) | instskip(NEXT) | instid1(SALU_CYCLE_1)
	s_lshl_b64 s[0:1], s[0:1], 2
	s_add_nc_u64 s[0:1], s[16:17], s[0:1]
.LBB75_41:                              ;   Parent Loop BB75_15 Depth=1
                                        ; =>  This Inner Loop Header: Depth=2
	global_load_b32 v13, v1, s[0:1] scope:SCOPE_DEV
	s_wait_loadcnt 0x0
	v_cmp_eq_u32_e32 vcc_lo, 0, v13
	s_cbranch_vccnz .LBB75_41
.LBB75_42:                              ;   in Loop: Header=BB75_15 Depth=1
	s_wait_xcnt 0x0
	s_or_b32 exec_lo, exec_lo, s13
	v_mov_b64_e32 v[28:29], 0
	v_mov_b64_e32 v[26:27], 0
	s_wait_storecnt 0x0
	s_barrier_signal -1
	s_barrier_wait -1
	global_inv scope:SCOPE_DEV
	s_and_saveexec_b32 s0, s2
	s_cbranch_execz .LBB75_44
; %bb.43:                               ;   in Loop: Header=BB75_15 Depth=1
	s_ashr_i32 s25, s24, 31
	s_delay_alu instid0(SALU_CYCLE_1) | instskip(NEXT) | instid1(SALU_CYCLE_1)
	s_mul_u64 s[24:25], s[10:11], s[24:25]
	v_lshl_add_u64 v[22:23], s[24:25], 4, v[10:11]
	global_load_b128 v[22:25], v[22:23], off
	s_wait_loadcnt 0x0
	v_fma_f64 v[26:27], -v[8:9], v[22:23], v[2:3]
	v_fma_f64 v[22:23], -v[6:7], v[22:23], v[4:5]
	s_delay_alu instid0(VALU_DEP_2) | instskip(NEXT) | instid1(VALU_DEP_2)
	v_fmac_f64_e32 v[26:27], v[6:7], v[24:25]
	v_fma_f64 v[28:29], -v[8:9], v[24:25], v[22:23]
.LBB75_44:                              ;   in Loop: Header=BB75_15 Depth=1
	s_or_b32 exec_lo, exec_lo, s0
	v_mov_b64_e32 v[22:23], v[20:21]
	v_mov_b64_e32 v[24:25], v[18:19]
	s_mov_b32 s25, 0
	s_branch .LBB75_23
.LBB75_45:                              ;   in Loop: Header=BB75_15 Depth=1
	s_and_not1_b32 vcc_lo, exec_lo, s21
	s_cbranch_vccnz .LBB75_47
; %bb.46:                               ;   in Loop: Header=BB75_15 Depth=1
	v_mul_f64_e32 v[18:19], v[6:7], v[6:7]
	s_delay_alu instid0(VALU_DEP_1) | instskip(NEXT) | instid1(VALU_DEP_1)
	v_fmac_f64_e32 v[18:19], v[8:9], v[8:9]
	v_div_scale_f64 v[20:21], null, v[18:19], v[18:19], 1.0
	v_div_scale_f64 v[26:27], vcc_lo, 1.0, v[18:19], 1.0
	s_delay_alu instid0(VALU_DEP_2) | instskip(SKIP_1) | instid1(TRANS32_DEP_1)
	v_rcp_f64_e32 v[22:23], v[20:21]
	v_nop
	v_fma_f64 v[24:25], -v[20:21], v[22:23], 1.0
	s_delay_alu instid0(VALU_DEP_1) | instskip(NEXT) | instid1(VALU_DEP_1)
	v_fmac_f64_e32 v[22:23], v[22:23], v[24:25]
	v_fma_f64 v[24:25], -v[20:21], v[22:23], 1.0
	s_delay_alu instid0(VALU_DEP_1) | instskip(NEXT) | instid1(VALU_DEP_1)
	v_fmac_f64_e32 v[22:23], v[22:23], v[24:25]
	v_mul_f64_e32 v[24:25], v[26:27], v[22:23]
	s_delay_alu instid0(VALU_DEP_1) | instskip(NEXT) | instid1(VALU_DEP_1)
	v_fma_f64 v[20:21], -v[20:21], v[24:25], v[26:27]
	v_div_fmas_f64 v[20:21], v[20:21], v[22:23], v[24:25]
	v_fma_f64 v[22:23], 0, v[6:7], v[8:9]
	v_fma_f64 v[6:7], v[8:9], 0, -v[6:7]
	s_delay_alu instid0(VALU_DEP_3) | instskip(NEXT) | instid1(VALU_DEP_1)
	v_div_fixup_f64 v[20:21], v[20:21], v[18:19], 1.0
	v_mul_f64_e32 v[18:19], v[22:23], v[20:21]
	s_delay_alu instid0(VALU_DEP_3)
	v_mul_f64_e32 v[20:21], v[6:7], v[20:21]
.LBB75_47:                              ;   in Loop: Header=BB75_15 Depth=1
	s_delay_alu instid0(VALU_DEP_2) | instskip(NEXT) | instid1(VALU_DEP_2)
	v_mov_b64_e32 v[24:25], v[18:19]
	v_mov_b64_e32 v[22:23], v[20:21]
	;; [unrolled: 1-line block ×4, first 2 shown]
	s_mov_b32 s25, 2
	s_mov_b32 s0, -1
	s_cmp_gt_i32 s25, 3
	s_mov_b32 s1, -1
	s_cbranch_scc1 .LBB75_24
.LBB75_48:                              ;   in Loop: Header=BB75_15 Depth=1
	s_cmp_eq_u32 s25, 0
	s_cselect_b32 s1, -1, 0
	s_delay_alu instid0(SALU_CYCLE_1)
	s_and_not1_b32 vcc_lo, exec_lo, s1
	s_cbranch_vccnz .LBB75_25
.LBB75_49:                              ;   in Loop: Header=BB75_15 Depth=1
	s_add_nc_u64 s[18:19], s[18:19], 1
	s_delay_alu instid0(SALU_CYCLE_1) | instskip(NEXT) | instid1(VALU_DEP_2)
	v_cmp_ge_i64_e64 s0, s[18:19], s[14:15]
	v_mov_b64_e32 v[4:5], v[28:29]
	s_delay_alu instid0(VALU_DEP_3)
	v_mov_b64_e32 v[2:3], v[26:27]
	s_and_not1_b32 vcc_lo, exec_lo, s0
	s_cbranch_vccz .LBB75_52
.LBB75_50:                              ;   in Loop: Header=BB75_15 Depth=1
	s_delay_alu instid0(VALU_DEP_4) | instskip(NEXT) | instid1(VALU_DEP_4)
	v_mov_b64_e32 v[20:21], v[22:23]
	v_mov_b64_e32 v[18:19], v[24:25]
	s_sub_co_i32 s0, s18, s12
	s_delay_alu instid0(SALU_CYCLE_1) | instskip(NEXT) | instid1(SALU_CYCLE_1)
	s_and_b32 s1, s0, 63
	s_cmp_lg_u32 s1, 0
	s_cbranch_scc1 .LBB75_15
	s_branch .LBB75_12
.LBB75_51:
	v_mov_b64_e32 v[24:25], 1.0
	v_mov_b64_e32 v[22:23], 0
.LBB75_52:
	s_cmp_lg_u32 s6, 0
	s_cbranch_scc0 .LBB75_58
; %bb.53:
	s_and_saveexec_b32 s0, s2
	s_cbranch_execz .LBB75_55
.LBB75_54:
	s_wait_loadcnt_dscnt 0x0
	v_lshl_add_u64 v[6:7], s[22:23], 4, v[10:11]
	global_store_b128 v[6:7], v[2:5], off
.LBB75_55:
	s_wait_xcnt 0x0
	s_or_b32 exec_lo, exec_lo, s0
	global_wb scope:SCOPE_DEV
	s_wait_storecnt 0x0
	s_wait_loadcnt_dscnt 0x0
	global_inv scope:SCOPE_DEV
	s_wait_loadcnt 0x0
	s_barrier_signal -1
	s_barrier_wait -1
	s_mov_b32 s0, exec_lo
	v_cmpx_eq_u32_e32 0, v0
	s_cbranch_execz .LBB75_57
; %bb.56:
	s_add_co_i32 s0, s20, s7
	s_delay_alu instid0(SALU_CYCLE_1)
	v_dual_mov_b32 v0, 1 :: v_dual_mov_b32 v1, s0
	global_store_b32 v1, v0, s[16:17] scale_offset scope:SCOPE_DEV
.LBB75_57:
	s_endpgm
.LBB75_58:
	s_wait_loadcnt_dscnt 0x0
	s_delay_alu instid0(VALU_DEP_1) | instskip(SKIP_1) | instid1(VALU_DEP_2)
	v_mul_f64_e64 v[6:7], v[22:23], -v[4:5]
	v_mul_f64_e32 v[8:9], v[22:23], v[2:3]
	v_fmac_f64_e32 v[6:7], v[2:3], v[24:25]
	s_delay_alu instid0(VALU_DEP_2) | instskip(NEXT) | instid1(VALU_DEP_2)
	v_fmac_f64_e32 v[8:9], v[4:5], v[24:25]
	v_mov_b64_e32 v[2:3], v[6:7]
	s_delay_alu instid0(VALU_DEP_2)
	v_mov_b64_e32 v[4:5], v[8:9]
	s_and_saveexec_b32 s0, s2
	s_cbranch_execnz .LBB75_54
	s_branch .LBB75_55
	.section	.rodata,"a",@progbits
	.p2align	6, 0x0
	.amdhsa_kernel _ZN9rocsparseL5csrsmILj64ELj64ELb0Eli21rocsparse_complex_numIdEEEv20rocsparse_operation_T3_S4_NS_24const_host_device_scalarIT4_EEPKT2_PKS4_PKS6_PS6_lPiSC_PS4_21rocsparse_index_base_20rocsparse_fill_mode_20rocsparse_diag_type_b
		.amdhsa_group_segment_fixed_size 1280
		.amdhsa_private_segment_fixed_size 16
		.amdhsa_kernarg_size 112
		.amdhsa_user_sgpr_count 2
		.amdhsa_user_sgpr_dispatch_ptr 0
		.amdhsa_user_sgpr_queue_ptr 0
		.amdhsa_user_sgpr_kernarg_segment_ptr 1
		.amdhsa_user_sgpr_dispatch_id 0
		.amdhsa_user_sgpr_kernarg_preload_length 0
		.amdhsa_user_sgpr_kernarg_preload_offset 0
		.amdhsa_user_sgpr_private_segment_size 0
		.amdhsa_wavefront_size32 1
		.amdhsa_uses_dynamic_stack 0
		.amdhsa_enable_private_segment 1
		.amdhsa_system_sgpr_workgroup_id_x 1
		.amdhsa_system_sgpr_workgroup_id_y 0
		.amdhsa_system_sgpr_workgroup_id_z 0
		.amdhsa_system_sgpr_workgroup_info 0
		.amdhsa_system_vgpr_workitem_id 0
		.amdhsa_next_free_vgpr 34
		.amdhsa_next_free_sgpr 28
		.amdhsa_named_barrier_count 0
		.amdhsa_reserve_vcc 1
		.amdhsa_float_round_mode_32 0
		.amdhsa_float_round_mode_16_64 0
		.amdhsa_float_denorm_mode_32 3
		.amdhsa_float_denorm_mode_16_64 3
		.amdhsa_fp16_overflow 0
		.amdhsa_memory_ordered 1
		.amdhsa_forward_progress 1
		.amdhsa_inst_pref_size 17
		.amdhsa_round_robin_scheduling 0
		.amdhsa_exception_fp_ieee_invalid_op 0
		.amdhsa_exception_fp_denorm_src 0
		.amdhsa_exception_fp_ieee_div_zero 0
		.amdhsa_exception_fp_ieee_overflow 0
		.amdhsa_exception_fp_ieee_underflow 0
		.amdhsa_exception_fp_ieee_inexact 0
		.amdhsa_exception_int_div_zero 0
	.end_amdhsa_kernel
	.section	.text._ZN9rocsparseL5csrsmILj64ELj64ELb0Eli21rocsparse_complex_numIdEEEv20rocsparse_operation_T3_S4_NS_24const_host_device_scalarIT4_EEPKT2_PKS4_PKS6_PS6_lPiSC_PS4_21rocsparse_index_base_20rocsparse_fill_mode_20rocsparse_diag_type_b,"axG",@progbits,_ZN9rocsparseL5csrsmILj64ELj64ELb0Eli21rocsparse_complex_numIdEEEv20rocsparse_operation_T3_S4_NS_24const_host_device_scalarIT4_EEPKT2_PKS4_PKS6_PS6_lPiSC_PS4_21rocsparse_index_base_20rocsparse_fill_mode_20rocsparse_diag_type_b,comdat
.Lfunc_end75:
	.size	_ZN9rocsparseL5csrsmILj64ELj64ELb0Eli21rocsparse_complex_numIdEEEv20rocsparse_operation_T3_S4_NS_24const_host_device_scalarIT4_EEPKT2_PKS4_PKS6_PS6_lPiSC_PS4_21rocsparse_index_base_20rocsparse_fill_mode_20rocsparse_diag_type_b, .Lfunc_end75-_ZN9rocsparseL5csrsmILj64ELj64ELb0Eli21rocsparse_complex_numIdEEEv20rocsparse_operation_T3_S4_NS_24const_host_device_scalarIT4_EEPKT2_PKS4_PKS6_PS6_lPiSC_PS4_21rocsparse_index_base_20rocsparse_fill_mode_20rocsparse_diag_type_b
                                        ; -- End function
	.set _ZN9rocsparseL5csrsmILj64ELj64ELb0Eli21rocsparse_complex_numIdEEEv20rocsparse_operation_T3_S4_NS_24const_host_device_scalarIT4_EEPKT2_PKS4_PKS6_PS6_lPiSC_PS4_21rocsparse_index_base_20rocsparse_fill_mode_20rocsparse_diag_type_b.num_vgpr, 34
	.set _ZN9rocsparseL5csrsmILj64ELj64ELb0Eli21rocsparse_complex_numIdEEEv20rocsparse_operation_T3_S4_NS_24const_host_device_scalarIT4_EEPKT2_PKS4_PKS6_PS6_lPiSC_PS4_21rocsparse_index_base_20rocsparse_fill_mode_20rocsparse_diag_type_b.num_agpr, 0
	.set _ZN9rocsparseL5csrsmILj64ELj64ELb0Eli21rocsparse_complex_numIdEEEv20rocsparse_operation_T3_S4_NS_24const_host_device_scalarIT4_EEPKT2_PKS4_PKS6_PS6_lPiSC_PS4_21rocsparse_index_base_20rocsparse_fill_mode_20rocsparse_diag_type_b.numbered_sgpr, 28
	.set _ZN9rocsparseL5csrsmILj64ELj64ELb0Eli21rocsparse_complex_numIdEEEv20rocsparse_operation_T3_S4_NS_24const_host_device_scalarIT4_EEPKT2_PKS4_PKS6_PS6_lPiSC_PS4_21rocsparse_index_base_20rocsparse_fill_mode_20rocsparse_diag_type_b.num_named_barrier, 0
	.set _ZN9rocsparseL5csrsmILj64ELj64ELb0Eli21rocsparse_complex_numIdEEEv20rocsparse_operation_T3_S4_NS_24const_host_device_scalarIT4_EEPKT2_PKS4_PKS6_PS6_lPiSC_PS4_21rocsparse_index_base_20rocsparse_fill_mode_20rocsparse_diag_type_b.private_seg_size, 16
	.set _ZN9rocsparseL5csrsmILj64ELj64ELb0Eli21rocsparse_complex_numIdEEEv20rocsparse_operation_T3_S4_NS_24const_host_device_scalarIT4_EEPKT2_PKS4_PKS6_PS6_lPiSC_PS4_21rocsparse_index_base_20rocsparse_fill_mode_20rocsparse_diag_type_b.uses_vcc, 1
	.set _ZN9rocsparseL5csrsmILj64ELj64ELb0Eli21rocsparse_complex_numIdEEEv20rocsparse_operation_T3_S4_NS_24const_host_device_scalarIT4_EEPKT2_PKS4_PKS6_PS6_lPiSC_PS4_21rocsparse_index_base_20rocsparse_fill_mode_20rocsparse_diag_type_b.uses_flat_scratch, 0
	.set _ZN9rocsparseL5csrsmILj64ELj64ELb0Eli21rocsparse_complex_numIdEEEv20rocsparse_operation_T3_S4_NS_24const_host_device_scalarIT4_EEPKT2_PKS4_PKS6_PS6_lPiSC_PS4_21rocsparse_index_base_20rocsparse_fill_mode_20rocsparse_diag_type_b.has_dyn_sized_stack, 0
	.set _ZN9rocsparseL5csrsmILj64ELj64ELb0Eli21rocsparse_complex_numIdEEEv20rocsparse_operation_T3_S4_NS_24const_host_device_scalarIT4_EEPKT2_PKS4_PKS6_PS6_lPiSC_PS4_21rocsparse_index_base_20rocsparse_fill_mode_20rocsparse_diag_type_b.has_recursion, 0
	.set _ZN9rocsparseL5csrsmILj64ELj64ELb0Eli21rocsparse_complex_numIdEEEv20rocsparse_operation_T3_S4_NS_24const_host_device_scalarIT4_EEPKT2_PKS4_PKS6_PS6_lPiSC_PS4_21rocsparse_index_base_20rocsparse_fill_mode_20rocsparse_diag_type_b.has_indirect_call, 0
	.section	.AMDGPU.csdata,"",@progbits
; Kernel info:
; codeLenInByte = 2144
; TotalNumSgprs: 30
; NumVgprs: 34
; ScratchSize: 16
; MemoryBound: 1
; FloatMode: 240
; IeeeMode: 1
; LDSByteSize: 1280 bytes/workgroup (compile time only)
; SGPRBlocks: 0
; VGPRBlocks: 2
; NumSGPRsForWavesPerEU: 30
; NumVGPRsForWavesPerEU: 34
; NamedBarCnt: 0
; Occupancy: 16
; WaveLimiterHint : 1
; COMPUTE_PGM_RSRC2:SCRATCH_EN: 1
; COMPUTE_PGM_RSRC2:USER_SGPR: 2
; COMPUTE_PGM_RSRC2:TRAP_HANDLER: 0
; COMPUTE_PGM_RSRC2:TGID_X_EN: 1
; COMPUTE_PGM_RSRC2:TGID_Y_EN: 0
; COMPUTE_PGM_RSRC2:TGID_Z_EN: 0
; COMPUTE_PGM_RSRC2:TIDIG_COMP_CNT: 0
	.section	.text._ZN9rocsparseL5csrsmILj128ELj64ELb1Eli21rocsparse_complex_numIdEEEv20rocsparse_operation_T3_S4_NS_24const_host_device_scalarIT4_EEPKT2_PKS4_PKS6_PS6_lPiSC_PS4_21rocsparse_index_base_20rocsparse_fill_mode_20rocsparse_diag_type_b,"axG",@progbits,_ZN9rocsparseL5csrsmILj128ELj64ELb1Eli21rocsparse_complex_numIdEEEv20rocsparse_operation_T3_S4_NS_24const_host_device_scalarIT4_EEPKT2_PKS4_PKS6_PS6_lPiSC_PS4_21rocsparse_index_base_20rocsparse_fill_mode_20rocsparse_diag_type_b,comdat
	.globl	_ZN9rocsparseL5csrsmILj128ELj64ELb1Eli21rocsparse_complex_numIdEEEv20rocsparse_operation_T3_S4_NS_24const_host_device_scalarIT4_EEPKT2_PKS4_PKS6_PS6_lPiSC_PS4_21rocsparse_index_base_20rocsparse_fill_mode_20rocsparse_diag_type_b ; -- Begin function _ZN9rocsparseL5csrsmILj128ELj64ELb1Eli21rocsparse_complex_numIdEEEv20rocsparse_operation_T3_S4_NS_24const_host_device_scalarIT4_EEPKT2_PKS4_PKS6_PS6_lPiSC_PS4_21rocsparse_index_base_20rocsparse_fill_mode_20rocsparse_diag_type_b
	.p2align	8
	.type	_ZN9rocsparseL5csrsmILj128ELj64ELb1Eli21rocsparse_complex_numIdEEEv20rocsparse_operation_T3_S4_NS_24const_host_device_scalarIT4_EEPKT2_PKS4_PKS6_PS6_lPiSC_PS4_21rocsparse_index_base_20rocsparse_fill_mode_20rocsparse_diag_type_b,@function
_ZN9rocsparseL5csrsmILj128ELj64ELb1Eli21rocsparse_complex_numIdEEEv20rocsparse_operation_T3_S4_NS_24const_host_device_scalarIT4_EEPKT2_PKS4_PKS6_PS6_lPiSC_PS4_21rocsparse_index_base_20rocsparse_fill_mode_20rocsparse_diag_type_b: ; @_ZN9rocsparseL5csrsmILj128ELj64ELb1Eli21rocsparse_complex_numIdEEEv20rocsparse_operation_T3_S4_NS_24const_host_device_scalarIT4_EEPKT2_PKS4_PKS6_PS6_lPiSC_PS4_21rocsparse_index_base_20rocsparse_fill_mode_20rocsparse_diag_type_b
; %bb.0:
	s_clause 0x1
	s_load_b128 s[4:7], s[0:1], 0x60
	s_load_b128 s[8:11], s[0:1], 0x10
	v_mbcnt_lo_u32_b32 v1, -1, 0
	s_clause 0x1
	s_load_b64 s[2:3], s[0:1], 0x20
	s_load_b64 s[12:13], s[0:1], 0x50
	s_delay_alu instid0(VALU_DEP_1) | instskip(NEXT) | instid1(VALU_DEP_1)
	v_dual_mov_b32 v2, 0 :: v_dual_lshlrev_b32 v3, 20, v1
	v_add_nc_u64_e32 v[2:3], src_flat_scratch_base_lo, v[2:3]
	s_wait_kmcnt 0x0
	s_bitcmp1_b32 s7, 0
	v_mov_b64_e32 v[4:5], s[8:9]
	s_cselect_b32 vcc_lo, -1, 0
	v_mov_b64_e32 v[8:9], s[10:11]
	s_delay_alu instid0(VALU_DEP_3)
	v_cndmask_b32_e32 v3, s9, v3, vcc_lo
	v_cndmask_b32_e32 v2, s8, v2, vcc_lo
	s_and_b32 vcc_lo, exec_lo, vcc_lo
	scratch_store_b64 off, v[4:5], off
	flat_load_b64 v[6:7], v[2:3]
	s_cbranch_vccnz .LBB76_2
; %bb.1:
	v_mov_b32_e32 v1, 0
	flat_load_b64 v[8:9], v1, s[8:9] offset:8
.LBB76_2:
	s_load_b96 s[16:18], s[0:1], 0x0
	s_bfe_u32 s9, ttmp6, 0x4000c
	s_and_b32 s8, ttmp6, 15
	s_add_co_i32 s9, s9, 1
	s_getreg_b32 s11, hwreg(HW_REG_IB_STS2, 6, 4)
	s_mul_i32 s9, ttmp9, s9
	s_delay_alu instid0(SALU_CYCLE_1) | instskip(SKIP_3) | instid1(SALU_CYCLE_2)
	s_add_co_i32 s8, s8, s9
	s_wait_kmcnt 0x0
	s_cvt_f32_u32 s7, s17
	s_sub_co_i32 s10, 0, s17
	v_rcp_iflag_f32_e32 v1, s7
	v_nop
	s_delay_alu instid0(TRANS32_DEP_1) | instskip(SKIP_1) | instid1(SALU_CYCLE_3)
	v_readfirstlane_b32 s7, v1
	s_mul_f32 s7, s7, 0x4f7ffffe
	s_cvt_u32_f32 s7, s7
	s_delay_alu instid0(SALU_CYCLE_3) | instskip(NEXT) | instid1(SALU_CYCLE_1)
	s_mul_i32 s10, s10, s7
	s_mul_hi_u32 s10, s7, s10
	s_delay_alu instid0(SALU_CYCLE_1) | instskip(SKIP_2) | instid1(SALU_CYCLE_1)
	s_add_co_i32 s7, s7, s10
	s_cmp_eq_u32 s11, 0
	s_cselect_b32 s8, ttmp9, s8
	s_mul_hi_u32 s7, s8, s7
	s_delay_alu instid0(SALU_CYCLE_1) | instskip(SKIP_2) | instid1(SALU_CYCLE_1)
	s_mul_i32 s9, s7, s17
	s_add_co_i32 s10, s7, 1
	s_sub_co_i32 s9, s8, s9
	s_sub_co_i32 s11, s9, s17
	s_cmp_ge_u32 s9, s17
	s_cselect_b32 s7, s10, s7
	s_cselect_b32 s9, s11, s9
	s_add_co_i32 s10, s7, 1
	s_cmp_ge_u32 s9, s17
	s_cselect_b32 s19, s10, s7
	s_delay_alu instid0(SALU_CYCLE_1) | instskip(SKIP_2) | instid1(SALU_CYCLE_1)
	s_mul_i32 s7, s19, s17
	v_lshl_or_b32 v10, s19, 7, v0
	s_sub_co_i32 s8, s8, s7
	s_ashr_i32 s9, s8, 31
	s_delay_alu instid0(VALU_DEP_1) | instskip(SKIP_1) | instid1(SALU_CYCLE_1)
	v_ashrrev_i32_e32 v11, 31, v10
	s_lshl_b64 s[8:9], s[8:9], 2
	s_add_nc_u64 s[12:13], s[12:13], s[8:9]
	s_load_b32 s20, s[12:13], 0x0
	s_load_b128 s[8:11], s[0:1], 0x38
	s_wait_kmcnt 0x0
	s_ashr_i32 s21, s20, 31
	s_delay_alu instid0(SALU_CYCLE_1)
	s_lshl_b64 s[12:13], s[20:21], 3
	s_mul_u64 s[22:23], s[10:11], s[20:21]
	s_add_nc_u64 s[2:3], s[2:3], s[12:13]
	v_add_nc_u64_e32 v[12:13], s[22:23], v[10:11]
	s_load_b128 s[12:15], s[2:3], 0x0
	s_wait_xcnt 0x0
	v_cmp_gt_i32_e64 s2, s18, v10
	s_cmp_lg_u32 s16, 0x71
	s_cbranch_scc0 .LBB76_6
; %bb.3:
	v_mov_b64_e32 v[4:5], 0
	v_mov_b64_e32 v[2:3], 0
	s_and_saveexec_b32 s3, s2
	s_cbranch_execz .LBB76_5
; %bb.4:
	v_lshl_add_u64 v[2:3], v[12:13], 4, s[8:9]
	global_load_b128 v[14:17], v[2:3], off
	s_wait_loadcnt_dscnt 0x0
	v_mul_f64_e64 v[2:3], v[16:17], -v[8:9]
	v_mul_f64_e32 v[4:5], v[6:7], v[16:17]
	s_delay_alu instid0(VALU_DEP_2) | instskip(NEXT) | instid1(VALU_DEP_2)
	v_fmac_f64_e32 v[2:3], v[6:7], v[14:15]
	v_fmac_f64_e32 v[4:5], v[8:9], v[14:15]
.LBB76_5:
	s_or_b32 exec_lo, exec_lo, s3
	s_load_b64 s[16:17], s[0:1], 0x48
	s_cbranch_execz .LBB76_7
	s_branch .LBB76_10
.LBB76_6:
                                        ; implicit-def: $vgpr4_vgpr5
	s_load_b64 s[16:17], s[0:1], 0x48
.LBB76_7:
	v_mov_b64_e32 v[4:5], 0
	v_mov_b64_e32 v[2:3], 0
	s_and_saveexec_b32 s3, s2
	s_cbranch_execz .LBB76_9
; %bb.8:
	v_lshl_add_u64 v[2:3], v[12:13], 4, s[8:9]
	global_load_b128 v[12:15], v[2:3], off
	s_wait_loadcnt_dscnt 0x0
	v_mul_f64_e32 v[2:3], v[8:9], v[14:15]
	v_mul_f64_e64 v[4:5], v[6:7], -v[14:15]
	s_delay_alu instid0(VALU_DEP_2) | instskip(NEXT) | instid1(VALU_DEP_2)
	v_fmac_f64_e32 v[2:3], v[6:7], v[12:13]
	v_fmac_f64_e32 v[4:5], v[8:9], v[12:13]
.LBB76_9:
	s_or_b32 exec_lo, exec_lo, s3
.LBB76_10:
	s_wait_kmcnt 0x0
	v_cmp_ge_i64_e64 s3, s[12:13], s[14:15]
	v_lshl_add_u64 v[10:11], v[10:11], 4, s[8:9]
	s_and_b32 vcc_lo, exec_lo, s3
	v_cmp_eq_u32_e64 s3, 0, v0
	s_cbranch_vccnz .LBB76_53
; %bb.11:
	s_clause 0x1
	s_load_b128 s[24:27], s[0:1], 0x28
	s_load_b64 s[8:9], s[0:1], 0x58
	s_wait_loadcnt_dscnt 0x0
	v_dual_mov_b32 v1, 0 :: v_dual_lshlrev_b32 v6, 2, v0
	v_lshlrev_b32_e32 v12, 4, v0
	v_mov_b64_e32 v[18:19], 1.0
	v_mov_b64_e32 v[20:21], 0
	s_delay_alu instid0(VALU_DEP_4)
	v_dual_mov_b32 v7, v1 :: v_dual_mov_b32 v13, v1
	s_wait_xcnt 0x0
	s_mov_b32 s1, 0
	s_mov_b32 s0, s4
	v_or_b32_e32 v30, 0x800, v6
	s_cmp_eq_u32 s6, 0
	s_sub_nc_u64 s[12:13], s[12:13], s[0:1]
	s_cselect_b32 s21, -1, 0
	s_sub_nc_u64 s[14:15], s[14:15], s[0:1]
	s_mov_b64 s[18:19], s[12:13]
	s_wait_kmcnt 0x0
	v_add_nc_u64_e32 v[14:15], s[24:25], v[6:7]
	v_add_nc_u64_e32 v[16:17], s[26:27], v[12:13]
	s_add_co_i32 s26, s20, s4
	s_sub_co_i32 s0, s18, s12
	s_delay_alu instid0(SALU_CYCLE_1) | instskip(NEXT) | instid1(SALU_CYCLE_1)
	s_and_b32 s1, s0, 0x7f
	s_cmp_lg_u32 s1, 0
	s_cbranch_scc1 .LBB76_15
.LBB76_12:
	v_mov_b64_e32 v[6:7], -1.0
	v_mov_b64_e32 v[8:9], 0
	v_mov_b32_e32 v13, -1
	s_sub_nc_u64 s[24:25], s[14:15], s[18:19]
	s_mov_b32 s0, exec_lo
	v_cmpx_gt_i64_e64 s[24:25], v[0:1]
	s_cbranch_execz .LBB76_14
; %bb.13:
	v_lshl_add_u64 v[6:7], s[18:19], 2, v[14:15]
	global_load_b32 v13, v[6:7], off
	s_wait_xcnt 0x0
	v_lshl_add_u64 v[6:7], s[18:19], 4, v[16:17]
	global_load_b128 v[6:9], v[6:7], off
	s_wait_loadcnt 0x1
	v_subrev_nc_u32_e32 v13, s4, v13
.LBB76_14:
	s_wait_xcnt 0x0
	s_or_b32 exec_lo, exec_lo, s0
	ds_store_b32 v30, v13
	s_wait_loadcnt 0x0
	ds_store_b128 v12, v[6:9]
.LBB76_15:                              ; =>This Loop Header: Depth=1
                                        ;     Child Loop BB76_51 Depth 2
                                        ;       Child Loop BB76_52 Depth 3
	s_lshl_b32 s0, s1, 4
	s_wait_storecnt_dscnt 0x0
	v_mov_b32_e32 v6, s0
	s_barrier_signal -1
	s_barrier_wait -1
	s_lshl_b32 s1, s1, 2
	ds_load_b128 v[22:25], v6
	v_mov_b32_e32 v6, s1
	ds_load_b32 v6, v6 offset:2048
	s_wait_dscnt 0x1
	v_cmp_eq_f64_e32 vcc_lo, 0, v[22:23]
	v_cmp_eq_f64_e64 s0, 0, v[24:25]
	s_wait_dscnt 0x0
	v_readfirstlane_b32 s24, v6
	s_and_b32 s0, vcc_lo, s0
	s_cmp_eq_u32 s24, s20
	s_cselect_b32 s25, -1, 0
	s_cmp_lg_u32 s24, s20
	s_cselect_b32 s1, -1, 0
	s_and_b32 s0, s0, s25
	s_delay_alu instid0(SALU_CYCLE_1) | instskip(NEXT) | instid1(SALU_CYCLE_1)
	s_and_b32 s0, s21, s0
	v_cndmask_b32_e64 v7, v25, 0, s0
	v_cndmask_b32_e64 v6, v24, 0, s0
	;; [unrolled: 1-line block ×4, first 2 shown]
	s_and_b32 s13, s3, s0
	s_delay_alu instid0(SALU_CYCLE_1)
	s_and_saveexec_b32 s0, s13
	s_cbranch_execz .LBB76_19
; %bb.16:                               ;   in Loop: Header=BB76_15 Depth=1
	v_mbcnt_lo_u32_b32 v6, exec_lo, 0
	s_mov_b32 s13, exec_lo
	s_delay_alu instid0(VALU_DEP_1)
	v_cmpx_eq_u32_e32 0, v6
	s_cbranch_execz .LBB76_18
; %bb.17:                               ;   in Loop: Header=BB76_15 Depth=1
	v_mov_b32_e32 v6, s26
	global_atomic_min_i32 v1, v6, s[8:9] scope:SCOPE_DEV
.LBB76_18:                              ;   in Loop: Header=BB76_15 Depth=1
	s_wait_xcnt 0x0
	s_or_b32 exec_lo, exec_lo, s13
	v_mov_b64_e32 v[8:9], 1.0
	v_mov_b64_e32 v[6:7], 0
.LBB76_19:                              ;   in Loop: Header=BB76_15 Depth=1
	s_or_b32 exec_lo, exec_lo, s0
	s_mov_b32 s27, -1
	s_mov_b32 s0, 0
	s_cmp_lt_i32 s5, 1
	s_mov_b32 s13, 0
                                        ; implicit-def: $vgpr22_vgpr23
                                        ; implicit-def: $vgpr24_vgpr25
	s_cbranch_scc0 .LBB76_26
; %bb.20:                               ;   in Loop: Header=BB76_15 Depth=1
	s_and_b32 vcc_lo, exec_lo, s27
	s_mov_b32 s25, 4
	s_cbranch_vccnz .LBB76_33
.LBB76_21:                              ;   in Loop: Header=BB76_15 Depth=1
	v_mov_b64_e32 v[28:29], v[4:5]
	v_mov_b64_e32 v[26:27], v[2:3]
	s_and_b32 vcc_lo, exec_lo, s13
	s_cbranch_vccnz .LBB76_38
.LBB76_22:                              ;   in Loop: Header=BB76_15 Depth=1
	s_and_b32 vcc_lo, exec_lo, s0
	s_cbranch_vccnz .LBB76_43
.LBB76_23:                              ;   in Loop: Header=BB76_15 Depth=1
	s_mov_b32 s0, -1
	s_cmp_gt_i32 s25, 3
	s_mov_b32 s1, -1
	s_cbranch_scc0 .LBB76_46
.LBB76_24:                              ;   in Loop: Header=BB76_15 Depth=1
	s_and_not1_b32 vcc_lo, exec_lo, s1
	s_cbranch_vccz .LBB76_47
.LBB76_25:                              ;   in Loop: Header=BB76_15 Depth=1
	s_delay_alu instid0(VALU_DEP_1) | instskip(NEXT) | instid1(VALU_DEP_2)
	v_mov_b64_e32 v[4:5], v[28:29]
	v_mov_b64_e32 v[2:3], v[26:27]
	s_and_not1_b32 vcc_lo, exec_lo, s0
	s_cbranch_vccnz .LBB76_48
	s_branch .LBB76_54
.LBB76_26:                              ;   in Loop: Header=BB76_15 Depth=1
	s_cmp_eq_u32 s5, 1
	s_mov_b32 s13, -1
                                        ; implicit-def: $vgpr22_vgpr23
                                        ; implicit-def: $vgpr24_vgpr25
	s_cbranch_scc0 .LBB76_32
; %bb.27:                               ;   in Loop: Header=BB76_15 Depth=1
	v_mov_b64_e32 v[22:23], v[20:21]
	v_mov_b64_e32 v[24:25], v[18:19]
	s_cmp_ge_i32 s24, s20
	s_mov_b32 s13, 0
	s_cbranch_scc0 .LBB76_32
; %bb.28:                               ;   in Loop: Header=BB76_15 Depth=1
	s_and_b32 vcc_lo, exec_lo, s25
	s_mov_b32 s13, -1
                                        ; implicit-def: $vgpr22_vgpr23
                                        ; implicit-def: $vgpr24_vgpr25
	s_cbranch_vccz .LBB76_32
; %bb.29:                               ;   in Loop: Header=BB76_15 Depth=1
	v_mov_b64_e32 v[22:23], v[20:21]
	v_mov_b64_e32 v[24:25], v[18:19]
	s_and_not1_b32 vcc_lo, exec_lo, s21
	s_cbranch_vccnz .LBB76_31
; %bb.30:                               ;   in Loop: Header=BB76_15 Depth=1
	v_mul_f64_e32 v[22:23], v[6:7], v[6:7]
	s_delay_alu instid0(VALU_DEP_1) | instskip(NEXT) | instid1(VALU_DEP_1)
	v_fmac_f64_e32 v[22:23], v[8:9], v[8:9]
	v_div_scale_f64 v[24:25], null, v[22:23], v[22:23], 1.0
	v_div_scale_f64 v[32:33], vcc_lo, 1.0, v[22:23], 1.0
	s_delay_alu instid0(VALU_DEP_2) | instskip(SKIP_1) | instid1(TRANS32_DEP_1)
	v_rcp_f64_e32 v[26:27], v[24:25]
	v_nop
	v_fma_f64 v[28:29], -v[24:25], v[26:27], 1.0
	s_delay_alu instid0(VALU_DEP_1) | instskip(NEXT) | instid1(VALU_DEP_1)
	v_fmac_f64_e32 v[26:27], v[26:27], v[28:29]
	v_fma_f64 v[28:29], -v[24:25], v[26:27], 1.0
	s_delay_alu instid0(VALU_DEP_1) | instskip(NEXT) | instid1(VALU_DEP_1)
	v_fmac_f64_e32 v[26:27], v[26:27], v[28:29]
	v_mul_f64_e32 v[28:29], v[32:33], v[26:27]
	s_delay_alu instid0(VALU_DEP_1) | instskip(NEXT) | instid1(VALU_DEP_1)
	v_fma_f64 v[24:25], -v[24:25], v[28:29], v[32:33]
	v_div_fmas_f64 v[24:25], v[24:25], v[26:27], v[28:29]
	v_fma_f64 v[26:27], 0, v[6:7], v[8:9]
	v_fma_f64 v[28:29], v[8:9], 0, -v[6:7]
	s_delay_alu instid0(VALU_DEP_3) | instskip(NEXT) | instid1(VALU_DEP_1)
	v_div_fixup_f64 v[22:23], v[24:25], v[22:23], 1.0
	v_mul_f64_e32 v[24:25], v[26:27], v[22:23]
	s_delay_alu instid0(VALU_DEP_3)
	v_mul_f64_e32 v[22:23], v[28:29], v[22:23]
.LBB76_31:                              ;   in Loop: Header=BB76_15 Depth=1
	s_mov_b32 s13, 0
.LBB76_32:                              ;   in Loop: Header=BB76_15 Depth=1
	s_mov_b32 s25, 4
	s_branch .LBB76_21
.LBB76_33:                              ;   in Loop: Header=BB76_15 Depth=1
	s_cmp_eq_u32 s5, 0
	s_cbranch_scc1 .LBB76_35
; %bb.34:                               ;   in Loop: Header=BB76_15 Depth=1
	s_mov_b32 s13, -1
	s_branch .LBB76_37
.LBB76_35:                              ;   in Loop: Header=BB76_15 Depth=1
	s_cmp_le_i32 s24, s20
	s_mov_b32 s13, 0
	s_cbranch_scc0 .LBB76_37
; %bb.36:                               ;   in Loop: Header=BB76_15 Depth=1
	s_mov_b32 s0, -1
	s_mov_b32 s13, s1
.LBB76_37:                              ;   in Loop: Header=BB76_15 Depth=1
	v_mov_b64_e32 v[22:23], v[20:21]
	v_mov_b64_e32 v[24:25], v[18:19]
	s_mov_b32 s25, 2
	v_mov_b64_e32 v[28:29], v[4:5]
	v_mov_b64_e32 v[26:27], v[2:3]
	s_and_b32 vcc_lo, exec_lo, s13
	s_cbranch_vccz .LBB76_22
.LBB76_38:                              ;   in Loop: Header=BB76_15 Depth=1
	s_and_saveexec_b32 s13, s3
	s_cbranch_execz .LBB76_40
; %bb.39:                               ;   in Loop: Header=BB76_15 Depth=1
	s_add_co_i32 s0, s24, s7
	s_delay_alu instid0(SALU_CYCLE_1)
	v_mov_b32_e32 v13, s0
	global_load_b32 v13, v13, s[16:17] scale_offset scope:SCOPE_DEV
	s_wait_loadcnt 0x0
	v_cmp_ne_u32_e32 vcc_lo, 0, v13
	s_cbranch_vccz .LBB76_49
.LBB76_40:                              ;   in Loop: Header=BB76_15 Depth=1
	s_wait_xcnt 0x0
	s_or_b32 exec_lo, exec_lo, s13
	v_mov_b64_e32 v[28:29], 0
	v_mov_b64_e32 v[26:27], 0
	s_wait_storecnt 0x0
	s_barrier_signal -1
	s_barrier_wait -1
	global_inv scope:SCOPE_DEV
	s_and_saveexec_b32 s0, s2
	s_cbranch_execz .LBB76_42
; %bb.41:                               ;   in Loop: Header=BB76_15 Depth=1
	s_ashr_i32 s25, s24, 31
	s_delay_alu instid0(SALU_CYCLE_1) | instskip(NEXT) | instid1(SALU_CYCLE_1)
	s_mul_u64 s[24:25], s[10:11], s[24:25]
	v_lshl_add_u64 v[22:23], s[24:25], 4, v[10:11]
	global_load_b128 v[22:25], v[22:23], off
	s_wait_loadcnt 0x0
	v_fma_f64 v[26:27], -v[8:9], v[22:23], v[2:3]
	v_fma_f64 v[22:23], -v[6:7], v[22:23], v[4:5]
	s_delay_alu instid0(VALU_DEP_2) | instskip(NEXT) | instid1(VALU_DEP_2)
	v_fmac_f64_e32 v[26:27], v[6:7], v[24:25]
	v_fma_f64 v[28:29], -v[8:9], v[24:25], v[22:23]
.LBB76_42:                              ;   in Loop: Header=BB76_15 Depth=1
	s_or_b32 exec_lo, exec_lo, s0
	v_mov_b64_e32 v[22:23], v[20:21]
	v_mov_b64_e32 v[24:25], v[18:19]
	s_mov_b32 s25, 0
	s_branch .LBB76_23
.LBB76_43:                              ;   in Loop: Header=BB76_15 Depth=1
	s_and_not1_b32 vcc_lo, exec_lo, s21
	s_cbranch_vccnz .LBB76_45
; %bb.44:                               ;   in Loop: Header=BB76_15 Depth=1
	v_mul_f64_e32 v[18:19], v[6:7], v[6:7]
	s_delay_alu instid0(VALU_DEP_1) | instskip(NEXT) | instid1(VALU_DEP_1)
	v_fmac_f64_e32 v[18:19], v[8:9], v[8:9]
	v_div_scale_f64 v[20:21], null, v[18:19], v[18:19], 1.0
	v_div_scale_f64 v[26:27], vcc_lo, 1.0, v[18:19], 1.0
	s_delay_alu instid0(VALU_DEP_2) | instskip(SKIP_1) | instid1(TRANS32_DEP_1)
	v_rcp_f64_e32 v[22:23], v[20:21]
	v_nop
	v_fma_f64 v[24:25], -v[20:21], v[22:23], 1.0
	s_delay_alu instid0(VALU_DEP_1) | instskip(NEXT) | instid1(VALU_DEP_1)
	v_fmac_f64_e32 v[22:23], v[22:23], v[24:25]
	v_fma_f64 v[24:25], -v[20:21], v[22:23], 1.0
	s_delay_alu instid0(VALU_DEP_1) | instskip(NEXT) | instid1(VALU_DEP_1)
	v_fmac_f64_e32 v[22:23], v[22:23], v[24:25]
	v_mul_f64_e32 v[24:25], v[26:27], v[22:23]
	s_delay_alu instid0(VALU_DEP_1) | instskip(NEXT) | instid1(VALU_DEP_1)
	v_fma_f64 v[20:21], -v[20:21], v[24:25], v[26:27]
	v_div_fmas_f64 v[20:21], v[20:21], v[22:23], v[24:25]
	v_fma_f64 v[22:23], 0, v[6:7], v[8:9]
	v_fma_f64 v[6:7], v[8:9], 0, -v[6:7]
	s_delay_alu instid0(VALU_DEP_3) | instskip(NEXT) | instid1(VALU_DEP_1)
	v_div_fixup_f64 v[20:21], v[20:21], v[18:19], 1.0
	v_mul_f64_e32 v[18:19], v[22:23], v[20:21]
	s_delay_alu instid0(VALU_DEP_3)
	v_mul_f64_e32 v[20:21], v[6:7], v[20:21]
.LBB76_45:                              ;   in Loop: Header=BB76_15 Depth=1
	s_delay_alu instid0(VALU_DEP_2) | instskip(NEXT) | instid1(VALU_DEP_2)
	v_mov_b64_e32 v[24:25], v[18:19]
	v_mov_b64_e32 v[22:23], v[20:21]
	;; [unrolled: 1-line block ×4, first 2 shown]
	s_mov_b32 s25, 2
	s_mov_b32 s0, -1
	s_cmp_gt_i32 s25, 3
	s_mov_b32 s1, -1
	s_cbranch_scc1 .LBB76_24
.LBB76_46:                              ;   in Loop: Header=BB76_15 Depth=1
	s_cmp_eq_u32 s25, 0
	s_cselect_b32 s1, -1, 0
	s_delay_alu instid0(SALU_CYCLE_1)
	s_and_not1_b32 vcc_lo, exec_lo, s1
	s_cbranch_vccnz .LBB76_25
.LBB76_47:                              ;   in Loop: Header=BB76_15 Depth=1
	s_add_nc_u64 s[18:19], s[18:19], 1
	s_delay_alu instid0(SALU_CYCLE_1) | instskip(NEXT) | instid1(VALU_DEP_2)
	v_cmp_ge_i64_e64 s0, s[18:19], s[14:15]
	v_mov_b64_e32 v[4:5], v[28:29]
	s_delay_alu instid0(VALU_DEP_3)
	v_mov_b64_e32 v[2:3], v[26:27]
	s_and_not1_b32 vcc_lo, exec_lo, s0
	s_cbranch_vccz .LBB76_54
.LBB76_48:                              ;   in Loop: Header=BB76_15 Depth=1
	s_delay_alu instid0(VALU_DEP_4) | instskip(NEXT) | instid1(VALU_DEP_4)
	v_mov_b64_e32 v[20:21], v[22:23]
	v_mov_b64_e32 v[18:19], v[24:25]
	s_sub_co_i32 s0, s18, s12
	s_delay_alu instid0(SALU_CYCLE_1) | instskip(NEXT) | instid1(SALU_CYCLE_1)
	s_and_b32 s1, s0, 0x7f
	s_cmp_lg_u32 s1, 0
	s_cbranch_scc1 .LBB76_15
	s_branch .LBB76_12
.LBB76_49:                              ;   in Loop: Header=BB76_15 Depth=1
	s_ashr_i32 s1, s0, 31
	s_mov_b32 s25, 0
	s_lshl_b64 s[0:1], s[0:1], 2
	s_delay_alu instid0(SALU_CYCLE_1)
	s_add_nc_u64 s[0:1], s[16:17], s[0:1]
	s_branch .LBB76_51
.LBB76_50:                              ;   in Loop: Header=BB76_51 Depth=2
	global_load_b32 v13, v1, s[0:1] scope:SCOPE_DEV
	s_cmp_lt_u32 s25, 0xf43
	s_cselect_b32 s27, -1, 0
	s_delay_alu instid0(SALU_CYCLE_1)
	s_cmp_lg_u32 s27, 0
	s_add_co_ci_u32 s25, s25, 0
	s_wait_loadcnt 0x0
	v_cmp_ne_u32_e32 vcc_lo, 0, v13
	s_cbranch_vccnz .LBB76_40
.LBB76_51:                              ;   Parent Loop BB76_15 Depth=1
                                        ; =>  This Loop Header: Depth=2
                                        ;       Child Loop BB76_52 Depth 3
	s_cmp_eq_u32 s25, 0
	s_mov_b32 s27, s25
	s_cbranch_scc1 .LBB76_50
.LBB76_52:                              ;   Parent Loop BB76_15 Depth=1
                                        ;     Parent Loop BB76_51 Depth=2
                                        ; =>    This Inner Loop Header: Depth=3
	s_add_co_i32 s27, s27, -1
	s_sleep 1
	s_cmp_eq_u32 s27, 0
	s_cbranch_scc0 .LBB76_52
	s_branch .LBB76_50
.LBB76_53:
	v_mov_b64_e32 v[24:25], 1.0
	v_mov_b64_e32 v[22:23], 0
.LBB76_54:
	s_cmp_lg_u32 s6, 0
	s_cbranch_scc0 .LBB76_60
; %bb.55:
	s_and_saveexec_b32 s0, s2
	s_cbranch_execz .LBB76_57
.LBB76_56:
	s_wait_loadcnt_dscnt 0x0
	v_lshl_add_u64 v[6:7], s[22:23], 4, v[10:11]
	global_store_b128 v[6:7], v[2:5], off
.LBB76_57:
	s_wait_xcnt 0x0
	s_or_b32 exec_lo, exec_lo, s0
	global_wb scope:SCOPE_DEV
	s_wait_storecnt 0x0
	s_wait_loadcnt_dscnt 0x0
	global_inv scope:SCOPE_DEV
	s_wait_loadcnt 0x0
	s_barrier_signal -1
	s_barrier_wait -1
	s_mov_b32 s0, exec_lo
	v_cmpx_eq_u32_e32 0, v0
	s_cbranch_execz .LBB76_59
; %bb.58:
	s_add_co_i32 s0, s20, s7
	s_delay_alu instid0(SALU_CYCLE_1)
	v_dual_mov_b32 v0, 1 :: v_dual_mov_b32 v1, s0
	global_store_b32 v1, v0, s[16:17] scale_offset scope:SCOPE_DEV
.LBB76_59:
	s_endpgm
.LBB76_60:
	s_wait_loadcnt_dscnt 0x0
	s_delay_alu instid0(VALU_DEP_1) | instskip(SKIP_1) | instid1(VALU_DEP_2)
	v_mul_f64_e64 v[6:7], v[22:23], -v[4:5]
	v_mul_f64_e32 v[8:9], v[22:23], v[2:3]
	v_fmac_f64_e32 v[6:7], v[2:3], v[24:25]
	s_delay_alu instid0(VALU_DEP_2) | instskip(NEXT) | instid1(VALU_DEP_2)
	v_fmac_f64_e32 v[8:9], v[4:5], v[24:25]
	v_mov_b64_e32 v[2:3], v[6:7]
	s_delay_alu instid0(VALU_DEP_2)
	v_mov_b64_e32 v[4:5], v[8:9]
	s_and_saveexec_b32 s0, s2
	s_cbranch_execnz .LBB76_56
	s_branch .LBB76_57
	.section	.rodata,"a",@progbits
	.p2align	6, 0x0
	.amdhsa_kernel _ZN9rocsparseL5csrsmILj128ELj64ELb1Eli21rocsparse_complex_numIdEEEv20rocsparse_operation_T3_S4_NS_24const_host_device_scalarIT4_EEPKT2_PKS4_PKS6_PS6_lPiSC_PS4_21rocsparse_index_base_20rocsparse_fill_mode_20rocsparse_diag_type_b
		.amdhsa_group_segment_fixed_size 2560
		.amdhsa_private_segment_fixed_size 16
		.amdhsa_kernarg_size 112
		.amdhsa_user_sgpr_count 2
		.amdhsa_user_sgpr_dispatch_ptr 0
		.amdhsa_user_sgpr_queue_ptr 0
		.amdhsa_user_sgpr_kernarg_segment_ptr 1
		.amdhsa_user_sgpr_dispatch_id 0
		.amdhsa_user_sgpr_kernarg_preload_length 0
		.amdhsa_user_sgpr_kernarg_preload_offset 0
		.amdhsa_user_sgpr_private_segment_size 0
		.amdhsa_wavefront_size32 1
		.amdhsa_uses_dynamic_stack 0
		.amdhsa_enable_private_segment 1
		.amdhsa_system_sgpr_workgroup_id_x 1
		.amdhsa_system_sgpr_workgroup_id_y 0
		.amdhsa_system_sgpr_workgroup_id_z 0
		.amdhsa_system_sgpr_workgroup_info 0
		.amdhsa_system_vgpr_workitem_id 0
		.amdhsa_next_free_vgpr 34
		.amdhsa_next_free_sgpr 28
		.amdhsa_named_barrier_count 0
		.amdhsa_reserve_vcc 1
		.amdhsa_float_round_mode_32 0
		.amdhsa_float_round_mode_16_64 0
		.amdhsa_float_denorm_mode_32 3
		.amdhsa_float_denorm_mode_16_64 3
		.amdhsa_fp16_overflow 0
		.amdhsa_memory_ordered 1
		.amdhsa_forward_progress 1
		.amdhsa_inst_pref_size 18
		.amdhsa_round_robin_scheduling 0
		.amdhsa_exception_fp_ieee_invalid_op 0
		.amdhsa_exception_fp_denorm_src 0
		.amdhsa_exception_fp_ieee_div_zero 0
		.amdhsa_exception_fp_ieee_overflow 0
		.amdhsa_exception_fp_ieee_underflow 0
		.amdhsa_exception_fp_ieee_inexact 0
		.amdhsa_exception_int_div_zero 0
	.end_amdhsa_kernel
	.section	.text._ZN9rocsparseL5csrsmILj128ELj64ELb1Eli21rocsparse_complex_numIdEEEv20rocsparse_operation_T3_S4_NS_24const_host_device_scalarIT4_EEPKT2_PKS4_PKS6_PS6_lPiSC_PS4_21rocsparse_index_base_20rocsparse_fill_mode_20rocsparse_diag_type_b,"axG",@progbits,_ZN9rocsparseL5csrsmILj128ELj64ELb1Eli21rocsparse_complex_numIdEEEv20rocsparse_operation_T3_S4_NS_24const_host_device_scalarIT4_EEPKT2_PKS4_PKS6_PS6_lPiSC_PS4_21rocsparse_index_base_20rocsparse_fill_mode_20rocsparse_diag_type_b,comdat
.Lfunc_end76:
	.size	_ZN9rocsparseL5csrsmILj128ELj64ELb1Eli21rocsparse_complex_numIdEEEv20rocsparse_operation_T3_S4_NS_24const_host_device_scalarIT4_EEPKT2_PKS4_PKS6_PS6_lPiSC_PS4_21rocsparse_index_base_20rocsparse_fill_mode_20rocsparse_diag_type_b, .Lfunc_end76-_ZN9rocsparseL5csrsmILj128ELj64ELb1Eli21rocsparse_complex_numIdEEEv20rocsparse_operation_T3_S4_NS_24const_host_device_scalarIT4_EEPKT2_PKS4_PKS6_PS6_lPiSC_PS4_21rocsparse_index_base_20rocsparse_fill_mode_20rocsparse_diag_type_b
                                        ; -- End function
	.set _ZN9rocsparseL5csrsmILj128ELj64ELb1Eli21rocsparse_complex_numIdEEEv20rocsparse_operation_T3_S4_NS_24const_host_device_scalarIT4_EEPKT2_PKS4_PKS6_PS6_lPiSC_PS4_21rocsparse_index_base_20rocsparse_fill_mode_20rocsparse_diag_type_b.num_vgpr, 34
	.set _ZN9rocsparseL5csrsmILj128ELj64ELb1Eli21rocsparse_complex_numIdEEEv20rocsparse_operation_T3_S4_NS_24const_host_device_scalarIT4_EEPKT2_PKS4_PKS6_PS6_lPiSC_PS4_21rocsparse_index_base_20rocsparse_fill_mode_20rocsparse_diag_type_b.num_agpr, 0
	.set _ZN9rocsparseL5csrsmILj128ELj64ELb1Eli21rocsparse_complex_numIdEEEv20rocsparse_operation_T3_S4_NS_24const_host_device_scalarIT4_EEPKT2_PKS4_PKS6_PS6_lPiSC_PS4_21rocsparse_index_base_20rocsparse_fill_mode_20rocsparse_diag_type_b.numbered_sgpr, 28
	.set _ZN9rocsparseL5csrsmILj128ELj64ELb1Eli21rocsparse_complex_numIdEEEv20rocsparse_operation_T3_S4_NS_24const_host_device_scalarIT4_EEPKT2_PKS4_PKS6_PS6_lPiSC_PS4_21rocsparse_index_base_20rocsparse_fill_mode_20rocsparse_diag_type_b.num_named_barrier, 0
	.set _ZN9rocsparseL5csrsmILj128ELj64ELb1Eli21rocsparse_complex_numIdEEEv20rocsparse_operation_T3_S4_NS_24const_host_device_scalarIT4_EEPKT2_PKS4_PKS6_PS6_lPiSC_PS4_21rocsparse_index_base_20rocsparse_fill_mode_20rocsparse_diag_type_b.private_seg_size, 16
	.set _ZN9rocsparseL5csrsmILj128ELj64ELb1Eli21rocsparse_complex_numIdEEEv20rocsparse_operation_T3_S4_NS_24const_host_device_scalarIT4_EEPKT2_PKS4_PKS6_PS6_lPiSC_PS4_21rocsparse_index_base_20rocsparse_fill_mode_20rocsparse_diag_type_b.uses_vcc, 1
	.set _ZN9rocsparseL5csrsmILj128ELj64ELb1Eli21rocsparse_complex_numIdEEEv20rocsparse_operation_T3_S4_NS_24const_host_device_scalarIT4_EEPKT2_PKS4_PKS6_PS6_lPiSC_PS4_21rocsparse_index_base_20rocsparse_fill_mode_20rocsparse_diag_type_b.uses_flat_scratch, 0
	.set _ZN9rocsparseL5csrsmILj128ELj64ELb1Eli21rocsparse_complex_numIdEEEv20rocsparse_operation_T3_S4_NS_24const_host_device_scalarIT4_EEPKT2_PKS4_PKS6_PS6_lPiSC_PS4_21rocsparse_index_base_20rocsparse_fill_mode_20rocsparse_diag_type_b.has_dyn_sized_stack, 0
	.set _ZN9rocsparseL5csrsmILj128ELj64ELb1Eli21rocsparse_complex_numIdEEEv20rocsparse_operation_T3_S4_NS_24const_host_device_scalarIT4_EEPKT2_PKS4_PKS6_PS6_lPiSC_PS4_21rocsparse_index_base_20rocsparse_fill_mode_20rocsparse_diag_type_b.has_recursion, 0
	.set _ZN9rocsparseL5csrsmILj128ELj64ELb1Eli21rocsparse_complex_numIdEEEv20rocsparse_operation_T3_S4_NS_24const_host_device_scalarIT4_EEPKT2_PKS4_PKS6_PS6_lPiSC_PS4_21rocsparse_index_base_20rocsparse_fill_mode_20rocsparse_diag_type_b.has_indirect_call, 0
	.section	.AMDGPU.csdata,"",@progbits
; Kernel info:
; codeLenInByte = 2216
; TotalNumSgprs: 30
; NumVgprs: 34
; ScratchSize: 16
; MemoryBound: 1
; FloatMode: 240
; IeeeMode: 1
; LDSByteSize: 2560 bytes/workgroup (compile time only)
; SGPRBlocks: 0
; VGPRBlocks: 2
; NumSGPRsForWavesPerEU: 30
; NumVGPRsForWavesPerEU: 34
; NamedBarCnt: 0
; Occupancy: 16
; WaveLimiterHint : 1
; COMPUTE_PGM_RSRC2:SCRATCH_EN: 1
; COMPUTE_PGM_RSRC2:USER_SGPR: 2
; COMPUTE_PGM_RSRC2:TRAP_HANDLER: 0
; COMPUTE_PGM_RSRC2:TGID_X_EN: 1
; COMPUTE_PGM_RSRC2:TGID_Y_EN: 0
; COMPUTE_PGM_RSRC2:TGID_Z_EN: 0
; COMPUTE_PGM_RSRC2:TIDIG_COMP_CNT: 0
	.section	.text._ZN9rocsparseL5csrsmILj128ELj64ELb0Eli21rocsparse_complex_numIdEEEv20rocsparse_operation_T3_S4_NS_24const_host_device_scalarIT4_EEPKT2_PKS4_PKS6_PS6_lPiSC_PS4_21rocsparse_index_base_20rocsparse_fill_mode_20rocsparse_diag_type_b,"axG",@progbits,_ZN9rocsparseL5csrsmILj128ELj64ELb0Eli21rocsparse_complex_numIdEEEv20rocsparse_operation_T3_S4_NS_24const_host_device_scalarIT4_EEPKT2_PKS4_PKS6_PS6_lPiSC_PS4_21rocsparse_index_base_20rocsparse_fill_mode_20rocsparse_diag_type_b,comdat
	.globl	_ZN9rocsparseL5csrsmILj128ELj64ELb0Eli21rocsparse_complex_numIdEEEv20rocsparse_operation_T3_S4_NS_24const_host_device_scalarIT4_EEPKT2_PKS4_PKS6_PS6_lPiSC_PS4_21rocsparse_index_base_20rocsparse_fill_mode_20rocsparse_diag_type_b ; -- Begin function _ZN9rocsparseL5csrsmILj128ELj64ELb0Eli21rocsparse_complex_numIdEEEv20rocsparse_operation_T3_S4_NS_24const_host_device_scalarIT4_EEPKT2_PKS4_PKS6_PS6_lPiSC_PS4_21rocsparse_index_base_20rocsparse_fill_mode_20rocsparse_diag_type_b
	.p2align	8
	.type	_ZN9rocsparseL5csrsmILj128ELj64ELb0Eli21rocsparse_complex_numIdEEEv20rocsparse_operation_T3_S4_NS_24const_host_device_scalarIT4_EEPKT2_PKS4_PKS6_PS6_lPiSC_PS4_21rocsparse_index_base_20rocsparse_fill_mode_20rocsparse_diag_type_b,@function
_ZN9rocsparseL5csrsmILj128ELj64ELb0Eli21rocsparse_complex_numIdEEEv20rocsparse_operation_T3_S4_NS_24const_host_device_scalarIT4_EEPKT2_PKS4_PKS6_PS6_lPiSC_PS4_21rocsparse_index_base_20rocsparse_fill_mode_20rocsparse_diag_type_b: ; @_ZN9rocsparseL5csrsmILj128ELj64ELb0Eli21rocsparse_complex_numIdEEEv20rocsparse_operation_T3_S4_NS_24const_host_device_scalarIT4_EEPKT2_PKS4_PKS6_PS6_lPiSC_PS4_21rocsparse_index_base_20rocsparse_fill_mode_20rocsparse_diag_type_b
; %bb.0:
	s_clause 0x1
	s_load_b128 s[4:7], s[0:1], 0x60
	s_load_b128 s[8:11], s[0:1], 0x10
	v_mbcnt_lo_u32_b32 v1, -1, 0
	s_clause 0x1
	s_load_b64 s[2:3], s[0:1], 0x20
	s_load_b64 s[12:13], s[0:1], 0x50
	s_delay_alu instid0(VALU_DEP_1) | instskip(NEXT) | instid1(VALU_DEP_1)
	v_dual_mov_b32 v2, 0 :: v_dual_lshlrev_b32 v3, 20, v1
	v_add_nc_u64_e32 v[2:3], src_flat_scratch_base_lo, v[2:3]
	s_wait_kmcnt 0x0
	s_bitcmp1_b32 s7, 0
	v_mov_b64_e32 v[4:5], s[8:9]
	s_cselect_b32 vcc_lo, -1, 0
	v_mov_b64_e32 v[8:9], s[10:11]
	s_delay_alu instid0(VALU_DEP_3)
	v_cndmask_b32_e32 v3, s9, v3, vcc_lo
	v_cndmask_b32_e32 v2, s8, v2, vcc_lo
	s_and_b32 vcc_lo, exec_lo, vcc_lo
	scratch_store_b64 off, v[4:5], off
	flat_load_b64 v[6:7], v[2:3]
	s_cbranch_vccnz .LBB77_2
; %bb.1:
	v_mov_b32_e32 v1, 0
	flat_load_b64 v[8:9], v1, s[8:9] offset:8
.LBB77_2:
	s_load_b96 s[16:18], s[0:1], 0x0
	s_bfe_u32 s9, ttmp6, 0x4000c
	s_and_b32 s8, ttmp6, 15
	s_add_co_i32 s9, s9, 1
	s_getreg_b32 s11, hwreg(HW_REG_IB_STS2, 6, 4)
	s_mul_i32 s9, ttmp9, s9
	s_delay_alu instid0(SALU_CYCLE_1) | instskip(SKIP_3) | instid1(SALU_CYCLE_2)
	s_add_co_i32 s8, s8, s9
	s_wait_kmcnt 0x0
	s_cvt_f32_u32 s7, s17
	s_sub_co_i32 s10, 0, s17
	v_rcp_iflag_f32_e32 v1, s7
	v_nop
	s_delay_alu instid0(TRANS32_DEP_1) | instskip(SKIP_1) | instid1(SALU_CYCLE_3)
	v_readfirstlane_b32 s7, v1
	s_mul_f32 s7, s7, 0x4f7ffffe
	s_cvt_u32_f32 s7, s7
	s_delay_alu instid0(SALU_CYCLE_3) | instskip(NEXT) | instid1(SALU_CYCLE_1)
	s_mul_i32 s10, s10, s7
	s_mul_hi_u32 s10, s7, s10
	s_delay_alu instid0(SALU_CYCLE_1) | instskip(SKIP_2) | instid1(SALU_CYCLE_1)
	s_add_co_i32 s7, s7, s10
	s_cmp_eq_u32 s11, 0
	s_cselect_b32 s8, ttmp9, s8
	s_mul_hi_u32 s7, s8, s7
	s_delay_alu instid0(SALU_CYCLE_1) | instskip(SKIP_2) | instid1(SALU_CYCLE_1)
	s_mul_i32 s9, s7, s17
	s_add_co_i32 s10, s7, 1
	s_sub_co_i32 s9, s8, s9
	s_sub_co_i32 s11, s9, s17
	s_cmp_ge_u32 s9, s17
	s_cselect_b32 s7, s10, s7
	s_cselect_b32 s9, s11, s9
	s_add_co_i32 s10, s7, 1
	s_cmp_ge_u32 s9, s17
	s_cselect_b32 s19, s10, s7
	s_delay_alu instid0(SALU_CYCLE_1) | instskip(SKIP_2) | instid1(SALU_CYCLE_1)
	s_mul_i32 s7, s19, s17
	v_lshl_or_b32 v10, s19, 7, v0
	s_sub_co_i32 s8, s8, s7
	s_ashr_i32 s9, s8, 31
	s_delay_alu instid0(VALU_DEP_1) | instskip(SKIP_1) | instid1(SALU_CYCLE_1)
	v_ashrrev_i32_e32 v11, 31, v10
	s_lshl_b64 s[8:9], s[8:9], 2
	s_add_nc_u64 s[12:13], s[12:13], s[8:9]
	s_load_b32 s20, s[12:13], 0x0
	s_load_b128 s[8:11], s[0:1], 0x38
	s_wait_kmcnt 0x0
	s_ashr_i32 s21, s20, 31
	s_delay_alu instid0(SALU_CYCLE_1)
	s_lshl_b64 s[12:13], s[20:21], 3
	s_mul_u64 s[22:23], s[10:11], s[20:21]
	s_add_nc_u64 s[2:3], s[2:3], s[12:13]
	v_add_nc_u64_e32 v[12:13], s[22:23], v[10:11]
	s_load_b128 s[12:15], s[2:3], 0x0
	s_wait_xcnt 0x0
	v_cmp_gt_i32_e64 s2, s18, v10
	s_cmp_lg_u32 s16, 0x71
	s_cbranch_scc0 .LBB77_6
; %bb.3:
	v_mov_b64_e32 v[4:5], 0
	v_mov_b64_e32 v[2:3], 0
	s_and_saveexec_b32 s3, s2
	s_cbranch_execz .LBB77_5
; %bb.4:
	v_lshl_add_u64 v[2:3], v[12:13], 4, s[8:9]
	global_load_b128 v[14:17], v[2:3], off
	s_wait_loadcnt_dscnt 0x0
	v_mul_f64_e64 v[2:3], v[16:17], -v[8:9]
	v_mul_f64_e32 v[4:5], v[6:7], v[16:17]
	s_delay_alu instid0(VALU_DEP_2) | instskip(NEXT) | instid1(VALU_DEP_2)
	v_fmac_f64_e32 v[2:3], v[6:7], v[14:15]
	v_fmac_f64_e32 v[4:5], v[8:9], v[14:15]
.LBB77_5:
	s_or_b32 exec_lo, exec_lo, s3
	s_load_b64 s[16:17], s[0:1], 0x48
	s_cbranch_execz .LBB77_7
	s_branch .LBB77_10
.LBB77_6:
                                        ; implicit-def: $vgpr4_vgpr5
	s_load_b64 s[16:17], s[0:1], 0x48
.LBB77_7:
	v_mov_b64_e32 v[4:5], 0
	v_mov_b64_e32 v[2:3], 0
	s_and_saveexec_b32 s3, s2
	s_cbranch_execz .LBB77_9
; %bb.8:
	v_lshl_add_u64 v[2:3], v[12:13], 4, s[8:9]
	global_load_b128 v[12:15], v[2:3], off
	s_wait_loadcnt_dscnt 0x0
	v_mul_f64_e32 v[2:3], v[8:9], v[14:15]
	v_mul_f64_e64 v[4:5], v[6:7], -v[14:15]
	s_delay_alu instid0(VALU_DEP_2) | instskip(NEXT) | instid1(VALU_DEP_2)
	v_fmac_f64_e32 v[2:3], v[6:7], v[12:13]
	v_fmac_f64_e32 v[4:5], v[8:9], v[12:13]
.LBB77_9:
	s_or_b32 exec_lo, exec_lo, s3
.LBB77_10:
	s_wait_kmcnt 0x0
	v_cmp_ge_i64_e64 s3, s[12:13], s[14:15]
	v_lshl_add_u64 v[10:11], v[10:11], 4, s[8:9]
	s_and_b32 vcc_lo, exec_lo, s3
	v_cmp_eq_u32_e64 s3, 0, v0
	s_cbranch_vccnz .LBB77_51
; %bb.11:
	s_clause 0x1
	s_load_b128 s[24:27], s[0:1], 0x28
	s_load_b64 s[8:9], s[0:1], 0x58
	s_wait_loadcnt_dscnt 0x0
	v_dual_mov_b32 v1, 0 :: v_dual_lshlrev_b32 v6, 2, v0
	v_lshlrev_b32_e32 v12, 4, v0
	v_mov_b64_e32 v[18:19], 1.0
	v_mov_b64_e32 v[20:21], 0
	s_delay_alu instid0(VALU_DEP_4)
	v_dual_mov_b32 v7, v1 :: v_dual_mov_b32 v13, v1
	s_wait_xcnt 0x0
	s_mov_b32 s1, 0
	s_mov_b32 s0, s4
	v_or_b32_e32 v30, 0x800, v6
	s_cmp_eq_u32 s6, 0
	s_sub_nc_u64 s[12:13], s[12:13], s[0:1]
	s_cselect_b32 s21, -1, 0
	s_sub_nc_u64 s[14:15], s[14:15], s[0:1]
	s_mov_b64 s[18:19], s[12:13]
	s_wait_kmcnt 0x0
	v_add_nc_u64_e32 v[14:15], s[24:25], v[6:7]
	v_add_nc_u64_e32 v[16:17], s[26:27], v[12:13]
	s_add_co_i32 s26, s20, s4
	s_sub_co_i32 s0, s18, s12
	s_delay_alu instid0(SALU_CYCLE_1) | instskip(NEXT) | instid1(SALU_CYCLE_1)
	s_and_b32 s1, s0, 0x7f
	s_cmp_lg_u32 s1, 0
	s_cbranch_scc1 .LBB77_15
.LBB77_12:
	v_mov_b64_e32 v[6:7], -1.0
	v_mov_b64_e32 v[8:9], 0
	v_mov_b32_e32 v13, -1
	s_sub_nc_u64 s[24:25], s[14:15], s[18:19]
	s_mov_b32 s0, exec_lo
	v_cmpx_gt_i64_e64 s[24:25], v[0:1]
	s_cbranch_execz .LBB77_14
; %bb.13:
	v_lshl_add_u64 v[6:7], s[18:19], 2, v[14:15]
	global_load_b32 v13, v[6:7], off
	s_wait_xcnt 0x0
	v_lshl_add_u64 v[6:7], s[18:19], 4, v[16:17]
	global_load_b128 v[6:9], v[6:7], off
	s_wait_loadcnt 0x1
	v_subrev_nc_u32_e32 v13, s4, v13
.LBB77_14:
	s_wait_xcnt 0x0
	s_or_b32 exec_lo, exec_lo, s0
	ds_store_b32 v30, v13
	s_wait_loadcnt 0x0
	ds_store_b128 v12, v[6:9]
.LBB77_15:                              ; =>This Loop Header: Depth=1
                                        ;     Child Loop BB77_41 Depth 2
	s_lshl_b32 s0, s1, 4
	s_wait_storecnt_dscnt 0x0
	v_mov_b32_e32 v6, s0
	s_barrier_signal -1
	s_barrier_wait -1
	s_lshl_b32 s1, s1, 2
	ds_load_b128 v[22:25], v6
	v_mov_b32_e32 v6, s1
	ds_load_b32 v6, v6 offset:2048
	s_wait_dscnt 0x1
	v_cmp_eq_f64_e32 vcc_lo, 0, v[22:23]
	v_cmp_eq_f64_e64 s0, 0, v[24:25]
	s_wait_dscnt 0x0
	v_readfirstlane_b32 s24, v6
	s_and_b32 s0, vcc_lo, s0
	s_cmp_eq_u32 s24, s20
	s_cselect_b32 s25, -1, 0
	s_cmp_lg_u32 s24, s20
	s_cselect_b32 s1, -1, 0
	s_and_b32 s0, s0, s25
	s_delay_alu instid0(SALU_CYCLE_1) | instskip(NEXT) | instid1(SALU_CYCLE_1)
	s_and_b32 s0, s21, s0
	v_cndmask_b32_e64 v7, v25, 0, s0
	v_cndmask_b32_e64 v6, v24, 0, s0
	;; [unrolled: 1-line block ×4, first 2 shown]
	s_and_b32 s13, s3, s0
	s_delay_alu instid0(SALU_CYCLE_1)
	s_and_saveexec_b32 s0, s13
	s_cbranch_execz .LBB77_19
; %bb.16:                               ;   in Loop: Header=BB77_15 Depth=1
	v_mbcnt_lo_u32_b32 v6, exec_lo, 0
	s_mov_b32 s13, exec_lo
	s_delay_alu instid0(VALU_DEP_1)
	v_cmpx_eq_u32_e32 0, v6
	s_cbranch_execz .LBB77_18
; %bb.17:                               ;   in Loop: Header=BB77_15 Depth=1
	v_mov_b32_e32 v6, s26
	global_atomic_min_i32 v1, v6, s[8:9] scope:SCOPE_DEV
.LBB77_18:                              ;   in Loop: Header=BB77_15 Depth=1
	s_wait_xcnt 0x0
	s_or_b32 exec_lo, exec_lo, s13
	v_mov_b64_e32 v[8:9], 1.0
	v_mov_b64_e32 v[6:7], 0
.LBB77_19:                              ;   in Loop: Header=BB77_15 Depth=1
	s_or_b32 exec_lo, exec_lo, s0
	s_mov_b32 s27, -1
	s_mov_b32 s0, 0
	s_cmp_lt_i32 s5, 1
	s_mov_b32 s13, 0
                                        ; implicit-def: $vgpr22_vgpr23
                                        ; implicit-def: $vgpr24_vgpr25
	s_cbranch_scc0 .LBB77_26
; %bb.20:                               ;   in Loop: Header=BB77_15 Depth=1
	s_and_b32 vcc_lo, exec_lo, s27
	s_mov_b32 s25, 4
	s_cbranch_vccnz .LBB77_33
.LBB77_21:                              ;   in Loop: Header=BB77_15 Depth=1
	v_mov_b64_e32 v[28:29], v[4:5]
	v_mov_b64_e32 v[26:27], v[2:3]
	s_and_b32 vcc_lo, exec_lo, s13
	s_cbranch_vccnz .LBB77_38
.LBB77_22:                              ;   in Loop: Header=BB77_15 Depth=1
	s_and_b32 vcc_lo, exec_lo, s0
	s_cbranch_vccnz .LBB77_45
.LBB77_23:                              ;   in Loop: Header=BB77_15 Depth=1
	s_mov_b32 s0, -1
	s_cmp_gt_i32 s25, 3
	s_mov_b32 s1, -1
	s_cbranch_scc0 .LBB77_48
.LBB77_24:                              ;   in Loop: Header=BB77_15 Depth=1
	s_and_not1_b32 vcc_lo, exec_lo, s1
	s_cbranch_vccz .LBB77_49
.LBB77_25:                              ;   in Loop: Header=BB77_15 Depth=1
	s_delay_alu instid0(VALU_DEP_1) | instskip(NEXT) | instid1(VALU_DEP_2)
	v_mov_b64_e32 v[4:5], v[28:29]
	v_mov_b64_e32 v[2:3], v[26:27]
	s_and_not1_b32 vcc_lo, exec_lo, s0
	s_cbranch_vccnz .LBB77_50
	s_branch .LBB77_52
.LBB77_26:                              ;   in Loop: Header=BB77_15 Depth=1
	s_cmp_eq_u32 s5, 1
	s_mov_b32 s13, -1
                                        ; implicit-def: $vgpr22_vgpr23
                                        ; implicit-def: $vgpr24_vgpr25
	s_cbranch_scc0 .LBB77_32
; %bb.27:                               ;   in Loop: Header=BB77_15 Depth=1
	v_mov_b64_e32 v[22:23], v[20:21]
	v_mov_b64_e32 v[24:25], v[18:19]
	s_cmp_ge_i32 s24, s20
	s_mov_b32 s13, 0
	s_cbranch_scc0 .LBB77_32
; %bb.28:                               ;   in Loop: Header=BB77_15 Depth=1
	s_and_b32 vcc_lo, exec_lo, s25
	s_mov_b32 s13, -1
                                        ; implicit-def: $vgpr22_vgpr23
                                        ; implicit-def: $vgpr24_vgpr25
	s_cbranch_vccz .LBB77_32
; %bb.29:                               ;   in Loop: Header=BB77_15 Depth=1
	v_mov_b64_e32 v[22:23], v[20:21]
	v_mov_b64_e32 v[24:25], v[18:19]
	s_and_not1_b32 vcc_lo, exec_lo, s21
	s_cbranch_vccnz .LBB77_31
; %bb.30:                               ;   in Loop: Header=BB77_15 Depth=1
	v_mul_f64_e32 v[22:23], v[6:7], v[6:7]
	s_delay_alu instid0(VALU_DEP_1) | instskip(NEXT) | instid1(VALU_DEP_1)
	v_fmac_f64_e32 v[22:23], v[8:9], v[8:9]
	v_div_scale_f64 v[24:25], null, v[22:23], v[22:23], 1.0
	v_div_scale_f64 v[32:33], vcc_lo, 1.0, v[22:23], 1.0
	s_delay_alu instid0(VALU_DEP_2) | instskip(SKIP_1) | instid1(TRANS32_DEP_1)
	v_rcp_f64_e32 v[26:27], v[24:25]
	v_nop
	v_fma_f64 v[28:29], -v[24:25], v[26:27], 1.0
	s_delay_alu instid0(VALU_DEP_1) | instskip(NEXT) | instid1(VALU_DEP_1)
	v_fmac_f64_e32 v[26:27], v[26:27], v[28:29]
	v_fma_f64 v[28:29], -v[24:25], v[26:27], 1.0
	s_delay_alu instid0(VALU_DEP_1) | instskip(NEXT) | instid1(VALU_DEP_1)
	v_fmac_f64_e32 v[26:27], v[26:27], v[28:29]
	v_mul_f64_e32 v[28:29], v[32:33], v[26:27]
	s_delay_alu instid0(VALU_DEP_1) | instskip(NEXT) | instid1(VALU_DEP_1)
	v_fma_f64 v[24:25], -v[24:25], v[28:29], v[32:33]
	v_div_fmas_f64 v[24:25], v[24:25], v[26:27], v[28:29]
	v_fma_f64 v[26:27], 0, v[6:7], v[8:9]
	v_fma_f64 v[28:29], v[8:9], 0, -v[6:7]
	s_delay_alu instid0(VALU_DEP_3) | instskip(NEXT) | instid1(VALU_DEP_1)
	v_div_fixup_f64 v[22:23], v[24:25], v[22:23], 1.0
	v_mul_f64_e32 v[24:25], v[26:27], v[22:23]
	s_delay_alu instid0(VALU_DEP_3)
	v_mul_f64_e32 v[22:23], v[28:29], v[22:23]
.LBB77_31:                              ;   in Loop: Header=BB77_15 Depth=1
	s_mov_b32 s13, 0
.LBB77_32:                              ;   in Loop: Header=BB77_15 Depth=1
	s_mov_b32 s25, 4
	s_branch .LBB77_21
.LBB77_33:                              ;   in Loop: Header=BB77_15 Depth=1
	s_cmp_eq_u32 s5, 0
	s_cbranch_scc1 .LBB77_35
; %bb.34:                               ;   in Loop: Header=BB77_15 Depth=1
	s_mov_b32 s13, -1
	s_branch .LBB77_37
.LBB77_35:                              ;   in Loop: Header=BB77_15 Depth=1
	s_cmp_le_i32 s24, s20
	s_mov_b32 s13, 0
	s_cbranch_scc0 .LBB77_37
; %bb.36:                               ;   in Loop: Header=BB77_15 Depth=1
	s_mov_b32 s0, -1
	s_mov_b32 s13, s1
.LBB77_37:                              ;   in Loop: Header=BB77_15 Depth=1
	v_mov_b64_e32 v[22:23], v[20:21]
	v_mov_b64_e32 v[24:25], v[18:19]
	s_mov_b32 s25, 2
	v_mov_b64_e32 v[28:29], v[4:5]
	v_mov_b64_e32 v[26:27], v[2:3]
	s_and_b32 vcc_lo, exec_lo, s13
	s_cbranch_vccz .LBB77_22
.LBB77_38:                              ;   in Loop: Header=BB77_15 Depth=1
	s_and_saveexec_b32 s13, s3
	s_cbranch_execz .LBB77_42
; %bb.39:                               ;   in Loop: Header=BB77_15 Depth=1
	s_add_co_i32 s0, s24, s7
	s_delay_alu instid0(SALU_CYCLE_1)
	v_mov_b32_e32 v13, s0
	global_load_b32 v13, v13, s[16:17] scale_offset scope:SCOPE_DEV
	s_wait_loadcnt 0x0
	v_cmp_ne_u32_e32 vcc_lo, 0, v13
	s_cbranch_vccnz .LBB77_42
; %bb.40:                               ;   in Loop: Header=BB77_15 Depth=1
	s_ashr_i32 s1, s0, 31
	s_delay_alu instid0(SALU_CYCLE_1) | instskip(NEXT) | instid1(SALU_CYCLE_1)
	s_lshl_b64 s[0:1], s[0:1], 2
	s_add_nc_u64 s[0:1], s[16:17], s[0:1]
.LBB77_41:                              ;   Parent Loop BB77_15 Depth=1
                                        ; =>  This Inner Loop Header: Depth=2
	global_load_b32 v13, v1, s[0:1] scope:SCOPE_DEV
	s_wait_loadcnt 0x0
	v_cmp_eq_u32_e32 vcc_lo, 0, v13
	s_cbranch_vccnz .LBB77_41
.LBB77_42:                              ;   in Loop: Header=BB77_15 Depth=1
	s_wait_xcnt 0x0
	s_or_b32 exec_lo, exec_lo, s13
	v_mov_b64_e32 v[28:29], 0
	v_mov_b64_e32 v[26:27], 0
	s_wait_storecnt 0x0
	s_barrier_signal -1
	s_barrier_wait -1
	global_inv scope:SCOPE_DEV
	s_and_saveexec_b32 s0, s2
	s_cbranch_execz .LBB77_44
; %bb.43:                               ;   in Loop: Header=BB77_15 Depth=1
	s_ashr_i32 s25, s24, 31
	s_delay_alu instid0(SALU_CYCLE_1) | instskip(NEXT) | instid1(SALU_CYCLE_1)
	s_mul_u64 s[24:25], s[10:11], s[24:25]
	v_lshl_add_u64 v[22:23], s[24:25], 4, v[10:11]
	global_load_b128 v[22:25], v[22:23], off
	s_wait_loadcnt 0x0
	v_fma_f64 v[26:27], -v[8:9], v[22:23], v[2:3]
	v_fma_f64 v[22:23], -v[6:7], v[22:23], v[4:5]
	s_delay_alu instid0(VALU_DEP_2) | instskip(NEXT) | instid1(VALU_DEP_2)
	v_fmac_f64_e32 v[26:27], v[6:7], v[24:25]
	v_fma_f64 v[28:29], -v[8:9], v[24:25], v[22:23]
.LBB77_44:                              ;   in Loop: Header=BB77_15 Depth=1
	s_or_b32 exec_lo, exec_lo, s0
	v_mov_b64_e32 v[22:23], v[20:21]
	v_mov_b64_e32 v[24:25], v[18:19]
	s_mov_b32 s25, 0
	s_branch .LBB77_23
.LBB77_45:                              ;   in Loop: Header=BB77_15 Depth=1
	s_and_not1_b32 vcc_lo, exec_lo, s21
	s_cbranch_vccnz .LBB77_47
; %bb.46:                               ;   in Loop: Header=BB77_15 Depth=1
	v_mul_f64_e32 v[18:19], v[6:7], v[6:7]
	s_delay_alu instid0(VALU_DEP_1) | instskip(NEXT) | instid1(VALU_DEP_1)
	v_fmac_f64_e32 v[18:19], v[8:9], v[8:9]
	v_div_scale_f64 v[20:21], null, v[18:19], v[18:19], 1.0
	v_div_scale_f64 v[26:27], vcc_lo, 1.0, v[18:19], 1.0
	s_delay_alu instid0(VALU_DEP_2) | instskip(SKIP_1) | instid1(TRANS32_DEP_1)
	v_rcp_f64_e32 v[22:23], v[20:21]
	v_nop
	v_fma_f64 v[24:25], -v[20:21], v[22:23], 1.0
	s_delay_alu instid0(VALU_DEP_1) | instskip(NEXT) | instid1(VALU_DEP_1)
	v_fmac_f64_e32 v[22:23], v[22:23], v[24:25]
	v_fma_f64 v[24:25], -v[20:21], v[22:23], 1.0
	s_delay_alu instid0(VALU_DEP_1) | instskip(NEXT) | instid1(VALU_DEP_1)
	v_fmac_f64_e32 v[22:23], v[22:23], v[24:25]
	v_mul_f64_e32 v[24:25], v[26:27], v[22:23]
	s_delay_alu instid0(VALU_DEP_1) | instskip(NEXT) | instid1(VALU_DEP_1)
	v_fma_f64 v[20:21], -v[20:21], v[24:25], v[26:27]
	v_div_fmas_f64 v[20:21], v[20:21], v[22:23], v[24:25]
	v_fma_f64 v[22:23], 0, v[6:7], v[8:9]
	v_fma_f64 v[6:7], v[8:9], 0, -v[6:7]
	s_delay_alu instid0(VALU_DEP_3) | instskip(NEXT) | instid1(VALU_DEP_1)
	v_div_fixup_f64 v[20:21], v[20:21], v[18:19], 1.0
	v_mul_f64_e32 v[18:19], v[22:23], v[20:21]
	s_delay_alu instid0(VALU_DEP_3)
	v_mul_f64_e32 v[20:21], v[6:7], v[20:21]
.LBB77_47:                              ;   in Loop: Header=BB77_15 Depth=1
	s_delay_alu instid0(VALU_DEP_2) | instskip(NEXT) | instid1(VALU_DEP_2)
	v_mov_b64_e32 v[24:25], v[18:19]
	v_mov_b64_e32 v[22:23], v[20:21]
	;; [unrolled: 1-line block ×4, first 2 shown]
	s_mov_b32 s25, 2
	s_mov_b32 s0, -1
	s_cmp_gt_i32 s25, 3
	s_mov_b32 s1, -1
	s_cbranch_scc1 .LBB77_24
.LBB77_48:                              ;   in Loop: Header=BB77_15 Depth=1
	s_cmp_eq_u32 s25, 0
	s_cselect_b32 s1, -1, 0
	s_delay_alu instid0(SALU_CYCLE_1)
	s_and_not1_b32 vcc_lo, exec_lo, s1
	s_cbranch_vccnz .LBB77_25
.LBB77_49:                              ;   in Loop: Header=BB77_15 Depth=1
	s_add_nc_u64 s[18:19], s[18:19], 1
	s_delay_alu instid0(SALU_CYCLE_1) | instskip(NEXT) | instid1(VALU_DEP_2)
	v_cmp_ge_i64_e64 s0, s[18:19], s[14:15]
	v_mov_b64_e32 v[4:5], v[28:29]
	s_delay_alu instid0(VALU_DEP_3)
	v_mov_b64_e32 v[2:3], v[26:27]
	s_and_not1_b32 vcc_lo, exec_lo, s0
	s_cbranch_vccz .LBB77_52
.LBB77_50:                              ;   in Loop: Header=BB77_15 Depth=1
	s_delay_alu instid0(VALU_DEP_4) | instskip(NEXT) | instid1(VALU_DEP_4)
	v_mov_b64_e32 v[20:21], v[22:23]
	v_mov_b64_e32 v[18:19], v[24:25]
	s_sub_co_i32 s0, s18, s12
	s_delay_alu instid0(SALU_CYCLE_1) | instskip(NEXT) | instid1(SALU_CYCLE_1)
	s_and_b32 s1, s0, 0x7f
	s_cmp_lg_u32 s1, 0
	s_cbranch_scc1 .LBB77_15
	s_branch .LBB77_12
.LBB77_51:
	v_mov_b64_e32 v[24:25], 1.0
	v_mov_b64_e32 v[22:23], 0
.LBB77_52:
	s_cmp_lg_u32 s6, 0
	s_cbranch_scc0 .LBB77_58
; %bb.53:
	s_and_saveexec_b32 s0, s2
	s_cbranch_execz .LBB77_55
.LBB77_54:
	s_wait_loadcnt_dscnt 0x0
	v_lshl_add_u64 v[6:7], s[22:23], 4, v[10:11]
	global_store_b128 v[6:7], v[2:5], off
.LBB77_55:
	s_wait_xcnt 0x0
	s_or_b32 exec_lo, exec_lo, s0
	global_wb scope:SCOPE_DEV
	s_wait_storecnt 0x0
	s_wait_loadcnt_dscnt 0x0
	global_inv scope:SCOPE_DEV
	s_wait_loadcnt 0x0
	s_barrier_signal -1
	s_barrier_wait -1
	s_mov_b32 s0, exec_lo
	v_cmpx_eq_u32_e32 0, v0
	s_cbranch_execz .LBB77_57
; %bb.56:
	s_add_co_i32 s0, s20, s7
	s_delay_alu instid0(SALU_CYCLE_1)
	v_dual_mov_b32 v0, 1 :: v_dual_mov_b32 v1, s0
	global_store_b32 v1, v0, s[16:17] scale_offset scope:SCOPE_DEV
.LBB77_57:
	s_endpgm
.LBB77_58:
	s_wait_loadcnt_dscnt 0x0
	s_delay_alu instid0(VALU_DEP_1) | instskip(SKIP_1) | instid1(VALU_DEP_2)
	v_mul_f64_e64 v[6:7], v[22:23], -v[4:5]
	v_mul_f64_e32 v[8:9], v[22:23], v[2:3]
	v_fmac_f64_e32 v[6:7], v[2:3], v[24:25]
	s_delay_alu instid0(VALU_DEP_2) | instskip(NEXT) | instid1(VALU_DEP_2)
	v_fmac_f64_e32 v[8:9], v[4:5], v[24:25]
	v_mov_b64_e32 v[2:3], v[6:7]
	s_delay_alu instid0(VALU_DEP_2)
	v_mov_b64_e32 v[4:5], v[8:9]
	s_and_saveexec_b32 s0, s2
	s_cbranch_execnz .LBB77_54
	s_branch .LBB77_55
	.section	.rodata,"a",@progbits
	.p2align	6, 0x0
	.amdhsa_kernel _ZN9rocsparseL5csrsmILj128ELj64ELb0Eli21rocsparse_complex_numIdEEEv20rocsparse_operation_T3_S4_NS_24const_host_device_scalarIT4_EEPKT2_PKS4_PKS6_PS6_lPiSC_PS4_21rocsparse_index_base_20rocsparse_fill_mode_20rocsparse_diag_type_b
		.amdhsa_group_segment_fixed_size 2560
		.amdhsa_private_segment_fixed_size 16
		.amdhsa_kernarg_size 112
		.amdhsa_user_sgpr_count 2
		.amdhsa_user_sgpr_dispatch_ptr 0
		.amdhsa_user_sgpr_queue_ptr 0
		.amdhsa_user_sgpr_kernarg_segment_ptr 1
		.amdhsa_user_sgpr_dispatch_id 0
		.amdhsa_user_sgpr_kernarg_preload_length 0
		.amdhsa_user_sgpr_kernarg_preload_offset 0
		.amdhsa_user_sgpr_private_segment_size 0
		.amdhsa_wavefront_size32 1
		.amdhsa_uses_dynamic_stack 0
		.amdhsa_enable_private_segment 1
		.amdhsa_system_sgpr_workgroup_id_x 1
		.amdhsa_system_sgpr_workgroup_id_y 0
		.amdhsa_system_sgpr_workgroup_id_z 0
		.amdhsa_system_sgpr_workgroup_info 0
		.amdhsa_system_vgpr_workitem_id 0
		.amdhsa_next_free_vgpr 34
		.amdhsa_next_free_sgpr 28
		.amdhsa_named_barrier_count 0
		.amdhsa_reserve_vcc 1
		.amdhsa_float_round_mode_32 0
		.amdhsa_float_round_mode_16_64 0
		.amdhsa_float_denorm_mode_32 3
		.amdhsa_float_denorm_mode_16_64 3
		.amdhsa_fp16_overflow 0
		.amdhsa_memory_ordered 1
		.amdhsa_forward_progress 1
		.amdhsa_inst_pref_size 17
		.amdhsa_round_robin_scheduling 0
		.amdhsa_exception_fp_ieee_invalid_op 0
		.amdhsa_exception_fp_denorm_src 0
		.amdhsa_exception_fp_ieee_div_zero 0
		.amdhsa_exception_fp_ieee_overflow 0
		.amdhsa_exception_fp_ieee_underflow 0
		.amdhsa_exception_fp_ieee_inexact 0
		.amdhsa_exception_int_div_zero 0
	.end_amdhsa_kernel
	.section	.text._ZN9rocsparseL5csrsmILj128ELj64ELb0Eli21rocsparse_complex_numIdEEEv20rocsparse_operation_T3_S4_NS_24const_host_device_scalarIT4_EEPKT2_PKS4_PKS6_PS6_lPiSC_PS4_21rocsparse_index_base_20rocsparse_fill_mode_20rocsparse_diag_type_b,"axG",@progbits,_ZN9rocsparseL5csrsmILj128ELj64ELb0Eli21rocsparse_complex_numIdEEEv20rocsparse_operation_T3_S4_NS_24const_host_device_scalarIT4_EEPKT2_PKS4_PKS6_PS6_lPiSC_PS4_21rocsparse_index_base_20rocsparse_fill_mode_20rocsparse_diag_type_b,comdat
.Lfunc_end77:
	.size	_ZN9rocsparseL5csrsmILj128ELj64ELb0Eli21rocsparse_complex_numIdEEEv20rocsparse_operation_T3_S4_NS_24const_host_device_scalarIT4_EEPKT2_PKS4_PKS6_PS6_lPiSC_PS4_21rocsparse_index_base_20rocsparse_fill_mode_20rocsparse_diag_type_b, .Lfunc_end77-_ZN9rocsparseL5csrsmILj128ELj64ELb0Eli21rocsparse_complex_numIdEEEv20rocsparse_operation_T3_S4_NS_24const_host_device_scalarIT4_EEPKT2_PKS4_PKS6_PS6_lPiSC_PS4_21rocsparse_index_base_20rocsparse_fill_mode_20rocsparse_diag_type_b
                                        ; -- End function
	.set _ZN9rocsparseL5csrsmILj128ELj64ELb0Eli21rocsparse_complex_numIdEEEv20rocsparse_operation_T3_S4_NS_24const_host_device_scalarIT4_EEPKT2_PKS4_PKS6_PS6_lPiSC_PS4_21rocsparse_index_base_20rocsparse_fill_mode_20rocsparse_diag_type_b.num_vgpr, 34
	.set _ZN9rocsparseL5csrsmILj128ELj64ELb0Eli21rocsparse_complex_numIdEEEv20rocsparse_operation_T3_S4_NS_24const_host_device_scalarIT4_EEPKT2_PKS4_PKS6_PS6_lPiSC_PS4_21rocsparse_index_base_20rocsparse_fill_mode_20rocsparse_diag_type_b.num_agpr, 0
	.set _ZN9rocsparseL5csrsmILj128ELj64ELb0Eli21rocsparse_complex_numIdEEEv20rocsparse_operation_T3_S4_NS_24const_host_device_scalarIT4_EEPKT2_PKS4_PKS6_PS6_lPiSC_PS4_21rocsparse_index_base_20rocsparse_fill_mode_20rocsparse_diag_type_b.numbered_sgpr, 28
	.set _ZN9rocsparseL5csrsmILj128ELj64ELb0Eli21rocsparse_complex_numIdEEEv20rocsparse_operation_T3_S4_NS_24const_host_device_scalarIT4_EEPKT2_PKS4_PKS6_PS6_lPiSC_PS4_21rocsparse_index_base_20rocsparse_fill_mode_20rocsparse_diag_type_b.num_named_barrier, 0
	.set _ZN9rocsparseL5csrsmILj128ELj64ELb0Eli21rocsparse_complex_numIdEEEv20rocsparse_operation_T3_S4_NS_24const_host_device_scalarIT4_EEPKT2_PKS4_PKS6_PS6_lPiSC_PS4_21rocsparse_index_base_20rocsparse_fill_mode_20rocsparse_diag_type_b.private_seg_size, 16
	.set _ZN9rocsparseL5csrsmILj128ELj64ELb0Eli21rocsparse_complex_numIdEEEv20rocsparse_operation_T3_S4_NS_24const_host_device_scalarIT4_EEPKT2_PKS4_PKS6_PS6_lPiSC_PS4_21rocsparse_index_base_20rocsparse_fill_mode_20rocsparse_diag_type_b.uses_vcc, 1
	.set _ZN9rocsparseL5csrsmILj128ELj64ELb0Eli21rocsparse_complex_numIdEEEv20rocsparse_operation_T3_S4_NS_24const_host_device_scalarIT4_EEPKT2_PKS4_PKS6_PS6_lPiSC_PS4_21rocsparse_index_base_20rocsparse_fill_mode_20rocsparse_diag_type_b.uses_flat_scratch, 0
	.set _ZN9rocsparseL5csrsmILj128ELj64ELb0Eli21rocsparse_complex_numIdEEEv20rocsparse_operation_T3_S4_NS_24const_host_device_scalarIT4_EEPKT2_PKS4_PKS6_PS6_lPiSC_PS4_21rocsparse_index_base_20rocsparse_fill_mode_20rocsparse_diag_type_b.has_dyn_sized_stack, 0
	.set _ZN9rocsparseL5csrsmILj128ELj64ELb0Eli21rocsparse_complex_numIdEEEv20rocsparse_operation_T3_S4_NS_24const_host_device_scalarIT4_EEPKT2_PKS4_PKS6_PS6_lPiSC_PS4_21rocsparse_index_base_20rocsparse_fill_mode_20rocsparse_diag_type_b.has_recursion, 0
	.set _ZN9rocsparseL5csrsmILj128ELj64ELb0Eli21rocsparse_complex_numIdEEEv20rocsparse_operation_T3_S4_NS_24const_host_device_scalarIT4_EEPKT2_PKS4_PKS6_PS6_lPiSC_PS4_21rocsparse_index_base_20rocsparse_fill_mode_20rocsparse_diag_type_b.has_indirect_call, 0
	.section	.AMDGPU.csdata,"",@progbits
; Kernel info:
; codeLenInByte = 2152
; TotalNumSgprs: 30
; NumVgprs: 34
; ScratchSize: 16
; MemoryBound: 1
; FloatMode: 240
; IeeeMode: 1
; LDSByteSize: 2560 bytes/workgroup (compile time only)
; SGPRBlocks: 0
; VGPRBlocks: 2
; NumSGPRsForWavesPerEU: 30
; NumVGPRsForWavesPerEU: 34
; NamedBarCnt: 0
; Occupancy: 16
; WaveLimiterHint : 1
; COMPUTE_PGM_RSRC2:SCRATCH_EN: 1
; COMPUTE_PGM_RSRC2:USER_SGPR: 2
; COMPUTE_PGM_RSRC2:TRAP_HANDLER: 0
; COMPUTE_PGM_RSRC2:TGID_X_EN: 1
; COMPUTE_PGM_RSRC2:TGID_Y_EN: 0
; COMPUTE_PGM_RSRC2:TGID_Z_EN: 0
; COMPUTE_PGM_RSRC2:TIDIG_COMP_CNT: 0
	.section	.text._ZN9rocsparseL5csrsmILj256ELj64ELb1Eli21rocsparse_complex_numIdEEEv20rocsparse_operation_T3_S4_NS_24const_host_device_scalarIT4_EEPKT2_PKS4_PKS6_PS6_lPiSC_PS4_21rocsparse_index_base_20rocsparse_fill_mode_20rocsparse_diag_type_b,"axG",@progbits,_ZN9rocsparseL5csrsmILj256ELj64ELb1Eli21rocsparse_complex_numIdEEEv20rocsparse_operation_T3_S4_NS_24const_host_device_scalarIT4_EEPKT2_PKS4_PKS6_PS6_lPiSC_PS4_21rocsparse_index_base_20rocsparse_fill_mode_20rocsparse_diag_type_b,comdat
	.globl	_ZN9rocsparseL5csrsmILj256ELj64ELb1Eli21rocsparse_complex_numIdEEEv20rocsparse_operation_T3_S4_NS_24const_host_device_scalarIT4_EEPKT2_PKS4_PKS6_PS6_lPiSC_PS4_21rocsparse_index_base_20rocsparse_fill_mode_20rocsparse_diag_type_b ; -- Begin function _ZN9rocsparseL5csrsmILj256ELj64ELb1Eli21rocsparse_complex_numIdEEEv20rocsparse_operation_T3_S4_NS_24const_host_device_scalarIT4_EEPKT2_PKS4_PKS6_PS6_lPiSC_PS4_21rocsparse_index_base_20rocsparse_fill_mode_20rocsparse_diag_type_b
	.p2align	8
	.type	_ZN9rocsparseL5csrsmILj256ELj64ELb1Eli21rocsparse_complex_numIdEEEv20rocsparse_operation_T3_S4_NS_24const_host_device_scalarIT4_EEPKT2_PKS4_PKS6_PS6_lPiSC_PS4_21rocsparse_index_base_20rocsparse_fill_mode_20rocsparse_diag_type_b,@function
_ZN9rocsparseL5csrsmILj256ELj64ELb1Eli21rocsparse_complex_numIdEEEv20rocsparse_operation_T3_S4_NS_24const_host_device_scalarIT4_EEPKT2_PKS4_PKS6_PS6_lPiSC_PS4_21rocsparse_index_base_20rocsparse_fill_mode_20rocsparse_diag_type_b: ; @_ZN9rocsparseL5csrsmILj256ELj64ELb1Eli21rocsparse_complex_numIdEEEv20rocsparse_operation_T3_S4_NS_24const_host_device_scalarIT4_EEPKT2_PKS4_PKS6_PS6_lPiSC_PS4_21rocsparse_index_base_20rocsparse_fill_mode_20rocsparse_diag_type_b
; %bb.0:
	s_clause 0x1
	s_load_b128 s[4:7], s[0:1], 0x60
	s_load_b128 s[8:11], s[0:1], 0x10
	v_mbcnt_lo_u32_b32 v1, -1, 0
	s_clause 0x1
	s_load_b64 s[2:3], s[0:1], 0x20
	s_load_b64 s[12:13], s[0:1], 0x50
	s_delay_alu instid0(VALU_DEP_1) | instskip(NEXT) | instid1(VALU_DEP_1)
	v_dual_mov_b32 v2, 0 :: v_dual_lshlrev_b32 v3, 20, v1
	v_add_nc_u64_e32 v[2:3], src_flat_scratch_base_lo, v[2:3]
	s_wait_kmcnt 0x0
	s_bitcmp1_b32 s7, 0
	v_mov_b64_e32 v[4:5], s[8:9]
	s_cselect_b32 vcc_lo, -1, 0
	v_mov_b64_e32 v[8:9], s[10:11]
	s_delay_alu instid0(VALU_DEP_3)
	v_cndmask_b32_e32 v3, s9, v3, vcc_lo
	v_cndmask_b32_e32 v2, s8, v2, vcc_lo
	s_and_b32 vcc_lo, exec_lo, vcc_lo
	scratch_store_b64 off, v[4:5], off
	flat_load_b64 v[6:7], v[2:3]
	s_cbranch_vccnz .LBB78_2
; %bb.1:
	v_mov_b32_e32 v1, 0
	flat_load_b64 v[8:9], v1, s[8:9] offset:8
.LBB78_2:
	s_load_b96 s[16:18], s[0:1], 0x0
	s_bfe_u32 s9, ttmp6, 0x4000c
	s_and_b32 s8, ttmp6, 15
	s_add_co_i32 s9, s9, 1
	s_getreg_b32 s11, hwreg(HW_REG_IB_STS2, 6, 4)
	s_mul_i32 s9, ttmp9, s9
	s_delay_alu instid0(SALU_CYCLE_1) | instskip(SKIP_3) | instid1(SALU_CYCLE_2)
	s_add_co_i32 s8, s8, s9
	s_wait_kmcnt 0x0
	s_cvt_f32_u32 s7, s17
	s_sub_co_i32 s10, 0, s17
	v_rcp_iflag_f32_e32 v1, s7
	v_nop
	s_delay_alu instid0(TRANS32_DEP_1) | instskip(SKIP_1) | instid1(SALU_CYCLE_3)
	v_readfirstlane_b32 s7, v1
	s_mul_f32 s7, s7, 0x4f7ffffe
	s_cvt_u32_f32 s7, s7
	s_delay_alu instid0(SALU_CYCLE_3) | instskip(NEXT) | instid1(SALU_CYCLE_1)
	s_mul_i32 s10, s10, s7
	s_mul_hi_u32 s10, s7, s10
	s_delay_alu instid0(SALU_CYCLE_1) | instskip(SKIP_2) | instid1(SALU_CYCLE_1)
	s_add_co_i32 s7, s7, s10
	s_cmp_eq_u32 s11, 0
	s_cselect_b32 s8, ttmp9, s8
	s_mul_hi_u32 s7, s8, s7
	s_delay_alu instid0(SALU_CYCLE_1) | instskip(SKIP_2) | instid1(SALU_CYCLE_1)
	s_mul_i32 s9, s7, s17
	s_add_co_i32 s10, s7, 1
	s_sub_co_i32 s9, s8, s9
	s_sub_co_i32 s11, s9, s17
	s_cmp_ge_u32 s9, s17
	s_cselect_b32 s7, s10, s7
	s_cselect_b32 s9, s11, s9
	s_add_co_i32 s10, s7, 1
	s_cmp_ge_u32 s9, s17
	s_cselect_b32 s19, s10, s7
	s_delay_alu instid0(SALU_CYCLE_1) | instskip(SKIP_2) | instid1(SALU_CYCLE_1)
	s_mul_i32 s7, s19, s17
	v_lshl_or_b32 v10, s19, 8, v0
	s_sub_co_i32 s8, s8, s7
	s_ashr_i32 s9, s8, 31
	s_delay_alu instid0(VALU_DEP_1) | instskip(SKIP_1) | instid1(SALU_CYCLE_1)
	v_ashrrev_i32_e32 v11, 31, v10
	s_lshl_b64 s[8:9], s[8:9], 2
	s_add_nc_u64 s[12:13], s[12:13], s[8:9]
	s_load_b32 s20, s[12:13], 0x0
	s_load_b128 s[8:11], s[0:1], 0x38
	s_wait_kmcnt 0x0
	s_ashr_i32 s21, s20, 31
	s_delay_alu instid0(SALU_CYCLE_1)
	s_lshl_b64 s[12:13], s[20:21], 3
	s_mul_u64 s[22:23], s[10:11], s[20:21]
	s_add_nc_u64 s[2:3], s[2:3], s[12:13]
	v_add_nc_u64_e32 v[12:13], s[22:23], v[10:11]
	s_load_b128 s[12:15], s[2:3], 0x0
	s_wait_xcnt 0x0
	v_cmp_gt_i32_e64 s2, s18, v10
	s_cmp_lg_u32 s16, 0x71
	s_cbranch_scc0 .LBB78_6
; %bb.3:
	v_mov_b64_e32 v[4:5], 0
	v_mov_b64_e32 v[2:3], 0
	s_and_saveexec_b32 s3, s2
	s_cbranch_execz .LBB78_5
; %bb.4:
	v_lshl_add_u64 v[2:3], v[12:13], 4, s[8:9]
	global_load_b128 v[14:17], v[2:3], off
	s_wait_loadcnt_dscnt 0x0
	v_mul_f64_e64 v[2:3], v[16:17], -v[8:9]
	v_mul_f64_e32 v[4:5], v[6:7], v[16:17]
	s_delay_alu instid0(VALU_DEP_2) | instskip(NEXT) | instid1(VALU_DEP_2)
	v_fmac_f64_e32 v[2:3], v[6:7], v[14:15]
	v_fmac_f64_e32 v[4:5], v[8:9], v[14:15]
.LBB78_5:
	s_or_b32 exec_lo, exec_lo, s3
	s_load_b64 s[16:17], s[0:1], 0x48
	s_cbranch_execz .LBB78_7
	s_branch .LBB78_10
.LBB78_6:
                                        ; implicit-def: $vgpr4_vgpr5
	s_load_b64 s[16:17], s[0:1], 0x48
.LBB78_7:
	v_mov_b64_e32 v[4:5], 0
	v_mov_b64_e32 v[2:3], 0
	s_and_saveexec_b32 s3, s2
	s_cbranch_execz .LBB78_9
; %bb.8:
	v_lshl_add_u64 v[2:3], v[12:13], 4, s[8:9]
	global_load_b128 v[12:15], v[2:3], off
	s_wait_loadcnt_dscnt 0x0
	v_mul_f64_e32 v[2:3], v[8:9], v[14:15]
	v_mul_f64_e64 v[4:5], v[6:7], -v[14:15]
	s_delay_alu instid0(VALU_DEP_2) | instskip(NEXT) | instid1(VALU_DEP_2)
	v_fmac_f64_e32 v[2:3], v[6:7], v[12:13]
	v_fmac_f64_e32 v[4:5], v[8:9], v[12:13]
.LBB78_9:
	s_or_b32 exec_lo, exec_lo, s3
.LBB78_10:
	s_wait_kmcnt 0x0
	v_cmp_ge_i64_e64 s3, s[12:13], s[14:15]
	v_lshl_add_u64 v[10:11], v[10:11], 4, s[8:9]
	s_and_b32 vcc_lo, exec_lo, s3
	v_cmp_eq_u32_e64 s3, 0, v0
	s_cbranch_vccnz .LBB78_53
; %bb.11:
	s_clause 0x1
	s_load_b128 s[24:27], s[0:1], 0x28
	s_load_b64 s[8:9], s[0:1], 0x58
	s_wait_loadcnt_dscnt 0x0
	v_dual_mov_b32 v1, 0 :: v_dual_lshlrev_b32 v6, 2, v0
	v_lshlrev_b32_e32 v12, 4, v0
	v_mov_b64_e32 v[18:19], 1.0
	v_mov_b64_e32 v[20:21], 0
	s_delay_alu instid0(VALU_DEP_4)
	v_dual_mov_b32 v7, v1 :: v_dual_mov_b32 v13, v1
	s_wait_xcnt 0x0
	s_mov_b32 s1, 0
	s_mov_b32 s0, s4
	v_or_b32_e32 v30, 0x1000, v6
	s_cmp_eq_u32 s6, 0
	s_sub_nc_u64 s[12:13], s[12:13], s[0:1]
	s_cselect_b32 s21, -1, 0
	s_sub_nc_u64 s[14:15], s[14:15], s[0:1]
	s_mov_b64 s[18:19], s[12:13]
	s_wait_kmcnt 0x0
	v_add_nc_u64_e32 v[14:15], s[24:25], v[6:7]
	v_add_nc_u64_e32 v[16:17], s[26:27], v[12:13]
	s_add_co_i32 s26, s20, s4
	s_sub_co_i32 s0, s18, s12
	s_delay_alu instid0(SALU_CYCLE_1) | instskip(NEXT) | instid1(SALU_CYCLE_1)
	s_and_b32 s1, s0, 0xff
	s_cmp_lg_u32 s1, 0
	s_cbranch_scc1 .LBB78_15
.LBB78_12:
	v_mov_b64_e32 v[6:7], -1.0
	v_mov_b64_e32 v[8:9], 0
	v_mov_b32_e32 v13, -1
	s_sub_nc_u64 s[24:25], s[14:15], s[18:19]
	s_mov_b32 s0, exec_lo
	v_cmpx_gt_i64_e64 s[24:25], v[0:1]
	s_cbranch_execz .LBB78_14
; %bb.13:
	v_lshl_add_u64 v[6:7], s[18:19], 2, v[14:15]
	global_load_b32 v13, v[6:7], off
	s_wait_xcnt 0x0
	v_lshl_add_u64 v[6:7], s[18:19], 4, v[16:17]
	global_load_b128 v[6:9], v[6:7], off
	s_wait_loadcnt 0x1
	v_subrev_nc_u32_e32 v13, s4, v13
.LBB78_14:
	s_wait_xcnt 0x0
	s_or_b32 exec_lo, exec_lo, s0
	ds_store_b32 v30, v13
	s_wait_loadcnt 0x0
	ds_store_b128 v12, v[6:9]
.LBB78_15:                              ; =>This Loop Header: Depth=1
                                        ;     Child Loop BB78_51 Depth 2
                                        ;       Child Loop BB78_52 Depth 3
	s_lshl_b32 s0, s1, 4
	s_wait_storecnt_dscnt 0x0
	v_mov_b32_e32 v6, s0
	s_barrier_signal -1
	s_barrier_wait -1
	s_lshl_b32 s1, s1, 2
	ds_load_b128 v[22:25], v6
	v_mov_b32_e32 v6, s1
	ds_load_b32 v6, v6 offset:4096
	s_wait_dscnt 0x1
	v_cmp_eq_f64_e32 vcc_lo, 0, v[22:23]
	v_cmp_eq_f64_e64 s0, 0, v[24:25]
	s_wait_dscnt 0x0
	v_readfirstlane_b32 s24, v6
	s_and_b32 s0, vcc_lo, s0
	s_cmp_eq_u32 s24, s20
	s_cselect_b32 s25, -1, 0
	s_cmp_lg_u32 s24, s20
	s_cselect_b32 s1, -1, 0
	s_and_b32 s0, s0, s25
	s_delay_alu instid0(SALU_CYCLE_1) | instskip(NEXT) | instid1(SALU_CYCLE_1)
	s_and_b32 s0, s21, s0
	v_cndmask_b32_e64 v7, v25, 0, s0
	v_cndmask_b32_e64 v6, v24, 0, s0
	;; [unrolled: 1-line block ×4, first 2 shown]
	s_and_b32 s13, s3, s0
	s_delay_alu instid0(SALU_CYCLE_1)
	s_and_saveexec_b32 s0, s13
	s_cbranch_execz .LBB78_19
; %bb.16:                               ;   in Loop: Header=BB78_15 Depth=1
	v_mbcnt_lo_u32_b32 v6, exec_lo, 0
	s_mov_b32 s13, exec_lo
	s_delay_alu instid0(VALU_DEP_1)
	v_cmpx_eq_u32_e32 0, v6
	s_cbranch_execz .LBB78_18
; %bb.17:                               ;   in Loop: Header=BB78_15 Depth=1
	v_mov_b32_e32 v6, s26
	global_atomic_min_i32 v1, v6, s[8:9] scope:SCOPE_DEV
.LBB78_18:                              ;   in Loop: Header=BB78_15 Depth=1
	s_wait_xcnt 0x0
	s_or_b32 exec_lo, exec_lo, s13
	v_mov_b64_e32 v[8:9], 1.0
	v_mov_b64_e32 v[6:7], 0
.LBB78_19:                              ;   in Loop: Header=BB78_15 Depth=1
	s_or_b32 exec_lo, exec_lo, s0
	s_mov_b32 s27, -1
	s_mov_b32 s0, 0
	s_cmp_lt_i32 s5, 1
	s_mov_b32 s13, 0
                                        ; implicit-def: $vgpr22_vgpr23
                                        ; implicit-def: $vgpr24_vgpr25
	s_cbranch_scc0 .LBB78_26
; %bb.20:                               ;   in Loop: Header=BB78_15 Depth=1
	s_and_b32 vcc_lo, exec_lo, s27
	s_mov_b32 s25, 4
	s_cbranch_vccnz .LBB78_33
.LBB78_21:                              ;   in Loop: Header=BB78_15 Depth=1
	v_mov_b64_e32 v[28:29], v[4:5]
	v_mov_b64_e32 v[26:27], v[2:3]
	s_and_b32 vcc_lo, exec_lo, s13
	s_cbranch_vccnz .LBB78_38
.LBB78_22:                              ;   in Loop: Header=BB78_15 Depth=1
	s_and_b32 vcc_lo, exec_lo, s0
	s_cbranch_vccnz .LBB78_43
.LBB78_23:                              ;   in Loop: Header=BB78_15 Depth=1
	s_mov_b32 s0, -1
	s_cmp_gt_i32 s25, 3
	s_mov_b32 s1, -1
	s_cbranch_scc0 .LBB78_46
.LBB78_24:                              ;   in Loop: Header=BB78_15 Depth=1
	s_and_not1_b32 vcc_lo, exec_lo, s1
	s_cbranch_vccz .LBB78_47
.LBB78_25:                              ;   in Loop: Header=BB78_15 Depth=1
	s_delay_alu instid0(VALU_DEP_1) | instskip(NEXT) | instid1(VALU_DEP_2)
	v_mov_b64_e32 v[4:5], v[28:29]
	v_mov_b64_e32 v[2:3], v[26:27]
	s_and_not1_b32 vcc_lo, exec_lo, s0
	s_cbranch_vccnz .LBB78_48
	s_branch .LBB78_54
.LBB78_26:                              ;   in Loop: Header=BB78_15 Depth=1
	s_cmp_eq_u32 s5, 1
	s_mov_b32 s13, -1
                                        ; implicit-def: $vgpr22_vgpr23
                                        ; implicit-def: $vgpr24_vgpr25
	s_cbranch_scc0 .LBB78_32
; %bb.27:                               ;   in Loop: Header=BB78_15 Depth=1
	v_mov_b64_e32 v[22:23], v[20:21]
	v_mov_b64_e32 v[24:25], v[18:19]
	s_cmp_ge_i32 s24, s20
	s_mov_b32 s13, 0
	s_cbranch_scc0 .LBB78_32
; %bb.28:                               ;   in Loop: Header=BB78_15 Depth=1
	s_and_b32 vcc_lo, exec_lo, s25
	s_mov_b32 s13, -1
                                        ; implicit-def: $vgpr22_vgpr23
                                        ; implicit-def: $vgpr24_vgpr25
	s_cbranch_vccz .LBB78_32
; %bb.29:                               ;   in Loop: Header=BB78_15 Depth=1
	v_mov_b64_e32 v[22:23], v[20:21]
	v_mov_b64_e32 v[24:25], v[18:19]
	s_and_not1_b32 vcc_lo, exec_lo, s21
	s_cbranch_vccnz .LBB78_31
; %bb.30:                               ;   in Loop: Header=BB78_15 Depth=1
	v_mul_f64_e32 v[22:23], v[6:7], v[6:7]
	s_delay_alu instid0(VALU_DEP_1) | instskip(NEXT) | instid1(VALU_DEP_1)
	v_fmac_f64_e32 v[22:23], v[8:9], v[8:9]
	v_div_scale_f64 v[24:25], null, v[22:23], v[22:23], 1.0
	v_div_scale_f64 v[32:33], vcc_lo, 1.0, v[22:23], 1.0
	s_delay_alu instid0(VALU_DEP_2) | instskip(SKIP_1) | instid1(TRANS32_DEP_1)
	v_rcp_f64_e32 v[26:27], v[24:25]
	v_nop
	v_fma_f64 v[28:29], -v[24:25], v[26:27], 1.0
	s_delay_alu instid0(VALU_DEP_1) | instskip(NEXT) | instid1(VALU_DEP_1)
	v_fmac_f64_e32 v[26:27], v[26:27], v[28:29]
	v_fma_f64 v[28:29], -v[24:25], v[26:27], 1.0
	s_delay_alu instid0(VALU_DEP_1) | instskip(NEXT) | instid1(VALU_DEP_1)
	v_fmac_f64_e32 v[26:27], v[26:27], v[28:29]
	v_mul_f64_e32 v[28:29], v[32:33], v[26:27]
	s_delay_alu instid0(VALU_DEP_1) | instskip(NEXT) | instid1(VALU_DEP_1)
	v_fma_f64 v[24:25], -v[24:25], v[28:29], v[32:33]
	v_div_fmas_f64 v[24:25], v[24:25], v[26:27], v[28:29]
	v_fma_f64 v[26:27], 0, v[6:7], v[8:9]
	v_fma_f64 v[28:29], v[8:9], 0, -v[6:7]
	s_delay_alu instid0(VALU_DEP_3) | instskip(NEXT) | instid1(VALU_DEP_1)
	v_div_fixup_f64 v[22:23], v[24:25], v[22:23], 1.0
	v_mul_f64_e32 v[24:25], v[26:27], v[22:23]
	s_delay_alu instid0(VALU_DEP_3)
	v_mul_f64_e32 v[22:23], v[28:29], v[22:23]
.LBB78_31:                              ;   in Loop: Header=BB78_15 Depth=1
	s_mov_b32 s13, 0
.LBB78_32:                              ;   in Loop: Header=BB78_15 Depth=1
	s_mov_b32 s25, 4
	s_branch .LBB78_21
.LBB78_33:                              ;   in Loop: Header=BB78_15 Depth=1
	s_cmp_eq_u32 s5, 0
	s_cbranch_scc1 .LBB78_35
; %bb.34:                               ;   in Loop: Header=BB78_15 Depth=1
	s_mov_b32 s13, -1
	s_branch .LBB78_37
.LBB78_35:                              ;   in Loop: Header=BB78_15 Depth=1
	s_cmp_le_i32 s24, s20
	s_mov_b32 s13, 0
	s_cbranch_scc0 .LBB78_37
; %bb.36:                               ;   in Loop: Header=BB78_15 Depth=1
	s_mov_b32 s0, -1
	s_mov_b32 s13, s1
.LBB78_37:                              ;   in Loop: Header=BB78_15 Depth=1
	v_mov_b64_e32 v[22:23], v[20:21]
	v_mov_b64_e32 v[24:25], v[18:19]
	s_mov_b32 s25, 2
	v_mov_b64_e32 v[28:29], v[4:5]
	v_mov_b64_e32 v[26:27], v[2:3]
	s_and_b32 vcc_lo, exec_lo, s13
	s_cbranch_vccz .LBB78_22
.LBB78_38:                              ;   in Loop: Header=BB78_15 Depth=1
	s_and_saveexec_b32 s13, s3
	s_cbranch_execz .LBB78_40
; %bb.39:                               ;   in Loop: Header=BB78_15 Depth=1
	s_add_co_i32 s0, s24, s7
	s_delay_alu instid0(SALU_CYCLE_1)
	v_mov_b32_e32 v13, s0
	global_load_b32 v13, v13, s[16:17] scale_offset scope:SCOPE_DEV
	s_wait_loadcnt 0x0
	v_cmp_ne_u32_e32 vcc_lo, 0, v13
	s_cbranch_vccz .LBB78_49
.LBB78_40:                              ;   in Loop: Header=BB78_15 Depth=1
	s_wait_xcnt 0x0
	s_or_b32 exec_lo, exec_lo, s13
	v_mov_b64_e32 v[28:29], 0
	v_mov_b64_e32 v[26:27], 0
	s_wait_storecnt 0x0
	s_barrier_signal -1
	s_barrier_wait -1
	global_inv scope:SCOPE_DEV
	s_and_saveexec_b32 s0, s2
	s_cbranch_execz .LBB78_42
; %bb.41:                               ;   in Loop: Header=BB78_15 Depth=1
	s_ashr_i32 s25, s24, 31
	s_delay_alu instid0(SALU_CYCLE_1) | instskip(NEXT) | instid1(SALU_CYCLE_1)
	s_mul_u64 s[24:25], s[10:11], s[24:25]
	v_lshl_add_u64 v[22:23], s[24:25], 4, v[10:11]
	global_load_b128 v[22:25], v[22:23], off
	s_wait_loadcnt 0x0
	v_fma_f64 v[26:27], -v[8:9], v[22:23], v[2:3]
	v_fma_f64 v[22:23], -v[6:7], v[22:23], v[4:5]
	s_delay_alu instid0(VALU_DEP_2) | instskip(NEXT) | instid1(VALU_DEP_2)
	v_fmac_f64_e32 v[26:27], v[6:7], v[24:25]
	v_fma_f64 v[28:29], -v[8:9], v[24:25], v[22:23]
.LBB78_42:                              ;   in Loop: Header=BB78_15 Depth=1
	s_or_b32 exec_lo, exec_lo, s0
	v_mov_b64_e32 v[22:23], v[20:21]
	v_mov_b64_e32 v[24:25], v[18:19]
	s_mov_b32 s25, 0
	s_branch .LBB78_23
.LBB78_43:                              ;   in Loop: Header=BB78_15 Depth=1
	s_and_not1_b32 vcc_lo, exec_lo, s21
	s_cbranch_vccnz .LBB78_45
; %bb.44:                               ;   in Loop: Header=BB78_15 Depth=1
	v_mul_f64_e32 v[18:19], v[6:7], v[6:7]
	s_delay_alu instid0(VALU_DEP_1) | instskip(NEXT) | instid1(VALU_DEP_1)
	v_fmac_f64_e32 v[18:19], v[8:9], v[8:9]
	v_div_scale_f64 v[20:21], null, v[18:19], v[18:19], 1.0
	v_div_scale_f64 v[26:27], vcc_lo, 1.0, v[18:19], 1.0
	s_delay_alu instid0(VALU_DEP_2) | instskip(SKIP_1) | instid1(TRANS32_DEP_1)
	v_rcp_f64_e32 v[22:23], v[20:21]
	v_nop
	v_fma_f64 v[24:25], -v[20:21], v[22:23], 1.0
	s_delay_alu instid0(VALU_DEP_1) | instskip(NEXT) | instid1(VALU_DEP_1)
	v_fmac_f64_e32 v[22:23], v[22:23], v[24:25]
	v_fma_f64 v[24:25], -v[20:21], v[22:23], 1.0
	s_delay_alu instid0(VALU_DEP_1) | instskip(NEXT) | instid1(VALU_DEP_1)
	v_fmac_f64_e32 v[22:23], v[22:23], v[24:25]
	v_mul_f64_e32 v[24:25], v[26:27], v[22:23]
	s_delay_alu instid0(VALU_DEP_1) | instskip(NEXT) | instid1(VALU_DEP_1)
	v_fma_f64 v[20:21], -v[20:21], v[24:25], v[26:27]
	v_div_fmas_f64 v[20:21], v[20:21], v[22:23], v[24:25]
	v_fma_f64 v[22:23], 0, v[6:7], v[8:9]
	v_fma_f64 v[6:7], v[8:9], 0, -v[6:7]
	s_delay_alu instid0(VALU_DEP_3) | instskip(NEXT) | instid1(VALU_DEP_1)
	v_div_fixup_f64 v[20:21], v[20:21], v[18:19], 1.0
	v_mul_f64_e32 v[18:19], v[22:23], v[20:21]
	s_delay_alu instid0(VALU_DEP_3)
	v_mul_f64_e32 v[20:21], v[6:7], v[20:21]
.LBB78_45:                              ;   in Loop: Header=BB78_15 Depth=1
	s_delay_alu instid0(VALU_DEP_2) | instskip(NEXT) | instid1(VALU_DEP_2)
	v_mov_b64_e32 v[24:25], v[18:19]
	v_mov_b64_e32 v[22:23], v[20:21]
	;; [unrolled: 1-line block ×4, first 2 shown]
	s_mov_b32 s25, 2
	s_mov_b32 s0, -1
	s_cmp_gt_i32 s25, 3
	s_mov_b32 s1, -1
	s_cbranch_scc1 .LBB78_24
.LBB78_46:                              ;   in Loop: Header=BB78_15 Depth=1
	s_cmp_eq_u32 s25, 0
	s_cselect_b32 s1, -1, 0
	s_delay_alu instid0(SALU_CYCLE_1)
	s_and_not1_b32 vcc_lo, exec_lo, s1
	s_cbranch_vccnz .LBB78_25
.LBB78_47:                              ;   in Loop: Header=BB78_15 Depth=1
	s_add_nc_u64 s[18:19], s[18:19], 1
	s_delay_alu instid0(SALU_CYCLE_1) | instskip(NEXT) | instid1(VALU_DEP_2)
	v_cmp_ge_i64_e64 s0, s[18:19], s[14:15]
	v_mov_b64_e32 v[4:5], v[28:29]
	s_delay_alu instid0(VALU_DEP_3)
	v_mov_b64_e32 v[2:3], v[26:27]
	s_and_not1_b32 vcc_lo, exec_lo, s0
	s_cbranch_vccz .LBB78_54
.LBB78_48:                              ;   in Loop: Header=BB78_15 Depth=1
	s_delay_alu instid0(VALU_DEP_4) | instskip(NEXT) | instid1(VALU_DEP_4)
	v_mov_b64_e32 v[20:21], v[22:23]
	v_mov_b64_e32 v[18:19], v[24:25]
	s_sub_co_i32 s0, s18, s12
	s_delay_alu instid0(SALU_CYCLE_1) | instskip(NEXT) | instid1(SALU_CYCLE_1)
	s_and_b32 s1, s0, 0xff
	s_cmp_lg_u32 s1, 0
	s_cbranch_scc1 .LBB78_15
	s_branch .LBB78_12
.LBB78_49:                              ;   in Loop: Header=BB78_15 Depth=1
	s_ashr_i32 s1, s0, 31
	s_mov_b32 s25, 0
	s_lshl_b64 s[0:1], s[0:1], 2
	s_delay_alu instid0(SALU_CYCLE_1)
	s_add_nc_u64 s[0:1], s[16:17], s[0:1]
	s_branch .LBB78_51
.LBB78_50:                              ;   in Loop: Header=BB78_51 Depth=2
	global_load_b32 v13, v1, s[0:1] scope:SCOPE_DEV
	s_cmp_lt_u32 s25, 0xf43
	s_cselect_b32 s27, -1, 0
	s_delay_alu instid0(SALU_CYCLE_1)
	s_cmp_lg_u32 s27, 0
	s_add_co_ci_u32 s25, s25, 0
	s_wait_loadcnt 0x0
	v_cmp_ne_u32_e32 vcc_lo, 0, v13
	s_cbranch_vccnz .LBB78_40
.LBB78_51:                              ;   Parent Loop BB78_15 Depth=1
                                        ; =>  This Loop Header: Depth=2
                                        ;       Child Loop BB78_52 Depth 3
	s_cmp_eq_u32 s25, 0
	s_mov_b32 s27, s25
	s_cbranch_scc1 .LBB78_50
.LBB78_52:                              ;   Parent Loop BB78_15 Depth=1
                                        ;     Parent Loop BB78_51 Depth=2
                                        ; =>    This Inner Loop Header: Depth=3
	s_add_co_i32 s27, s27, -1
	s_sleep 1
	s_cmp_eq_u32 s27, 0
	s_cbranch_scc0 .LBB78_52
	s_branch .LBB78_50
.LBB78_53:
	v_mov_b64_e32 v[24:25], 1.0
	v_mov_b64_e32 v[22:23], 0
.LBB78_54:
	s_cmp_lg_u32 s6, 0
	s_cbranch_scc0 .LBB78_60
; %bb.55:
	s_and_saveexec_b32 s0, s2
	s_cbranch_execz .LBB78_57
.LBB78_56:
	s_wait_loadcnt_dscnt 0x0
	v_lshl_add_u64 v[6:7], s[22:23], 4, v[10:11]
	global_store_b128 v[6:7], v[2:5], off
.LBB78_57:
	s_wait_xcnt 0x0
	s_or_b32 exec_lo, exec_lo, s0
	global_wb scope:SCOPE_DEV
	s_wait_storecnt 0x0
	s_wait_loadcnt_dscnt 0x0
	global_inv scope:SCOPE_DEV
	s_wait_loadcnt 0x0
	s_barrier_signal -1
	s_barrier_wait -1
	s_mov_b32 s0, exec_lo
	v_cmpx_eq_u32_e32 0, v0
	s_cbranch_execz .LBB78_59
; %bb.58:
	s_add_co_i32 s0, s20, s7
	s_delay_alu instid0(SALU_CYCLE_1)
	v_dual_mov_b32 v0, 1 :: v_dual_mov_b32 v1, s0
	global_store_b32 v1, v0, s[16:17] scale_offset scope:SCOPE_DEV
.LBB78_59:
	s_endpgm
.LBB78_60:
	s_wait_loadcnt_dscnt 0x0
	s_delay_alu instid0(VALU_DEP_1) | instskip(SKIP_1) | instid1(VALU_DEP_2)
	v_mul_f64_e64 v[6:7], v[22:23], -v[4:5]
	v_mul_f64_e32 v[8:9], v[22:23], v[2:3]
	v_fmac_f64_e32 v[6:7], v[2:3], v[24:25]
	s_delay_alu instid0(VALU_DEP_2) | instskip(NEXT) | instid1(VALU_DEP_2)
	v_fmac_f64_e32 v[8:9], v[4:5], v[24:25]
	v_mov_b64_e32 v[2:3], v[6:7]
	s_delay_alu instid0(VALU_DEP_2)
	v_mov_b64_e32 v[4:5], v[8:9]
	s_and_saveexec_b32 s0, s2
	s_cbranch_execnz .LBB78_56
	s_branch .LBB78_57
	.section	.rodata,"a",@progbits
	.p2align	6, 0x0
	.amdhsa_kernel _ZN9rocsparseL5csrsmILj256ELj64ELb1Eli21rocsparse_complex_numIdEEEv20rocsparse_operation_T3_S4_NS_24const_host_device_scalarIT4_EEPKT2_PKS4_PKS6_PS6_lPiSC_PS4_21rocsparse_index_base_20rocsparse_fill_mode_20rocsparse_diag_type_b
		.amdhsa_group_segment_fixed_size 5120
		.amdhsa_private_segment_fixed_size 16
		.amdhsa_kernarg_size 112
		.amdhsa_user_sgpr_count 2
		.amdhsa_user_sgpr_dispatch_ptr 0
		.amdhsa_user_sgpr_queue_ptr 0
		.amdhsa_user_sgpr_kernarg_segment_ptr 1
		.amdhsa_user_sgpr_dispatch_id 0
		.amdhsa_user_sgpr_kernarg_preload_length 0
		.amdhsa_user_sgpr_kernarg_preload_offset 0
		.amdhsa_user_sgpr_private_segment_size 0
		.amdhsa_wavefront_size32 1
		.amdhsa_uses_dynamic_stack 0
		.amdhsa_enable_private_segment 1
		.amdhsa_system_sgpr_workgroup_id_x 1
		.amdhsa_system_sgpr_workgroup_id_y 0
		.amdhsa_system_sgpr_workgroup_id_z 0
		.amdhsa_system_sgpr_workgroup_info 0
		.amdhsa_system_vgpr_workitem_id 0
		.amdhsa_next_free_vgpr 34
		.amdhsa_next_free_sgpr 28
		.amdhsa_named_barrier_count 0
		.amdhsa_reserve_vcc 1
		.amdhsa_float_round_mode_32 0
		.amdhsa_float_round_mode_16_64 0
		.amdhsa_float_denorm_mode_32 3
		.amdhsa_float_denorm_mode_16_64 3
		.amdhsa_fp16_overflow 0
		.amdhsa_memory_ordered 1
		.amdhsa_forward_progress 1
		.amdhsa_inst_pref_size 18
		.amdhsa_round_robin_scheduling 0
		.amdhsa_exception_fp_ieee_invalid_op 0
		.amdhsa_exception_fp_denorm_src 0
		.amdhsa_exception_fp_ieee_div_zero 0
		.amdhsa_exception_fp_ieee_overflow 0
		.amdhsa_exception_fp_ieee_underflow 0
		.amdhsa_exception_fp_ieee_inexact 0
		.amdhsa_exception_int_div_zero 0
	.end_amdhsa_kernel
	.section	.text._ZN9rocsparseL5csrsmILj256ELj64ELb1Eli21rocsparse_complex_numIdEEEv20rocsparse_operation_T3_S4_NS_24const_host_device_scalarIT4_EEPKT2_PKS4_PKS6_PS6_lPiSC_PS4_21rocsparse_index_base_20rocsparse_fill_mode_20rocsparse_diag_type_b,"axG",@progbits,_ZN9rocsparseL5csrsmILj256ELj64ELb1Eli21rocsparse_complex_numIdEEEv20rocsparse_operation_T3_S4_NS_24const_host_device_scalarIT4_EEPKT2_PKS4_PKS6_PS6_lPiSC_PS4_21rocsparse_index_base_20rocsparse_fill_mode_20rocsparse_diag_type_b,comdat
.Lfunc_end78:
	.size	_ZN9rocsparseL5csrsmILj256ELj64ELb1Eli21rocsparse_complex_numIdEEEv20rocsparse_operation_T3_S4_NS_24const_host_device_scalarIT4_EEPKT2_PKS4_PKS6_PS6_lPiSC_PS4_21rocsparse_index_base_20rocsparse_fill_mode_20rocsparse_diag_type_b, .Lfunc_end78-_ZN9rocsparseL5csrsmILj256ELj64ELb1Eli21rocsparse_complex_numIdEEEv20rocsparse_operation_T3_S4_NS_24const_host_device_scalarIT4_EEPKT2_PKS4_PKS6_PS6_lPiSC_PS4_21rocsparse_index_base_20rocsparse_fill_mode_20rocsparse_diag_type_b
                                        ; -- End function
	.set _ZN9rocsparseL5csrsmILj256ELj64ELb1Eli21rocsparse_complex_numIdEEEv20rocsparse_operation_T3_S4_NS_24const_host_device_scalarIT4_EEPKT2_PKS4_PKS6_PS6_lPiSC_PS4_21rocsparse_index_base_20rocsparse_fill_mode_20rocsparse_diag_type_b.num_vgpr, 34
	.set _ZN9rocsparseL5csrsmILj256ELj64ELb1Eli21rocsparse_complex_numIdEEEv20rocsparse_operation_T3_S4_NS_24const_host_device_scalarIT4_EEPKT2_PKS4_PKS6_PS6_lPiSC_PS4_21rocsparse_index_base_20rocsparse_fill_mode_20rocsparse_diag_type_b.num_agpr, 0
	.set _ZN9rocsparseL5csrsmILj256ELj64ELb1Eli21rocsparse_complex_numIdEEEv20rocsparse_operation_T3_S4_NS_24const_host_device_scalarIT4_EEPKT2_PKS4_PKS6_PS6_lPiSC_PS4_21rocsparse_index_base_20rocsparse_fill_mode_20rocsparse_diag_type_b.numbered_sgpr, 28
	.set _ZN9rocsparseL5csrsmILj256ELj64ELb1Eli21rocsparse_complex_numIdEEEv20rocsparse_operation_T3_S4_NS_24const_host_device_scalarIT4_EEPKT2_PKS4_PKS6_PS6_lPiSC_PS4_21rocsparse_index_base_20rocsparse_fill_mode_20rocsparse_diag_type_b.num_named_barrier, 0
	.set _ZN9rocsparseL5csrsmILj256ELj64ELb1Eli21rocsparse_complex_numIdEEEv20rocsparse_operation_T3_S4_NS_24const_host_device_scalarIT4_EEPKT2_PKS4_PKS6_PS6_lPiSC_PS4_21rocsparse_index_base_20rocsparse_fill_mode_20rocsparse_diag_type_b.private_seg_size, 16
	.set _ZN9rocsparseL5csrsmILj256ELj64ELb1Eli21rocsparse_complex_numIdEEEv20rocsparse_operation_T3_S4_NS_24const_host_device_scalarIT4_EEPKT2_PKS4_PKS6_PS6_lPiSC_PS4_21rocsparse_index_base_20rocsparse_fill_mode_20rocsparse_diag_type_b.uses_vcc, 1
	.set _ZN9rocsparseL5csrsmILj256ELj64ELb1Eli21rocsparse_complex_numIdEEEv20rocsparse_operation_T3_S4_NS_24const_host_device_scalarIT4_EEPKT2_PKS4_PKS6_PS6_lPiSC_PS4_21rocsparse_index_base_20rocsparse_fill_mode_20rocsparse_diag_type_b.uses_flat_scratch, 0
	.set _ZN9rocsparseL5csrsmILj256ELj64ELb1Eli21rocsparse_complex_numIdEEEv20rocsparse_operation_T3_S4_NS_24const_host_device_scalarIT4_EEPKT2_PKS4_PKS6_PS6_lPiSC_PS4_21rocsparse_index_base_20rocsparse_fill_mode_20rocsparse_diag_type_b.has_dyn_sized_stack, 0
	.set _ZN9rocsparseL5csrsmILj256ELj64ELb1Eli21rocsparse_complex_numIdEEEv20rocsparse_operation_T3_S4_NS_24const_host_device_scalarIT4_EEPKT2_PKS4_PKS6_PS6_lPiSC_PS4_21rocsparse_index_base_20rocsparse_fill_mode_20rocsparse_diag_type_b.has_recursion, 0
	.set _ZN9rocsparseL5csrsmILj256ELj64ELb1Eli21rocsparse_complex_numIdEEEv20rocsparse_operation_T3_S4_NS_24const_host_device_scalarIT4_EEPKT2_PKS4_PKS6_PS6_lPiSC_PS4_21rocsparse_index_base_20rocsparse_fill_mode_20rocsparse_diag_type_b.has_indirect_call, 0
	.section	.AMDGPU.csdata,"",@progbits
; Kernel info:
; codeLenInByte = 2216
; TotalNumSgprs: 30
; NumVgprs: 34
; ScratchSize: 16
; MemoryBound: 1
; FloatMode: 240
; IeeeMode: 1
; LDSByteSize: 5120 bytes/workgroup (compile time only)
; SGPRBlocks: 0
; VGPRBlocks: 2
; NumSGPRsForWavesPerEU: 30
; NumVGPRsForWavesPerEU: 34
; NamedBarCnt: 0
; Occupancy: 16
; WaveLimiterHint : 1
; COMPUTE_PGM_RSRC2:SCRATCH_EN: 1
; COMPUTE_PGM_RSRC2:USER_SGPR: 2
; COMPUTE_PGM_RSRC2:TRAP_HANDLER: 0
; COMPUTE_PGM_RSRC2:TGID_X_EN: 1
; COMPUTE_PGM_RSRC2:TGID_Y_EN: 0
; COMPUTE_PGM_RSRC2:TGID_Z_EN: 0
; COMPUTE_PGM_RSRC2:TIDIG_COMP_CNT: 0
	.section	.text._ZN9rocsparseL5csrsmILj256ELj64ELb0Eli21rocsparse_complex_numIdEEEv20rocsparse_operation_T3_S4_NS_24const_host_device_scalarIT4_EEPKT2_PKS4_PKS6_PS6_lPiSC_PS4_21rocsparse_index_base_20rocsparse_fill_mode_20rocsparse_diag_type_b,"axG",@progbits,_ZN9rocsparseL5csrsmILj256ELj64ELb0Eli21rocsparse_complex_numIdEEEv20rocsparse_operation_T3_S4_NS_24const_host_device_scalarIT4_EEPKT2_PKS4_PKS6_PS6_lPiSC_PS4_21rocsparse_index_base_20rocsparse_fill_mode_20rocsparse_diag_type_b,comdat
	.globl	_ZN9rocsparseL5csrsmILj256ELj64ELb0Eli21rocsparse_complex_numIdEEEv20rocsparse_operation_T3_S4_NS_24const_host_device_scalarIT4_EEPKT2_PKS4_PKS6_PS6_lPiSC_PS4_21rocsparse_index_base_20rocsparse_fill_mode_20rocsparse_diag_type_b ; -- Begin function _ZN9rocsparseL5csrsmILj256ELj64ELb0Eli21rocsparse_complex_numIdEEEv20rocsparse_operation_T3_S4_NS_24const_host_device_scalarIT4_EEPKT2_PKS4_PKS6_PS6_lPiSC_PS4_21rocsparse_index_base_20rocsparse_fill_mode_20rocsparse_diag_type_b
	.p2align	8
	.type	_ZN9rocsparseL5csrsmILj256ELj64ELb0Eli21rocsparse_complex_numIdEEEv20rocsparse_operation_T3_S4_NS_24const_host_device_scalarIT4_EEPKT2_PKS4_PKS6_PS6_lPiSC_PS4_21rocsparse_index_base_20rocsparse_fill_mode_20rocsparse_diag_type_b,@function
_ZN9rocsparseL5csrsmILj256ELj64ELb0Eli21rocsparse_complex_numIdEEEv20rocsparse_operation_T3_S4_NS_24const_host_device_scalarIT4_EEPKT2_PKS4_PKS6_PS6_lPiSC_PS4_21rocsparse_index_base_20rocsparse_fill_mode_20rocsparse_diag_type_b: ; @_ZN9rocsparseL5csrsmILj256ELj64ELb0Eli21rocsparse_complex_numIdEEEv20rocsparse_operation_T3_S4_NS_24const_host_device_scalarIT4_EEPKT2_PKS4_PKS6_PS6_lPiSC_PS4_21rocsparse_index_base_20rocsparse_fill_mode_20rocsparse_diag_type_b
; %bb.0:
	s_clause 0x1
	s_load_b128 s[4:7], s[0:1], 0x60
	s_load_b128 s[8:11], s[0:1], 0x10
	v_mbcnt_lo_u32_b32 v1, -1, 0
	s_clause 0x1
	s_load_b64 s[2:3], s[0:1], 0x20
	s_load_b64 s[12:13], s[0:1], 0x50
	s_delay_alu instid0(VALU_DEP_1) | instskip(NEXT) | instid1(VALU_DEP_1)
	v_dual_mov_b32 v2, 0 :: v_dual_lshlrev_b32 v3, 20, v1
	v_add_nc_u64_e32 v[2:3], src_flat_scratch_base_lo, v[2:3]
	s_wait_kmcnt 0x0
	s_bitcmp1_b32 s7, 0
	v_mov_b64_e32 v[4:5], s[8:9]
	s_cselect_b32 vcc_lo, -1, 0
	v_mov_b64_e32 v[8:9], s[10:11]
	s_delay_alu instid0(VALU_DEP_3)
	v_cndmask_b32_e32 v3, s9, v3, vcc_lo
	v_cndmask_b32_e32 v2, s8, v2, vcc_lo
	s_and_b32 vcc_lo, exec_lo, vcc_lo
	scratch_store_b64 off, v[4:5], off
	flat_load_b64 v[6:7], v[2:3]
	s_cbranch_vccnz .LBB79_2
; %bb.1:
	v_mov_b32_e32 v1, 0
	flat_load_b64 v[8:9], v1, s[8:9] offset:8
.LBB79_2:
	s_load_b96 s[16:18], s[0:1], 0x0
	s_bfe_u32 s9, ttmp6, 0x4000c
	s_and_b32 s8, ttmp6, 15
	s_add_co_i32 s9, s9, 1
	s_getreg_b32 s11, hwreg(HW_REG_IB_STS2, 6, 4)
	s_mul_i32 s9, ttmp9, s9
	s_delay_alu instid0(SALU_CYCLE_1) | instskip(SKIP_3) | instid1(SALU_CYCLE_2)
	s_add_co_i32 s8, s8, s9
	s_wait_kmcnt 0x0
	s_cvt_f32_u32 s7, s17
	s_sub_co_i32 s10, 0, s17
	v_rcp_iflag_f32_e32 v1, s7
	v_nop
	s_delay_alu instid0(TRANS32_DEP_1) | instskip(SKIP_1) | instid1(SALU_CYCLE_3)
	v_readfirstlane_b32 s7, v1
	s_mul_f32 s7, s7, 0x4f7ffffe
	s_cvt_u32_f32 s7, s7
	s_delay_alu instid0(SALU_CYCLE_3) | instskip(NEXT) | instid1(SALU_CYCLE_1)
	s_mul_i32 s10, s10, s7
	s_mul_hi_u32 s10, s7, s10
	s_delay_alu instid0(SALU_CYCLE_1) | instskip(SKIP_2) | instid1(SALU_CYCLE_1)
	s_add_co_i32 s7, s7, s10
	s_cmp_eq_u32 s11, 0
	s_cselect_b32 s8, ttmp9, s8
	s_mul_hi_u32 s7, s8, s7
	s_delay_alu instid0(SALU_CYCLE_1) | instskip(SKIP_2) | instid1(SALU_CYCLE_1)
	s_mul_i32 s9, s7, s17
	s_add_co_i32 s10, s7, 1
	s_sub_co_i32 s9, s8, s9
	s_sub_co_i32 s11, s9, s17
	s_cmp_ge_u32 s9, s17
	s_cselect_b32 s7, s10, s7
	s_cselect_b32 s9, s11, s9
	s_add_co_i32 s10, s7, 1
	s_cmp_ge_u32 s9, s17
	s_cselect_b32 s19, s10, s7
	s_delay_alu instid0(SALU_CYCLE_1) | instskip(SKIP_2) | instid1(SALU_CYCLE_1)
	s_mul_i32 s7, s19, s17
	v_lshl_or_b32 v10, s19, 8, v0
	s_sub_co_i32 s8, s8, s7
	s_ashr_i32 s9, s8, 31
	s_delay_alu instid0(VALU_DEP_1) | instskip(SKIP_1) | instid1(SALU_CYCLE_1)
	v_ashrrev_i32_e32 v11, 31, v10
	s_lshl_b64 s[8:9], s[8:9], 2
	s_add_nc_u64 s[12:13], s[12:13], s[8:9]
	s_load_b32 s20, s[12:13], 0x0
	s_load_b128 s[8:11], s[0:1], 0x38
	s_wait_kmcnt 0x0
	s_ashr_i32 s21, s20, 31
	s_delay_alu instid0(SALU_CYCLE_1)
	s_lshl_b64 s[12:13], s[20:21], 3
	s_mul_u64 s[22:23], s[10:11], s[20:21]
	s_add_nc_u64 s[2:3], s[2:3], s[12:13]
	v_add_nc_u64_e32 v[12:13], s[22:23], v[10:11]
	s_load_b128 s[12:15], s[2:3], 0x0
	s_wait_xcnt 0x0
	v_cmp_gt_i32_e64 s2, s18, v10
	s_cmp_lg_u32 s16, 0x71
	s_cbranch_scc0 .LBB79_6
; %bb.3:
	v_mov_b64_e32 v[4:5], 0
	v_mov_b64_e32 v[2:3], 0
	s_and_saveexec_b32 s3, s2
	s_cbranch_execz .LBB79_5
; %bb.4:
	v_lshl_add_u64 v[2:3], v[12:13], 4, s[8:9]
	global_load_b128 v[14:17], v[2:3], off
	s_wait_loadcnt_dscnt 0x0
	v_mul_f64_e64 v[2:3], v[16:17], -v[8:9]
	v_mul_f64_e32 v[4:5], v[6:7], v[16:17]
	s_delay_alu instid0(VALU_DEP_2) | instskip(NEXT) | instid1(VALU_DEP_2)
	v_fmac_f64_e32 v[2:3], v[6:7], v[14:15]
	v_fmac_f64_e32 v[4:5], v[8:9], v[14:15]
.LBB79_5:
	s_or_b32 exec_lo, exec_lo, s3
	s_load_b64 s[16:17], s[0:1], 0x48
	s_cbranch_execz .LBB79_7
	s_branch .LBB79_10
.LBB79_6:
                                        ; implicit-def: $vgpr4_vgpr5
	s_load_b64 s[16:17], s[0:1], 0x48
.LBB79_7:
	v_mov_b64_e32 v[4:5], 0
	v_mov_b64_e32 v[2:3], 0
	s_and_saveexec_b32 s3, s2
	s_cbranch_execz .LBB79_9
; %bb.8:
	v_lshl_add_u64 v[2:3], v[12:13], 4, s[8:9]
	global_load_b128 v[12:15], v[2:3], off
	s_wait_loadcnt_dscnt 0x0
	v_mul_f64_e32 v[2:3], v[8:9], v[14:15]
	v_mul_f64_e64 v[4:5], v[6:7], -v[14:15]
	s_delay_alu instid0(VALU_DEP_2) | instskip(NEXT) | instid1(VALU_DEP_2)
	v_fmac_f64_e32 v[2:3], v[6:7], v[12:13]
	v_fmac_f64_e32 v[4:5], v[8:9], v[12:13]
.LBB79_9:
	s_or_b32 exec_lo, exec_lo, s3
.LBB79_10:
	s_wait_kmcnt 0x0
	v_cmp_ge_i64_e64 s3, s[12:13], s[14:15]
	v_lshl_add_u64 v[10:11], v[10:11], 4, s[8:9]
	s_and_b32 vcc_lo, exec_lo, s3
	v_cmp_eq_u32_e64 s3, 0, v0
	s_cbranch_vccnz .LBB79_51
; %bb.11:
	s_clause 0x1
	s_load_b128 s[24:27], s[0:1], 0x28
	s_load_b64 s[8:9], s[0:1], 0x58
	s_wait_loadcnt_dscnt 0x0
	v_dual_mov_b32 v1, 0 :: v_dual_lshlrev_b32 v6, 2, v0
	v_lshlrev_b32_e32 v12, 4, v0
	v_mov_b64_e32 v[18:19], 1.0
	v_mov_b64_e32 v[20:21], 0
	s_delay_alu instid0(VALU_DEP_4)
	v_dual_mov_b32 v7, v1 :: v_dual_mov_b32 v13, v1
	s_wait_xcnt 0x0
	s_mov_b32 s1, 0
	s_mov_b32 s0, s4
	v_or_b32_e32 v30, 0x1000, v6
	s_cmp_eq_u32 s6, 0
	s_sub_nc_u64 s[12:13], s[12:13], s[0:1]
	s_cselect_b32 s21, -1, 0
	s_sub_nc_u64 s[14:15], s[14:15], s[0:1]
	s_mov_b64 s[18:19], s[12:13]
	s_wait_kmcnt 0x0
	v_add_nc_u64_e32 v[14:15], s[24:25], v[6:7]
	v_add_nc_u64_e32 v[16:17], s[26:27], v[12:13]
	s_add_co_i32 s26, s20, s4
	s_sub_co_i32 s0, s18, s12
	s_delay_alu instid0(SALU_CYCLE_1) | instskip(NEXT) | instid1(SALU_CYCLE_1)
	s_and_b32 s1, s0, 0xff
	s_cmp_lg_u32 s1, 0
	s_cbranch_scc1 .LBB79_15
.LBB79_12:
	v_mov_b64_e32 v[6:7], -1.0
	v_mov_b64_e32 v[8:9], 0
	v_mov_b32_e32 v13, -1
	s_sub_nc_u64 s[24:25], s[14:15], s[18:19]
	s_mov_b32 s0, exec_lo
	v_cmpx_gt_i64_e64 s[24:25], v[0:1]
	s_cbranch_execz .LBB79_14
; %bb.13:
	v_lshl_add_u64 v[6:7], s[18:19], 2, v[14:15]
	global_load_b32 v13, v[6:7], off
	s_wait_xcnt 0x0
	v_lshl_add_u64 v[6:7], s[18:19], 4, v[16:17]
	global_load_b128 v[6:9], v[6:7], off
	s_wait_loadcnt 0x1
	v_subrev_nc_u32_e32 v13, s4, v13
.LBB79_14:
	s_wait_xcnt 0x0
	s_or_b32 exec_lo, exec_lo, s0
	ds_store_b32 v30, v13
	s_wait_loadcnt 0x0
	ds_store_b128 v12, v[6:9]
.LBB79_15:                              ; =>This Loop Header: Depth=1
                                        ;     Child Loop BB79_41 Depth 2
	s_lshl_b32 s0, s1, 4
	s_wait_storecnt_dscnt 0x0
	v_mov_b32_e32 v6, s0
	s_barrier_signal -1
	s_barrier_wait -1
	s_lshl_b32 s1, s1, 2
	ds_load_b128 v[22:25], v6
	v_mov_b32_e32 v6, s1
	ds_load_b32 v6, v6 offset:4096
	s_wait_dscnt 0x1
	v_cmp_eq_f64_e32 vcc_lo, 0, v[22:23]
	v_cmp_eq_f64_e64 s0, 0, v[24:25]
	s_wait_dscnt 0x0
	v_readfirstlane_b32 s24, v6
	s_and_b32 s0, vcc_lo, s0
	s_cmp_eq_u32 s24, s20
	s_cselect_b32 s25, -1, 0
	s_cmp_lg_u32 s24, s20
	s_cselect_b32 s1, -1, 0
	s_and_b32 s0, s0, s25
	s_delay_alu instid0(SALU_CYCLE_1) | instskip(NEXT) | instid1(SALU_CYCLE_1)
	s_and_b32 s0, s21, s0
	v_cndmask_b32_e64 v7, v25, 0, s0
	v_cndmask_b32_e64 v6, v24, 0, s0
	;; [unrolled: 1-line block ×4, first 2 shown]
	s_and_b32 s13, s3, s0
	s_delay_alu instid0(SALU_CYCLE_1)
	s_and_saveexec_b32 s0, s13
	s_cbranch_execz .LBB79_19
; %bb.16:                               ;   in Loop: Header=BB79_15 Depth=1
	v_mbcnt_lo_u32_b32 v6, exec_lo, 0
	s_mov_b32 s13, exec_lo
	s_delay_alu instid0(VALU_DEP_1)
	v_cmpx_eq_u32_e32 0, v6
	s_cbranch_execz .LBB79_18
; %bb.17:                               ;   in Loop: Header=BB79_15 Depth=1
	v_mov_b32_e32 v6, s26
	global_atomic_min_i32 v1, v6, s[8:9] scope:SCOPE_DEV
.LBB79_18:                              ;   in Loop: Header=BB79_15 Depth=1
	s_wait_xcnt 0x0
	s_or_b32 exec_lo, exec_lo, s13
	v_mov_b64_e32 v[8:9], 1.0
	v_mov_b64_e32 v[6:7], 0
.LBB79_19:                              ;   in Loop: Header=BB79_15 Depth=1
	s_or_b32 exec_lo, exec_lo, s0
	s_mov_b32 s27, -1
	s_mov_b32 s0, 0
	s_cmp_lt_i32 s5, 1
	s_mov_b32 s13, 0
                                        ; implicit-def: $vgpr22_vgpr23
                                        ; implicit-def: $vgpr24_vgpr25
	s_cbranch_scc0 .LBB79_26
; %bb.20:                               ;   in Loop: Header=BB79_15 Depth=1
	s_and_b32 vcc_lo, exec_lo, s27
	s_mov_b32 s25, 4
	s_cbranch_vccnz .LBB79_33
.LBB79_21:                              ;   in Loop: Header=BB79_15 Depth=1
	v_mov_b64_e32 v[28:29], v[4:5]
	v_mov_b64_e32 v[26:27], v[2:3]
	s_and_b32 vcc_lo, exec_lo, s13
	s_cbranch_vccnz .LBB79_38
.LBB79_22:                              ;   in Loop: Header=BB79_15 Depth=1
	s_and_b32 vcc_lo, exec_lo, s0
	s_cbranch_vccnz .LBB79_45
.LBB79_23:                              ;   in Loop: Header=BB79_15 Depth=1
	s_mov_b32 s0, -1
	s_cmp_gt_i32 s25, 3
	s_mov_b32 s1, -1
	s_cbranch_scc0 .LBB79_48
.LBB79_24:                              ;   in Loop: Header=BB79_15 Depth=1
	s_and_not1_b32 vcc_lo, exec_lo, s1
	s_cbranch_vccz .LBB79_49
.LBB79_25:                              ;   in Loop: Header=BB79_15 Depth=1
	s_delay_alu instid0(VALU_DEP_1) | instskip(NEXT) | instid1(VALU_DEP_2)
	v_mov_b64_e32 v[4:5], v[28:29]
	v_mov_b64_e32 v[2:3], v[26:27]
	s_and_not1_b32 vcc_lo, exec_lo, s0
	s_cbranch_vccnz .LBB79_50
	s_branch .LBB79_52
.LBB79_26:                              ;   in Loop: Header=BB79_15 Depth=1
	s_cmp_eq_u32 s5, 1
	s_mov_b32 s13, -1
                                        ; implicit-def: $vgpr22_vgpr23
                                        ; implicit-def: $vgpr24_vgpr25
	s_cbranch_scc0 .LBB79_32
; %bb.27:                               ;   in Loop: Header=BB79_15 Depth=1
	v_mov_b64_e32 v[22:23], v[20:21]
	v_mov_b64_e32 v[24:25], v[18:19]
	s_cmp_ge_i32 s24, s20
	s_mov_b32 s13, 0
	s_cbranch_scc0 .LBB79_32
; %bb.28:                               ;   in Loop: Header=BB79_15 Depth=1
	s_and_b32 vcc_lo, exec_lo, s25
	s_mov_b32 s13, -1
                                        ; implicit-def: $vgpr22_vgpr23
                                        ; implicit-def: $vgpr24_vgpr25
	s_cbranch_vccz .LBB79_32
; %bb.29:                               ;   in Loop: Header=BB79_15 Depth=1
	v_mov_b64_e32 v[22:23], v[20:21]
	v_mov_b64_e32 v[24:25], v[18:19]
	s_and_not1_b32 vcc_lo, exec_lo, s21
	s_cbranch_vccnz .LBB79_31
; %bb.30:                               ;   in Loop: Header=BB79_15 Depth=1
	v_mul_f64_e32 v[22:23], v[6:7], v[6:7]
	s_delay_alu instid0(VALU_DEP_1) | instskip(NEXT) | instid1(VALU_DEP_1)
	v_fmac_f64_e32 v[22:23], v[8:9], v[8:9]
	v_div_scale_f64 v[24:25], null, v[22:23], v[22:23], 1.0
	v_div_scale_f64 v[32:33], vcc_lo, 1.0, v[22:23], 1.0
	s_delay_alu instid0(VALU_DEP_2) | instskip(SKIP_1) | instid1(TRANS32_DEP_1)
	v_rcp_f64_e32 v[26:27], v[24:25]
	v_nop
	v_fma_f64 v[28:29], -v[24:25], v[26:27], 1.0
	s_delay_alu instid0(VALU_DEP_1) | instskip(NEXT) | instid1(VALU_DEP_1)
	v_fmac_f64_e32 v[26:27], v[26:27], v[28:29]
	v_fma_f64 v[28:29], -v[24:25], v[26:27], 1.0
	s_delay_alu instid0(VALU_DEP_1) | instskip(NEXT) | instid1(VALU_DEP_1)
	v_fmac_f64_e32 v[26:27], v[26:27], v[28:29]
	v_mul_f64_e32 v[28:29], v[32:33], v[26:27]
	s_delay_alu instid0(VALU_DEP_1) | instskip(NEXT) | instid1(VALU_DEP_1)
	v_fma_f64 v[24:25], -v[24:25], v[28:29], v[32:33]
	v_div_fmas_f64 v[24:25], v[24:25], v[26:27], v[28:29]
	v_fma_f64 v[26:27], 0, v[6:7], v[8:9]
	v_fma_f64 v[28:29], v[8:9], 0, -v[6:7]
	s_delay_alu instid0(VALU_DEP_3) | instskip(NEXT) | instid1(VALU_DEP_1)
	v_div_fixup_f64 v[22:23], v[24:25], v[22:23], 1.0
	v_mul_f64_e32 v[24:25], v[26:27], v[22:23]
	s_delay_alu instid0(VALU_DEP_3)
	v_mul_f64_e32 v[22:23], v[28:29], v[22:23]
.LBB79_31:                              ;   in Loop: Header=BB79_15 Depth=1
	s_mov_b32 s13, 0
.LBB79_32:                              ;   in Loop: Header=BB79_15 Depth=1
	s_mov_b32 s25, 4
	s_branch .LBB79_21
.LBB79_33:                              ;   in Loop: Header=BB79_15 Depth=1
	s_cmp_eq_u32 s5, 0
	s_cbranch_scc1 .LBB79_35
; %bb.34:                               ;   in Loop: Header=BB79_15 Depth=1
	s_mov_b32 s13, -1
	s_branch .LBB79_37
.LBB79_35:                              ;   in Loop: Header=BB79_15 Depth=1
	s_cmp_le_i32 s24, s20
	s_mov_b32 s13, 0
	s_cbranch_scc0 .LBB79_37
; %bb.36:                               ;   in Loop: Header=BB79_15 Depth=1
	s_mov_b32 s0, -1
	s_mov_b32 s13, s1
.LBB79_37:                              ;   in Loop: Header=BB79_15 Depth=1
	v_mov_b64_e32 v[22:23], v[20:21]
	v_mov_b64_e32 v[24:25], v[18:19]
	s_mov_b32 s25, 2
	v_mov_b64_e32 v[28:29], v[4:5]
	v_mov_b64_e32 v[26:27], v[2:3]
	s_and_b32 vcc_lo, exec_lo, s13
	s_cbranch_vccz .LBB79_22
.LBB79_38:                              ;   in Loop: Header=BB79_15 Depth=1
	s_and_saveexec_b32 s13, s3
	s_cbranch_execz .LBB79_42
; %bb.39:                               ;   in Loop: Header=BB79_15 Depth=1
	s_add_co_i32 s0, s24, s7
	s_delay_alu instid0(SALU_CYCLE_1)
	v_mov_b32_e32 v13, s0
	global_load_b32 v13, v13, s[16:17] scale_offset scope:SCOPE_DEV
	s_wait_loadcnt 0x0
	v_cmp_ne_u32_e32 vcc_lo, 0, v13
	s_cbranch_vccnz .LBB79_42
; %bb.40:                               ;   in Loop: Header=BB79_15 Depth=1
	s_ashr_i32 s1, s0, 31
	s_delay_alu instid0(SALU_CYCLE_1) | instskip(NEXT) | instid1(SALU_CYCLE_1)
	s_lshl_b64 s[0:1], s[0:1], 2
	s_add_nc_u64 s[0:1], s[16:17], s[0:1]
.LBB79_41:                              ;   Parent Loop BB79_15 Depth=1
                                        ; =>  This Inner Loop Header: Depth=2
	global_load_b32 v13, v1, s[0:1] scope:SCOPE_DEV
	s_wait_loadcnt 0x0
	v_cmp_eq_u32_e32 vcc_lo, 0, v13
	s_cbranch_vccnz .LBB79_41
.LBB79_42:                              ;   in Loop: Header=BB79_15 Depth=1
	s_wait_xcnt 0x0
	s_or_b32 exec_lo, exec_lo, s13
	v_mov_b64_e32 v[28:29], 0
	v_mov_b64_e32 v[26:27], 0
	s_wait_storecnt 0x0
	s_barrier_signal -1
	s_barrier_wait -1
	global_inv scope:SCOPE_DEV
	s_and_saveexec_b32 s0, s2
	s_cbranch_execz .LBB79_44
; %bb.43:                               ;   in Loop: Header=BB79_15 Depth=1
	s_ashr_i32 s25, s24, 31
	s_delay_alu instid0(SALU_CYCLE_1) | instskip(NEXT) | instid1(SALU_CYCLE_1)
	s_mul_u64 s[24:25], s[10:11], s[24:25]
	v_lshl_add_u64 v[22:23], s[24:25], 4, v[10:11]
	global_load_b128 v[22:25], v[22:23], off
	s_wait_loadcnt 0x0
	v_fma_f64 v[26:27], -v[8:9], v[22:23], v[2:3]
	v_fma_f64 v[22:23], -v[6:7], v[22:23], v[4:5]
	s_delay_alu instid0(VALU_DEP_2) | instskip(NEXT) | instid1(VALU_DEP_2)
	v_fmac_f64_e32 v[26:27], v[6:7], v[24:25]
	v_fma_f64 v[28:29], -v[8:9], v[24:25], v[22:23]
.LBB79_44:                              ;   in Loop: Header=BB79_15 Depth=1
	s_or_b32 exec_lo, exec_lo, s0
	v_mov_b64_e32 v[22:23], v[20:21]
	v_mov_b64_e32 v[24:25], v[18:19]
	s_mov_b32 s25, 0
	s_branch .LBB79_23
.LBB79_45:                              ;   in Loop: Header=BB79_15 Depth=1
	s_and_not1_b32 vcc_lo, exec_lo, s21
	s_cbranch_vccnz .LBB79_47
; %bb.46:                               ;   in Loop: Header=BB79_15 Depth=1
	v_mul_f64_e32 v[18:19], v[6:7], v[6:7]
	s_delay_alu instid0(VALU_DEP_1) | instskip(NEXT) | instid1(VALU_DEP_1)
	v_fmac_f64_e32 v[18:19], v[8:9], v[8:9]
	v_div_scale_f64 v[20:21], null, v[18:19], v[18:19], 1.0
	v_div_scale_f64 v[26:27], vcc_lo, 1.0, v[18:19], 1.0
	s_delay_alu instid0(VALU_DEP_2) | instskip(SKIP_1) | instid1(TRANS32_DEP_1)
	v_rcp_f64_e32 v[22:23], v[20:21]
	v_nop
	v_fma_f64 v[24:25], -v[20:21], v[22:23], 1.0
	s_delay_alu instid0(VALU_DEP_1) | instskip(NEXT) | instid1(VALU_DEP_1)
	v_fmac_f64_e32 v[22:23], v[22:23], v[24:25]
	v_fma_f64 v[24:25], -v[20:21], v[22:23], 1.0
	s_delay_alu instid0(VALU_DEP_1) | instskip(NEXT) | instid1(VALU_DEP_1)
	v_fmac_f64_e32 v[22:23], v[22:23], v[24:25]
	v_mul_f64_e32 v[24:25], v[26:27], v[22:23]
	s_delay_alu instid0(VALU_DEP_1) | instskip(NEXT) | instid1(VALU_DEP_1)
	v_fma_f64 v[20:21], -v[20:21], v[24:25], v[26:27]
	v_div_fmas_f64 v[20:21], v[20:21], v[22:23], v[24:25]
	v_fma_f64 v[22:23], 0, v[6:7], v[8:9]
	v_fma_f64 v[6:7], v[8:9], 0, -v[6:7]
	s_delay_alu instid0(VALU_DEP_3) | instskip(NEXT) | instid1(VALU_DEP_1)
	v_div_fixup_f64 v[20:21], v[20:21], v[18:19], 1.0
	v_mul_f64_e32 v[18:19], v[22:23], v[20:21]
	s_delay_alu instid0(VALU_DEP_3)
	v_mul_f64_e32 v[20:21], v[6:7], v[20:21]
.LBB79_47:                              ;   in Loop: Header=BB79_15 Depth=1
	s_delay_alu instid0(VALU_DEP_2) | instskip(NEXT) | instid1(VALU_DEP_2)
	v_mov_b64_e32 v[24:25], v[18:19]
	v_mov_b64_e32 v[22:23], v[20:21]
	;; [unrolled: 1-line block ×4, first 2 shown]
	s_mov_b32 s25, 2
	s_mov_b32 s0, -1
	s_cmp_gt_i32 s25, 3
	s_mov_b32 s1, -1
	s_cbranch_scc1 .LBB79_24
.LBB79_48:                              ;   in Loop: Header=BB79_15 Depth=1
	s_cmp_eq_u32 s25, 0
	s_cselect_b32 s1, -1, 0
	s_delay_alu instid0(SALU_CYCLE_1)
	s_and_not1_b32 vcc_lo, exec_lo, s1
	s_cbranch_vccnz .LBB79_25
.LBB79_49:                              ;   in Loop: Header=BB79_15 Depth=1
	s_add_nc_u64 s[18:19], s[18:19], 1
	s_delay_alu instid0(SALU_CYCLE_1) | instskip(NEXT) | instid1(VALU_DEP_2)
	v_cmp_ge_i64_e64 s0, s[18:19], s[14:15]
	v_mov_b64_e32 v[4:5], v[28:29]
	s_delay_alu instid0(VALU_DEP_3)
	v_mov_b64_e32 v[2:3], v[26:27]
	s_and_not1_b32 vcc_lo, exec_lo, s0
	s_cbranch_vccz .LBB79_52
.LBB79_50:                              ;   in Loop: Header=BB79_15 Depth=1
	s_delay_alu instid0(VALU_DEP_4) | instskip(NEXT) | instid1(VALU_DEP_4)
	v_mov_b64_e32 v[20:21], v[22:23]
	v_mov_b64_e32 v[18:19], v[24:25]
	s_sub_co_i32 s0, s18, s12
	s_delay_alu instid0(SALU_CYCLE_1) | instskip(NEXT) | instid1(SALU_CYCLE_1)
	s_and_b32 s1, s0, 0xff
	s_cmp_lg_u32 s1, 0
	s_cbranch_scc1 .LBB79_15
	s_branch .LBB79_12
.LBB79_51:
	v_mov_b64_e32 v[24:25], 1.0
	v_mov_b64_e32 v[22:23], 0
.LBB79_52:
	s_cmp_lg_u32 s6, 0
	s_cbranch_scc0 .LBB79_58
; %bb.53:
	s_and_saveexec_b32 s0, s2
	s_cbranch_execz .LBB79_55
.LBB79_54:
	s_wait_loadcnt_dscnt 0x0
	v_lshl_add_u64 v[6:7], s[22:23], 4, v[10:11]
	global_store_b128 v[6:7], v[2:5], off
.LBB79_55:
	s_wait_xcnt 0x0
	s_or_b32 exec_lo, exec_lo, s0
	global_wb scope:SCOPE_DEV
	s_wait_storecnt 0x0
	s_wait_loadcnt_dscnt 0x0
	global_inv scope:SCOPE_DEV
	s_wait_loadcnt 0x0
	s_barrier_signal -1
	s_barrier_wait -1
	s_mov_b32 s0, exec_lo
	v_cmpx_eq_u32_e32 0, v0
	s_cbranch_execz .LBB79_57
; %bb.56:
	s_add_co_i32 s0, s20, s7
	s_delay_alu instid0(SALU_CYCLE_1)
	v_dual_mov_b32 v0, 1 :: v_dual_mov_b32 v1, s0
	global_store_b32 v1, v0, s[16:17] scale_offset scope:SCOPE_DEV
.LBB79_57:
	s_endpgm
.LBB79_58:
	s_wait_loadcnt_dscnt 0x0
	s_delay_alu instid0(VALU_DEP_1) | instskip(SKIP_1) | instid1(VALU_DEP_2)
	v_mul_f64_e64 v[6:7], v[22:23], -v[4:5]
	v_mul_f64_e32 v[8:9], v[22:23], v[2:3]
	v_fmac_f64_e32 v[6:7], v[2:3], v[24:25]
	s_delay_alu instid0(VALU_DEP_2) | instskip(NEXT) | instid1(VALU_DEP_2)
	v_fmac_f64_e32 v[8:9], v[4:5], v[24:25]
	v_mov_b64_e32 v[2:3], v[6:7]
	s_delay_alu instid0(VALU_DEP_2)
	v_mov_b64_e32 v[4:5], v[8:9]
	s_and_saveexec_b32 s0, s2
	s_cbranch_execnz .LBB79_54
	s_branch .LBB79_55
	.section	.rodata,"a",@progbits
	.p2align	6, 0x0
	.amdhsa_kernel _ZN9rocsparseL5csrsmILj256ELj64ELb0Eli21rocsparse_complex_numIdEEEv20rocsparse_operation_T3_S4_NS_24const_host_device_scalarIT4_EEPKT2_PKS4_PKS6_PS6_lPiSC_PS4_21rocsparse_index_base_20rocsparse_fill_mode_20rocsparse_diag_type_b
		.amdhsa_group_segment_fixed_size 5120
		.amdhsa_private_segment_fixed_size 16
		.amdhsa_kernarg_size 112
		.amdhsa_user_sgpr_count 2
		.amdhsa_user_sgpr_dispatch_ptr 0
		.amdhsa_user_sgpr_queue_ptr 0
		.amdhsa_user_sgpr_kernarg_segment_ptr 1
		.amdhsa_user_sgpr_dispatch_id 0
		.amdhsa_user_sgpr_kernarg_preload_length 0
		.amdhsa_user_sgpr_kernarg_preload_offset 0
		.amdhsa_user_sgpr_private_segment_size 0
		.amdhsa_wavefront_size32 1
		.amdhsa_uses_dynamic_stack 0
		.amdhsa_enable_private_segment 1
		.amdhsa_system_sgpr_workgroup_id_x 1
		.amdhsa_system_sgpr_workgroup_id_y 0
		.amdhsa_system_sgpr_workgroup_id_z 0
		.amdhsa_system_sgpr_workgroup_info 0
		.amdhsa_system_vgpr_workitem_id 0
		.amdhsa_next_free_vgpr 34
		.amdhsa_next_free_sgpr 28
		.amdhsa_named_barrier_count 0
		.amdhsa_reserve_vcc 1
		.amdhsa_float_round_mode_32 0
		.amdhsa_float_round_mode_16_64 0
		.amdhsa_float_denorm_mode_32 3
		.amdhsa_float_denorm_mode_16_64 3
		.amdhsa_fp16_overflow 0
		.amdhsa_memory_ordered 1
		.amdhsa_forward_progress 1
		.amdhsa_inst_pref_size 17
		.amdhsa_round_robin_scheduling 0
		.amdhsa_exception_fp_ieee_invalid_op 0
		.amdhsa_exception_fp_denorm_src 0
		.amdhsa_exception_fp_ieee_div_zero 0
		.amdhsa_exception_fp_ieee_overflow 0
		.amdhsa_exception_fp_ieee_underflow 0
		.amdhsa_exception_fp_ieee_inexact 0
		.amdhsa_exception_int_div_zero 0
	.end_amdhsa_kernel
	.section	.text._ZN9rocsparseL5csrsmILj256ELj64ELb0Eli21rocsparse_complex_numIdEEEv20rocsparse_operation_T3_S4_NS_24const_host_device_scalarIT4_EEPKT2_PKS4_PKS6_PS6_lPiSC_PS4_21rocsparse_index_base_20rocsparse_fill_mode_20rocsparse_diag_type_b,"axG",@progbits,_ZN9rocsparseL5csrsmILj256ELj64ELb0Eli21rocsparse_complex_numIdEEEv20rocsparse_operation_T3_S4_NS_24const_host_device_scalarIT4_EEPKT2_PKS4_PKS6_PS6_lPiSC_PS4_21rocsparse_index_base_20rocsparse_fill_mode_20rocsparse_diag_type_b,comdat
.Lfunc_end79:
	.size	_ZN9rocsparseL5csrsmILj256ELj64ELb0Eli21rocsparse_complex_numIdEEEv20rocsparse_operation_T3_S4_NS_24const_host_device_scalarIT4_EEPKT2_PKS4_PKS6_PS6_lPiSC_PS4_21rocsparse_index_base_20rocsparse_fill_mode_20rocsparse_diag_type_b, .Lfunc_end79-_ZN9rocsparseL5csrsmILj256ELj64ELb0Eli21rocsparse_complex_numIdEEEv20rocsparse_operation_T3_S4_NS_24const_host_device_scalarIT4_EEPKT2_PKS4_PKS6_PS6_lPiSC_PS4_21rocsparse_index_base_20rocsparse_fill_mode_20rocsparse_diag_type_b
                                        ; -- End function
	.set _ZN9rocsparseL5csrsmILj256ELj64ELb0Eli21rocsparse_complex_numIdEEEv20rocsparse_operation_T3_S4_NS_24const_host_device_scalarIT4_EEPKT2_PKS4_PKS6_PS6_lPiSC_PS4_21rocsparse_index_base_20rocsparse_fill_mode_20rocsparse_diag_type_b.num_vgpr, 34
	.set _ZN9rocsparseL5csrsmILj256ELj64ELb0Eli21rocsparse_complex_numIdEEEv20rocsparse_operation_T3_S4_NS_24const_host_device_scalarIT4_EEPKT2_PKS4_PKS6_PS6_lPiSC_PS4_21rocsparse_index_base_20rocsparse_fill_mode_20rocsparse_diag_type_b.num_agpr, 0
	.set _ZN9rocsparseL5csrsmILj256ELj64ELb0Eli21rocsparse_complex_numIdEEEv20rocsparse_operation_T3_S4_NS_24const_host_device_scalarIT4_EEPKT2_PKS4_PKS6_PS6_lPiSC_PS4_21rocsparse_index_base_20rocsparse_fill_mode_20rocsparse_diag_type_b.numbered_sgpr, 28
	.set _ZN9rocsparseL5csrsmILj256ELj64ELb0Eli21rocsparse_complex_numIdEEEv20rocsparse_operation_T3_S4_NS_24const_host_device_scalarIT4_EEPKT2_PKS4_PKS6_PS6_lPiSC_PS4_21rocsparse_index_base_20rocsparse_fill_mode_20rocsparse_diag_type_b.num_named_barrier, 0
	.set _ZN9rocsparseL5csrsmILj256ELj64ELb0Eli21rocsparse_complex_numIdEEEv20rocsparse_operation_T3_S4_NS_24const_host_device_scalarIT4_EEPKT2_PKS4_PKS6_PS6_lPiSC_PS4_21rocsparse_index_base_20rocsparse_fill_mode_20rocsparse_diag_type_b.private_seg_size, 16
	.set _ZN9rocsparseL5csrsmILj256ELj64ELb0Eli21rocsparse_complex_numIdEEEv20rocsparse_operation_T3_S4_NS_24const_host_device_scalarIT4_EEPKT2_PKS4_PKS6_PS6_lPiSC_PS4_21rocsparse_index_base_20rocsparse_fill_mode_20rocsparse_diag_type_b.uses_vcc, 1
	.set _ZN9rocsparseL5csrsmILj256ELj64ELb0Eli21rocsparse_complex_numIdEEEv20rocsparse_operation_T3_S4_NS_24const_host_device_scalarIT4_EEPKT2_PKS4_PKS6_PS6_lPiSC_PS4_21rocsparse_index_base_20rocsparse_fill_mode_20rocsparse_diag_type_b.uses_flat_scratch, 0
	.set _ZN9rocsparseL5csrsmILj256ELj64ELb0Eli21rocsparse_complex_numIdEEEv20rocsparse_operation_T3_S4_NS_24const_host_device_scalarIT4_EEPKT2_PKS4_PKS6_PS6_lPiSC_PS4_21rocsparse_index_base_20rocsparse_fill_mode_20rocsparse_diag_type_b.has_dyn_sized_stack, 0
	.set _ZN9rocsparseL5csrsmILj256ELj64ELb0Eli21rocsparse_complex_numIdEEEv20rocsparse_operation_T3_S4_NS_24const_host_device_scalarIT4_EEPKT2_PKS4_PKS6_PS6_lPiSC_PS4_21rocsparse_index_base_20rocsparse_fill_mode_20rocsparse_diag_type_b.has_recursion, 0
	.set _ZN9rocsparseL5csrsmILj256ELj64ELb0Eli21rocsparse_complex_numIdEEEv20rocsparse_operation_T3_S4_NS_24const_host_device_scalarIT4_EEPKT2_PKS4_PKS6_PS6_lPiSC_PS4_21rocsparse_index_base_20rocsparse_fill_mode_20rocsparse_diag_type_b.has_indirect_call, 0
	.section	.AMDGPU.csdata,"",@progbits
; Kernel info:
; codeLenInByte = 2152
; TotalNumSgprs: 30
; NumVgprs: 34
; ScratchSize: 16
; MemoryBound: 1
; FloatMode: 240
; IeeeMode: 1
; LDSByteSize: 5120 bytes/workgroup (compile time only)
; SGPRBlocks: 0
; VGPRBlocks: 2
; NumSGPRsForWavesPerEU: 30
; NumVGPRsForWavesPerEU: 34
; NamedBarCnt: 0
; Occupancy: 16
; WaveLimiterHint : 1
; COMPUTE_PGM_RSRC2:SCRATCH_EN: 1
; COMPUTE_PGM_RSRC2:USER_SGPR: 2
; COMPUTE_PGM_RSRC2:TRAP_HANDLER: 0
; COMPUTE_PGM_RSRC2:TGID_X_EN: 1
; COMPUTE_PGM_RSRC2:TGID_Y_EN: 0
; COMPUTE_PGM_RSRC2:TGID_Z_EN: 0
; COMPUTE_PGM_RSRC2:TIDIG_COMP_CNT: 0
	.section	.text._ZN9rocsparseL5csrsmILj512ELj64ELb1Eli21rocsparse_complex_numIdEEEv20rocsparse_operation_T3_S4_NS_24const_host_device_scalarIT4_EEPKT2_PKS4_PKS6_PS6_lPiSC_PS4_21rocsparse_index_base_20rocsparse_fill_mode_20rocsparse_diag_type_b,"axG",@progbits,_ZN9rocsparseL5csrsmILj512ELj64ELb1Eli21rocsparse_complex_numIdEEEv20rocsparse_operation_T3_S4_NS_24const_host_device_scalarIT4_EEPKT2_PKS4_PKS6_PS6_lPiSC_PS4_21rocsparse_index_base_20rocsparse_fill_mode_20rocsparse_diag_type_b,comdat
	.globl	_ZN9rocsparseL5csrsmILj512ELj64ELb1Eli21rocsparse_complex_numIdEEEv20rocsparse_operation_T3_S4_NS_24const_host_device_scalarIT4_EEPKT2_PKS4_PKS6_PS6_lPiSC_PS4_21rocsparse_index_base_20rocsparse_fill_mode_20rocsparse_diag_type_b ; -- Begin function _ZN9rocsparseL5csrsmILj512ELj64ELb1Eli21rocsparse_complex_numIdEEEv20rocsparse_operation_T3_S4_NS_24const_host_device_scalarIT4_EEPKT2_PKS4_PKS6_PS6_lPiSC_PS4_21rocsparse_index_base_20rocsparse_fill_mode_20rocsparse_diag_type_b
	.p2align	8
	.type	_ZN9rocsparseL5csrsmILj512ELj64ELb1Eli21rocsparse_complex_numIdEEEv20rocsparse_operation_T3_S4_NS_24const_host_device_scalarIT4_EEPKT2_PKS4_PKS6_PS6_lPiSC_PS4_21rocsparse_index_base_20rocsparse_fill_mode_20rocsparse_diag_type_b,@function
_ZN9rocsparseL5csrsmILj512ELj64ELb1Eli21rocsparse_complex_numIdEEEv20rocsparse_operation_T3_S4_NS_24const_host_device_scalarIT4_EEPKT2_PKS4_PKS6_PS6_lPiSC_PS4_21rocsparse_index_base_20rocsparse_fill_mode_20rocsparse_diag_type_b: ; @_ZN9rocsparseL5csrsmILj512ELj64ELb1Eli21rocsparse_complex_numIdEEEv20rocsparse_operation_T3_S4_NS_24const_host_device_scalarIT4_EEPKT2_PKS4_PKS6_PS6_lPiSC_PS4_21rocsparse_index_base_20rocsparse_fill_mode_20rocsparse_diag_type_b
; %bb.0:
	s_clause 0x1
	s_load_b128 s[4:7], s[0:1], 0x60
	s_load_b128 s[8:11], s[0:1], 0x10
	v_mbcnt_lo_u32_b32 v1, -1, 0
	s_clause 0x1
	s_load_b64 s[2:3], s[0:1], 0x20
	s_load_b64 s[12:13], s[0:1], 0x50
	s_delay_alu instid0(VALU_DEP_1) | instskip(NEXT) | instid1(VALU_DEP_1)
	v_dual_mov_b32 v2, 0 :: v_dual_lshlrev_b32 v3, 20, v1
	v_add_nc_u64_e32 v[2:3], src_flat_scratch_base_lo, v[2:3]
	s_wait_kmcnt 0x0
	s_bitcmp1_b32 s7, 0
	v_mov_b64_e32 v[4:5], s[8:9]
	s_cselect_b32 vcc_lo, -1, 0
	v_mov_b64_e32 v[8:9], s[10:11]
	s_delay_alu instid0(VALU_DEP_3)
	v_cndmask_b32_e32 v3, s9, v3, vcc_lo
	v_cndmask_b32_e32 v2, s8, v2, vcc_lo
	s_and_b32 vcc_lo, exec_lo, vcc_lo
	scratch_store_b64 off, v[4:5], off
	flat_load_b64 v[6:7], v[2:3]
	s_cbranch_vccnz .LBB80_2
; %bb.1:
	v_mov_b32_e32 v1, 0
	flat_load_b64 v[8:9], v1, s[8:9] offset:8
.LBB80_2:
	s_load_b96 s[16:18], s[0:1], 0x0
	s_bfe_u32 s9, ttmp6, 0x4000c
	s_and_b32 s8, ttmp6, 15
	s_add_co_i32 s9, s9, 1
	s_getreg_b32 s11, hwreg(HW_REG_IB_STS2, 6, 4)
	s_mul_i32 s9, ttmp9, s9
	s_delay_alu instid0(SALU_CYCLE_1) | instskip(SKIP_3) | instid1(SALU_CYCLE_2)
	s_add_co_i32 s8, s8, s9
	s_wait_kmcnt 0x0
	s_cvt_f32_u32 s7, s17
	s_sub_co_i32 s10, 0, s17
	v_rcp_iflag_f32_e32 v1, s7
	v_nop
	s_delay_alu instid0(TRANS32_DEP_1) | instskip(SKIP_1) | instid1(SALU_CYCLE_3)
	v_readfirstlane_b32 s7, v1
	s_mul_f32 s7, s7, 0x4f7ffffe
	s_cvt_u32_f32 s7, s7
	s_delay_alu instid0(SALU_CYCLE_3) | instskip(NEXT) | instid1(SALU_CYCLE_1)
	s_mul_i32 s10, s10, s7
	s_mul_hi_u32 s10, s7, s10
	s_delay_alu instid0(SALU_CYCLE_1) | instskip(SKIP_2) | instid1(SALU_CYCLE_1)
	s_add_co_i32 s7, s7, s10
	s_cmp_eq_u32 s11, 0
	s_cselect_b32 s8, ttmp9, s8
	s_mul_hi_u32 s7, s8, s7
	s_delay_alu instid0(SALU_CYCLE_1) | instskip(SKIP_2) | instid1(SALU_CYCLE_1)
	s_mul_i32 s9, s7, s17
	s_add_co_i32 s10, s7, 1
	s_sub_co_i32 s9, s8, s9
	s_sub_co_i32 s11, s9, s17
	s_cmp_ge_u32 s9, s17
	s_cselect_b32 s7, s10, s7
	s_cselect_b32 s9, s11, s9
	s_add_co_i32 s10, s7, 1
	s_cmp_ge_u32 s9, s17
	s_cselect_b32 s19, s10, s7
	s_delay_alu instid0(SALU_CYCLE_1) | instskip(SKIP_2) | instid1(SALU_CYCLE_1)
	s_mul_i32 s7, s19, s17
	v_lshl_or_b32 v10, s19, 9, v0
	s_sub_co_i32 s8, s8, s7
	s_ashr_i32 s9, s8, 31
	s_delay_alu instid0(VALU_DEP_1) | instskip(SKIP_1) | instid1(SALU_CYCLE_1)
	v_ashrrev_i32_e32 v11, 31, v10
	s_lshl_b64 s[8:9], s[8:9], 2
	s_add_nc_u64 s[12:13], s[12:13], s[8:9]
	s_load_b32 s20, s[12:13], 0x0
	s_load_b128 s[8:11], s[0:1], 0x38
	s_wait_kmcnt 0x0
	s_ashr_i32 s21, s20, 31
	s_delay_alu instid0(SALU_CYCLE_1)
	s_lshl_b64 s[12:13], s[20:21], 3
	s_mul_u64 s[22:23], s[10:11], s[20:21]
	s_add_nc_u64 s[2:3], s[2:3], s[12:13]
	v_add_nc_u64_e32 v[12:13], s[22:23], v[10:11]
	s_load_b128 s[12:15], s[2:3], 0x0
	s_wait_xcnt 0x0
	v_cmp_gt_i32_e64 s2, s18, v10
	s_cmp_lg_u32 s16, 0x71
	s_cbranch_scc0 .LBB80_6
; %bb.3:
	v_mov_b64_e32 v[4:5], 0
	v_mov_b64_e32 v[2:3], 0
	s_and_saveexec_b32 s3, s2
	s_cbranch_execz .LBB80_5
; %bb.4:
	v_lshl_add_u64 v[2:3], v[12:13], 4, s[8:9]
	global_load_b128 v[14:17], v[2:3], off
	s_wait_loadcnt_dscnt 0x0
	v_mul_f64_e64 v[2:3], v[16:17], -v[8:9]
	v_mul_f64_e32 v[4:5], v[6:7], v[16:17]
	s_delay_alu instid0(VALU_DEP_2) | instskip(NEXT) | instid1(VALU_DEP_2)
	v_fmac_f64_e32 v[2:3], v[6:7], v[14:15]
	v_fmac_f64_e32 v[4:5], v[8:9], v[14:15]
.LBB80_5:
	s_or_b32 exec_lo, exec_lo, s3
	s_load_b64 s[16:17], s[0:1], 0x48
	s_cbranch_execz .LBB80_7
	s_branch .LBB80_10
.LBB80_6:
                                        ; implicit-def: $vgpr4_vgpr5
	s_load_b64 s[16:17], s[0:1], 0x48
.LBB80_7:
	v_mov_b64_e32 v[4:5], 0
	v_mov_b64_e32 v[2:3], 0
	s_and_saveexec_b32 s3, s2
	s_cbranch_execz .LBB80_9
; %bb.8:
	v_lshl_add_u64 v[2:3], v[12:13], 4, s[8:9]
	global_load_b128 v[12:15], v[2:3], off
	s_wait_loadcnt_dscnt 0x0
	v_mul_f64_e32 v[2:3], v[8:9], v[14:15]
	v_mul_f64_e64 v[4:5], v[6:7], -v[14:15]
	s_delay_alu instid0(VALU_DEP_2) | instskip(NEXT) | instid1(VALU_DEP_2)
	v_fmac_f64_e32 v[2:3], v[6:7], v[12:13]
	v_fmac_f64_e32 v[4:5], v[8:9], v[12:13]
.LBB80_9:
	s_or_b32 exec_lo, exec_lo, s3
.LBB80_10:
	s_wait_kmcnt 0x0
	v_cmp_ge_i64_e64 s3, s[12:13], s[14:15]
	v_lshl_add_u64 v[10:11], v[10:11], 4, s[8:9]
	s_and_b32 vcc_lo, exec_lo, s3
	v_cmp_eq_u32_e64 s3, 0, v0
	s_cbranch_vccnz .LBB80_53
; %bb.11:
	s_clause 0x1
	s_load_b128 s[24:27], s[0:1], 0x28
	s_load_b64 s[8:9], s[0:1], 0x58
	s_wait_loadcnt_dscnt 0x0
	v_dual_mov_b32 v1, 0 :: v_dual_lshlrev_b32 v6, 2, v0
	v_lshlrev_b32_e32 v12, 4, v0
	v_mov_b64_e32 v[18:19], 1.0
	v_mov_b64_e32 v[20:21], 0
	s_delay_alu instid0(VALU_DEP_4)
	v_dual_mov_b32 v7, v1 :: v_dual_mov_b32 v13, v1
	s_wait_xcnt 0x0
	s_mov_b32 s1, 0
	s_mov_b32 s0, s4
	v_or_b32_e32 v30, 0x2000, v6
	s_cmp_eq_u32 s6, 0
	s_sub_nc_u64 s[12:13], s[12:13], s[0:1]
	s_cselect_b32 s21, -1, 0
	s_sub_nc_u64 s[14:15], s[14:15], s[0:1]
	s_mov_b64 s[18:19], s[12:13]
	s_wait_kmcnt 0x0
	v_add_nc_u64_e32 v[14:15], s[24:25], v[6:7]
	v_add_nc_u64_e32 v[16:17], s[26:27], v[12:13]
	s_add_co_i32 s26, s20, s4
	s_sub_co_i32 s0, s18, s12
	s_delay_alu instid0(SALU_CYCLE_1) | instskip(NEXT) | instid1(SALU_CYCLE_1)
	s_and_b32 s1, s0, 0x1ff
	s_cmp_lg_u32 s1, 0
	s_cbranch_scc1 .LBB80_15
.LBB80_12:
	v_mov_b64_e32 v[6:7], -1.0
	v_mov_b64_e32 v[8:9], 0
	v_mov_b32_e32 v13, -1
	s_sub_nc_u64 s[24:25], s[14:15], s[18:19]
	s_mov_b32 s0, exec_lo
	v_cmpx_gt_i64_e64 s[24:25], v[0:1]
	s_cbranch_execz .LBB80_14
; %bb.13:
	v_lshl_add_u64 v[6:7], s[18:19], 2, v[14:15]
	global_load_b32 v13, v[6:7], off
	s_wait_xcnt 0x0
	v_lshl_add_u64 v[6:7], s[18:19], 4, v[16:17]
	global_load_b128 v[6:9], v[6:7], off
	s_wait_loadcnt 0x1
	v_subrev_nc_u32_e32 v13, s4, v13
.LBB80_14:
	s_wait_xcnt 0x0
	s_or_b32 exec_lo, exec_lo, s0
	ds_store_b32 v30, v13
	s_wait_loadcnt 0x0
	ds_store_b128 v12, v[6:9]
.LBB80_15:                              ; =>This Loop Header: Depth=1
                                        ;     Child Loop BB80_51 Depth 2
                                        ;       Child Loop BB80_52 Depth 3
	s_lshl_b32 s0, s1, 4
	s_wait_storecnt_dscnt 0x0
	v_mov_b32_e32 v6, s0
	s_barrier_signal -1
	s_barrier_wait -1
	s_lshl_b32 s1, s1, 2
	ds_load_b128 v[22:25], v6
	v_mov_b32_e32 v6, s1
	ds_load_b32 v6, v6 offset:8192
	s_wait_dscnt 0x1
	v_cmp_eq_f64_e32 vcc_lo, 0, v[22:23]
	v_cmp_eq_f64_e64 s0, 0, v[24:25]
	s_wait_dscnt 0x0
	v_readfirstlane_b32 s24, v6
	s_and_b32 s0, vcc_lo, s0
	s_cmp_eq_u32 s24, s20
	s_cselect_b32 s25, -1, 0
	s_cmp_lg_u32 s24, s20
	s_cselect_b32 s1, -1, 0
	s_and_b32 s0, s0, s25
	s_delay_alu instid0(SALU_CYCLE_1) | instskip(NEXT) | instid1(SALU_CYCLE_1)
	s_and_b32 s0, s21, s0
	v_cndmask_b32_e64 v7, v25, 0, s0
	v_cndmask_b32_e64 v6, v24, 0, s0
	;; [unrolled: 1-line block ×4, first 2 shown]
	s_and_b32 s13, s3, s0
	s_delay_alu instid0(SALU_CYCLE_1)
	s_and_saveexec_b32 s0, s13
	s_cbranch_execz .LBB80_19
; %bb.16:                               ;   in Loop: Header=BB80_15 Depth=1
	v_mbcnt_lo_u32_b32 v6, exec_lo, 0
	s_mov_b32 s13, exec_lo
	s_delay_alu instid0(VALU_DEP_1)
	v_cmpx_eq_u32_e32 0, v6
	s_cbranch_execz .LBB80_18
; %bb.17:                               ;   in Loop: Header=BB80_15 Depth=1
	v_mov_b32_e32 v6, s26
	global_atomic_min_i32 v1, v6, s[8:9] scope:SCOPE_DEV
.LBB80_18:                              ;   in Loop: Header=BB80_15 Depth=1
	s_wait_xcnt 0x0
	s_or_b32 exec_lo, exec_lo, s13
	v_mov_b64_e32 v[8:9], 1.0
	v_mov_b64_e32 v[6:7], 0
.LBB80_19:                              ;   in Loop: Header=BB80_15 Depth=1
	s_or_b32 exec_lo, exec_lo, s0
	s_mov_b32 s27, -1
	s_mov_b32 s0, 0
	s_cmp_lt_i32 s5, 1
	s_mov_b32 s13, 0
                                        ; implicit-def: $vgpr22_vgpr23
                                        ; implicit-def: $vgpr24_vgpr25
	s_cbranch_scc0 .LBB80_26
; %bb.20:                               ;   in Loop: Header=BB80_15 Depth=1
	s_and_b32 vcc_lo, exec_lo, s27
	s_mov_b32 s25, 4
	s_cbranch_vccnz .LBB80_33
.LBB80_21:                              ;   in Loop: Header=BB80_15 Depth=1
	v_mov_b64_e32 v[28:29], v[4:5]
	v_mov_b64_e32 v[26:27], v[2:3]
	s_and_b32 vcc_lo, exec_lo, s13
	s_cbranch_vccnz .LBB80_38
.LBB80_22:                              ;   in Loop: Header=BB80_15 Depth=1
	s_and_b32 vcc_lo, exec_lo, s0
	s_cbranch_vccnz .LBB80_43
.LBB80_23:                              ;   in Loop: Header=BB80_15 Depth=1
	s_mov_b32 s0, -1
	s_cmp_gt_i32 s25, 3
	s_mov_b32 s1, -1
	s_cbranch_scc0 .LBB80_46
.LBB80_24:                              ;   in Loop: Header=BB80_15 Depth=1
	s_and_not1_b32 vcc_lo, exec_lo, s1
	s_cbranch_vccz .LBB80_47
.LBB80_25:                              ;   in Loop: Header=BB80_15 Depth=1
	s_delay_alu instid0(VALU_DEP_1) | instskip(NEXT) | instid1(VALU_DEP_2)
	v_mov_b64_e32 v[4:5], v[28:29]
	v_mov_b64_e32 v[2:3], v[26:27]
	s_and_not1_b32 vcc_lo, exec_lo, s0
	s_cbranch_vccnz .LBB80_48
	s_branch .LBB80_54
.LBB80_26:                              ;   in Loop: Header=BB80_15 Depth=1
	s_cmp_eq_u32 s5, 1
	s_mov_b32 s13, -1
                                        ; implicit-def: $vgpr22_vgpr23
                                        ; implicit-def: $vgpr24_vgpr25
	s_cbranch_scc0 .LBB80_32
; %bb.27:                               ;   in Loop: Header=BB80_15 Depth=1
	v_mov_b64_e32 v[22:23], v[20:21]
	v_mov_b64_e32 v[24:25], v[18:19]
	s_cmp_ge_i32 s24, s20
	s_mov_b32 s13, 0
	s_cbranch_scc0 .LBB80_32
; %bb.28:                               ;   in Loop: Header=BB80_15 Depth=1
	s_and_b32 vcc_lo, exec_lo, s25
	s_mov_b32 s13, -1
                                        ; implicit-def: $vgpr22_vgpr23
                                        ; implicit-def: $vgpr24_vgpr25
	s_cbranch_vccz .LBB80_32
; %bb.29:                               ;   in Loop: Header=BB80_15 Depth=1
	v_mov_b64_e32 v[22:23], v[20:21]
	v_mov_b64_e32 v[24:25], v[18:19]
	s_and_not1_b32 vcc_lo, exec_lo, s21
	s_cbranch_vccnz .LBB80_31
; %bb.30:                               ;   in Loop: Header=BB80_15 Depth=1
	v_mul_f64_e32 v[22:23], v[6:7], v[6:7]
	s_delay_alu instid0(VALU_DEP_1) | instskip(NEXT) | instid1(VALU_DEP_1)
	v_fmac_f64_e32 v[22:23], v[8:9], v[8:9]
	v_div_scale_f64 v[24:25], null, v[22:23], v[22:23], 1.0
	v_div_scale_f64 v[32:33], vcc_lo, 1.0, v[22:23], 1.0
	s_delay_alu instid0(VALU_DEP_2) | instskip(SKIP_1) | instid1(TRANS32_DEP_1)
	v_rcp_f64_e32 v[26:27], v[24:25]
	v_nop
	v_fma_f64 v[28:29], -v[24:25], v[26:27], 1.0
	s_delay_alu instid0(VALU_DEP_1) | instskip(NEXT) | instid1(VALU_DEP_1)
	v_fmac_f64_e32 v[26:27], v[26:27], v[28:29]
	v_fma_f64 v[28:29], -v[24:25], v[26:27], 1.0
	s_delay_alu instid0(VALU_DEP_1) | instskip(NEXT) | instid1(VALU_DEP_1)
	v_fmac_f64_e32 v[26:27], v[26:27], v[28:29]
	v_mul_f64_e32 v[28:29], v[32:33], v[26:27]
	s_delay_alu instid0(VALU_DEP_1) | instskip(NEXT) | instid1(VALU_DEP_1)
	v_fma_f64 v[24:25], -v[24:25], v[28:29], v[32:33]
	v_div_fmas_f64 v[24:25], v[24:25], v[26:27], v[28:29]
	v_fma_f64 v[26:27], 0, v[6:7], v[8:9]
	v_fma_f64 v[28:29], v[8:9], 0, -v[6:7]
	s_delay_alu instid0(VALU_DEP_3) | instskip(NEXT) | instid1(VALU_DEP_1)
	v_div_fixup_f64 v[22:23], v[24:25], v[22:23], 1.0
	v_mul_f64_e32 v[24:25], v[26:27], v[22:23]
	s_delay_alu instid0(VALU_DEP_3)
	v_mul_f64_e32 v[22:23], v[28:29], v[22:23]
.LBB80_31:                              ;   in Loop: Header=BB80_15 Depth=1
	s_mov_b32 s13, 0
.LBB80_32:                              ;   in Loop: Header=BB80_15 Depth=1
	s_mov_b32 s25, 4
	s_branch .LBB80_21
.LBB80_33:                              ;   in Loop: Header=BB80_15 Depth=1
	s_cmp_eq_u32 s5, 0
	s_cbranch_scc1 .LBB80_35
; %bb.34:                               ;   in Loop: Header=BB80_15 Depth=1
	s_mov_b32 s13, -1
	s_branch .LBB80_37
.LBB80_35:                              ;   in Loop: Header=BB80_15 Depth=1
	s_cmp_le_i32 s24, s20
	s_mov_b32 s13, 0
	s_cbranch_scc0 .LBB80_37
; %bb.36:                               ;   in Loop: Header=BB80_15 Depth=1
	s_mov_b32 s0, -1
	s_mov_b32 s13, s1
.LBB80_37:                              ;   in Loop: Header=BB80_15 Depth=1
	v_mov_b64_e32 v[22:23], v[20:21]
	v_mov_b64_e32 v[24:25], v[18:19]
	s_mov_b32 s25, 2
	v_mov_b64_e32 v[28:29], v[4:5]
	v_mov_b64_e32 v[26:27], v[2:3]
	s_and_b32 vcc_lo, exec_lo, s13
	s_cbranch_vccz .LBB80_22
.LBB80_38:                              ;   in Loop: Header=BB80_15 Depth=1
	s_and_saveexec_b32 s13, s3
	s_cbranch_execz .LBB80_40
; %bb.39:                               ;   in Loop: Header=BB80_15 Depth=1
	s_add_co_i32 s0, s24, s7
	s_delay_alu instid0(SALU_CYCLE_1)
	v_mov_b32_e32 v13, s0
	global_load_b32 v13, v13, s[16:17] scale_offset scope:SCOPE_DEV
	s_wait_loadcnt 0x0
	v_cmp_ne_u32_e32 vcc_lo, 0, v13
	s_cbranch_vccz .LBB80_49
.LBB80_40:                              ;   in Loop: Header=BB80_15 Depth=1
	s_wait_xcnt 0x0
	s_or_b32 exec_lo, exec_lo, s13
	v_mov_b64_e32 v[28:29], 0
	v_mov_b64_e32 v[26:27], 0
	s_wait_storecnt 0x0
	s_barrier_signal -1
	s_barrier_wait -1
	global_inv scope:SCOPE_DEV
	s_and_saveexec_b32 s0, s2
	s_cbranch_execz .LBB80_42
; %bb.41:                               ;   in Loop: Header=BB80_15 Depth=1
	s_ashr_i32 s25, s24, 31
	s_delay_alu instid0(SALU_CYCLE_1) | instskip(NEXT) | instid1(SALU_CYCLE_1)
	s_mul_u64 s[24:25], s[10:11], s[24:25]
	v_lshl_add_u64 v[22:23], s[24:25], 4, v[10:11]
	global_load_b128 v[22:25], v[22:23], off
	s_wait_loadcnt 0x0
	v_fma_f64 v[26:27], -v[8:9], v[22:23], v[2:3]
	v_fma_f64 v[22:23], -v[6:7], v[22:23], v[4:5]
	s_delay_alu instid0(VALU_DEP_2) | instskip(NEXT) | instid1(VALU_DEP_2)
	v_fmac_f64_e32 v[26:27], v[6:7], v[24:25]
	v_fma_f64 v[28:29], -v[8:9], v[24:25], v[22:23]
.LBB80_42:                              ;   in Loop: Header=BB80_15 Depth=1
	s_or_b32 exec_lo, exec_lo, s0
	v_mov_b64_e32 v[22:23], v[20:21]
	v_mov_b64_e32 v[24:25], v[18:19]
	s_mov_b32 s25, 0
	s_branch .LBB80_23
.LBB80_43:                              ;   in Loop: Header=BB80_15 Depth=1
	s_and_not1_b32 vcc_lo, exec_lo, s21
	s_cbranch_vccnz .LBB80_45
; %bb.44:                               ;   in Loop: Header=BB80_15 Depth=1
	v_mul_f64_e32 v[18:19], v[6:7], v[6:7]
	s_delay_alu instid0(VALU_DEP_1) | instskip(NEXT) | instid1(VALU_DEP_1)
	v_fmac_f64_e32 v[18:19], v[8:9], v[8:9]
	v_div_scale_f64 v[20:21], null, v[18:19], v[18:19], 1.0
	v_div_scale_f64 v[26:27], vcc_lo, 1.0, v[18:19], 1.0
	s_delay_alu instid0(VALU_DEP_2) | instskip(SKIP_1) | instid1(TRANS32_DEP_1)
	v_rcp_f64_e32 v[22:23], v[20:21]
	v_nop
	v_fma_f64 v[24:25], -v[20:21], v[22:23], 1.0
	s_delay_alu instid0(VALU_DEP_1) | instskip(NEXT) | instid1(VALU_DEP_1)
	v_fmac_f64_e32 v[22:23], v[22:23], v[24:25]
	v_fma_f64 v[24:25], -v[20:21], v[22:23], 1.0
	s_delay_alu instid0(VALU_DEP_1) | instskip(NEXT) | instid1(VALU_DEP_1)
	v_fmac_f64_e32 v[22:23], v[22:23], v[24:25]
	v_mul_f64_e32 v[24:25], v[26:27], v[22:23]
	s_delay_alu instid0(VALU_DEP_1) | instskip(NEXT) | instid1(VALU_DEP_1)
	v_fma_f64 v[20:21], -v[20:21], v[24:25], v[26:27]
	v_div_fmas_f64 v[20:21], v[20:21], v[22:23], v[24:25]
	v_fma_f64 v[22:23], 0, v[6:7], v[8:9]
	v_fma_f64 v[6:7], v[8:9], 0, -v[6:7]
	s_delay_alu instid0(VALU_DEP_3) | instskip(NEXT) | instid1(VALU_DEP_1)
	v_div_fixup_f64 v[20:21], v[20:21], v[18:19], 1.0
	v_mul_f64_e32 v[18:19], v[22:23], v[20:21]
	s_delay_alu instid0(VALU_DEP_3)
	v_mul_f64_e32 v[20:21], v[6:7], v[20:21]
.LBB80_45:                              ;   in Loop: Header=BB80_15 Depth=1
	s_delay_alu instid0(VALU_DEP_2) | instskip(NEXT) | instid1(VALU_DEP_2)
	v_mov_b64_e32 v[24:25], v[18:19]
	v_mov_b64_e32 v[22:23], v[20:21]
	;; [unrolled: 1-line block ×4, first 2 shown]
	s_mov_b32 s25, 2
	s_mov_b32 s0, -1
	s_cmp_gt_i32 s25, 3
	s_mov_b32 s1, -1
	s_cbranch_scc1 .LBB80_24
.LBB80_46:                              ;   in Loop: Header=BB80_15 Depth=1
	s_cmp_eq_u32 s25, 0
	s_cselect_b32 s1, -1, 0
	s_delay_alu instid0(SALU_CYCLE_1)
	s_and_not1_b32 vcc_lo, exec_lo, s1
	s_cbranch_vccnz .LBB80_25
.LBB80_47:                              ;   in Loop: Header=BB80_15 Depth=1
	s_add_nc_u64 s[18:19], s[18:19], 1
	s_delay_alu instid0(SALU_CYCLE_1) | instskip(NEXT) | instid1(VALU_DEP_2)
	v_cmp_ge_i64_e64 s0, s[18:19], s[14:15]
	v_mov_b64_e32 v[4:5], v[28:29]
	s_delay_alu instid0(VALU_DEP_3)
	v_mov_b64_e32 v[2:3], v[26:27]
	s_and_not1_b32 vcc_lo, exec_lo, s0
	s_cbranch_vccz .LBB80_54
.LBB80_48:                              ;   in Loop: Header=BB80_15 Depth=1
	s_delay_alu instid0(VALU_DEP_4) | instskip(NEXT) | instid1(VALU_DEP_4)
	v_mov_b64_e32 v[20:21], v[22:23]
	v_mov_b64_e32 v[18:19], v[24:25]
	s_sub_co_i32 s0, s18, s12
	s_delay_alu instid0(SALU_CYCLE_1) | instskip(NEXT) | instid1(SALU_CYCLE_1)
	s_and_b32 s1, s0, 0x1ff
	s_cmp_lg_u32 s1, 0
	s_cbranch_scc1 .LBB80_15
	s_branch .LBB80_12
.LBB80_49:                              ;   in Loop: Header=BB80_15 Depth=1
	s_ashr_i32 s1, s0, 31
	s_mov_b32 s25, 0
	s_lshl_b64 s[0:1], s[0:1], 2
	s_delay_alu instid0(SALU_CYCLE_1)
	s_add_nc_u64 s[0:1], s[16:17], s[0:1]
	s_branch .LBB80_51
.LBB80_50:                              ;   in Loop: Header=BB80_51 Depth=2
	global_load_b32 v13, v1, s[0:1] scope:SCOPE_DEV
	s_cmp_lt_u32 s25, 0xf43
	s_cselect_b32 s27, -1, 0
	s_delay_alu instid0(SALU_CYCLE_1)
	s_cmp_lg_u32 s27, 0
	s_add_co_ci_u32 s25, s25, 0
	s_wait_loadcnt 0x0
	v_cmp_ne_u32_e32 vcc_lo, 0, v13
	s_cbranch_vccnz .LBB80_40
.LBB80_51:                              ;   Parent Loop BB80_15 Depth=1
                                        ; =>  This Loop Header: Depth=2
                                        ;       Child Loop BB80_52 Depth 3
	s_cmp_eq_u32 s25, 0
	s_mov_b32 s27, s25
	s_cbranch_scc1 .LBB80_50
.LBB80_52:                              ;   Parent Loop BB80_15 Depth=1
                                        ;     Parent Loop BB80_51 Depth=2
                                        ; =>    This Inner Loop Header: Depth=3
	s_add_co_i32 s27, s27, -1
	s_sleep 1
	s_cmp_eq_u32 s27, 0
	s_cbranch_scc0 .LBB80_52
	s_branch .LBB80_50
.LBB80_53:
	v_mov_b64_e32 v[24:25], 1.0
	v_mov_b64_e32 v[22:23], 0
.LBB80_54:
	s_cmp_lg_u32 s6, 0
	s_cbranch_scc0 .LBB80_60
; %bb.55:
	s_and_saveexec_b32 s0, s2
	s_cbranch_execz .LBB80_57
.LBB80_56:
	s_wait_loadcnt_dscnt 0x0
	v_lshl_add_u64 v[6:7], s[22:23], 4, v[10:11]
	global_store_b128 v[6:7], v[2:5], off
.LBB80_57:
	s_wait_xcnt 0x0
	s_or_b32 exec_lo, exec_lo, s0
	global_wb scope:SCOPE_DEV
	s_wait_storecnt 0x0
	s_wait_loadcnt_dscnt 0x0
	global_inv scope:SCOPE_DEV
	s_wait_loadcnt 0x0
	s_barrier_signal -1
	s_barrier_wait -1
	s_mov_b32 s0, exec_lo
	v_cmpx_eq_u32_e32 0, v0
	s_cbranch_execz .LBB80_59
; %bb.58:
	s_add_co_i32 s0, s20, s7
	s_delay_alu instid0(SALU_CYCLE_1)
	v_dual_mov_b32 v0, 1 :: v_dual_mov_b32 v1, s0
	global_store_b32 v1, v0, s[16:17] scale_offset scope:SCOPE_DEV
.LBB80_59:
	s_endpgm
.LBB80_60:
	s_wait_loadcnt_dscnt 0x0
	s_delay_alu instid0(VALU_DEP_1) | instskip(SKIP_1) | instid1(VALU_DEP_2)
	v_mul_f64_e64 v[6:7], v[22:23], -v[4:5]
	v_mul_f64_e32 v[8:9], v[22:23], v[2:3]
	v_fmac_f64_e32 v[6:7], v[2:3], v[24:25]
	s_delay_alu instid0(VALU_DEP_2) | instskip(NEXT) | instid1(VALU_DEP_2)
	v_fmac_f64_e32 v[8:9], v[4:5], v[24:25]
	v_mov_b64_e32 v[2:3], v[6:7]
	s_delay_alu instid0(VALU_DEP_2)
	v_mov_b64_e32 v[4:5], v[8:9]
	s_and_saveexec_b32 s0, s2
	s_cbranch_execnz .LBB80_56
	s_branch .LBB80_57
	.section	.rodata,"a",@progbits
	.p2align	6, 0x0
	.amdhsa_kernel _ZN9rocsparseL5csrsmILj512ELj64ELb1Eli21rocsparse_complex_numIdEEEv20rocsparse_operation_T3_S4_NS_24const_host_device_scalarIT4_EEPKT2_PKS4_PKS6_PS6_lPiSC_PS4_21rocsparse_index_base_20rocsparse_fill_mode_20rocsparse_diag_type_b
		.amdhsa_group_segment_fixed_size 10240
		.amdhsa_private_segment_fixed_size 16
		.amdhsa_kernarg_size 112
		.amdhsa_user_sgpr_count 2
		.amdhsa_user_sgpr_dispatch_ptr 0
		.amdhsa_user_sgpr_queue_ptr 0
		.amdhsa_user_sgpr_kernarg_segment_ptr 1
		.amdhsa_user_sgpr_dispatch_id 0
		.amdhsa_user_sgpr_kernarg_preload_length 0
		.amdhsa_user_sgpr_kernarg_preload_offset 0
		.amdhsa_user_sgpr_private_segment_size 0
		.amdhsa_wavefront_size32 1
		.amdhsa_uses_dynamic_stack 0
		.amdhsa_enable_private_segment 1
		.amdhsa_system_sgpr_workgroup_id_x 1
		.amdhsa_system_sgpr_workgroup_id_y 0
		.amdhsa_system_sgpr_workgroup_id_z 0
		.amdhsa_system_sgpr_workgroup_info 0
		.amdhsa_system_vgpr_workitem_id 0
		.amdhsa_next_free_vgpr 34
		.amdhsa_next_free_sgpr 28
		.amdhsa_named_barrier_count 0
		.amdhsa_reserve_vcc 1
		.amdhsa_float_round_mode_32 0
		.amdhsa_float_round_mode_16_64 0
		.amdhsa_float_denorm_mode_32 3
		.amdhsa_float_denorm_mode_16_64 3
		.amdhsa_fp16_overflow 0
		.amdhsa_memory_ordered 1
		.amdhsa_forward_progress 1
		.amdhsa_inst_pref_size 18
		.amdhsa_round_robin_scheduling 0
		.amdhsa_exception_fp_ieee_invalid_op 0
		.amdhsa_exception_fp_denorm_src 0
		.amdhsa_exception_fp_ieee_div_zero 0
		.amdhsa_exception_fp_ieee_overflow 0
		.amdhsa_exception_fp_ieee_underflow 0
		.amdhsa_exception_fp_ieee_inexact 0
		.amdhsa_exception_int_div_zero 0
	.end_amdhsa_kernel
	.section	.text._ZN9rocsparseL5csrsmILj512ELj64ELb1Eli21rocsparse_complex_numIdEEEv20rocsparse_operation_T3_S4_NS_24const_host_device_scalarIT4_EEPKT2_PKS4_PKS6_PS6_lPiSC_PS4_21rocsparse_index_base_20rocsparse_fill_mode_20rocsparse_diag_type_b,"axG",@progbits,_ZN9rocsparseL5csrsmILj512ELj64ELb1Eli21rocsparse_complex_numIdEEEv20rocsparse_operation_T3_S4_NS_24const_host_device_scalarIT4_EEPKT2_PKS4_PKS6_PS6_lPiSC_PS4_21rocsparse_index_base_20rocsparse_fill_mode_20rocsparse_diag_type_b,comdat
.Lfunc_end80:
	.size	_ZN9rocsparseL5csrsmILj512ELj64ELb1Eli21rocsparse_complex_numIdEEEv20rocsparse_operation_T3_S4_NS_24const_host_device_scalarIT4_EEPKT2_PKS4_PKS6_PS6_lPiSC_PS4_21rocsparse_index_base_20rocsparse_fill_mode_20rocsparse_diag_type_b, .Lfunc_end80-_ZN9rocsparseL5csrsmILj512ELj64ELb1Eli21rocsparse_complex_numIdEEEv20rocsparse_operation_T3_S4_NS_24const_host_device_scalarIT4_EEPKT2_PKS4_PKS6_PS6_lPiSC_PS4_21rocsparse_index_base_20rocsparse_fill_mode_20rocsparse_diag_type_b
                                        ; -- End function
	.set _ZN9rocsparseL5csrsmILj512ELj64ELb1Eli21rocsparse_complex_numIdEEEv20rocsparse_operation_T3_S4_NS_24const_host_device_scalarIT4_EEPKT2_PKS4_PKS6_PS6_lPiSC_PS4_21rocsparse_index_base_20rocsparse_fill_mode_20rocsparse_diag_type_b.num_vgpr, 34
	.set _ZN9rocsparseL5csrsmILj512ELj64ELb1Eli21rocsparse_complex_numIdEEEv20rocsparse_operation_T3_S4_NS_24const_host_device_scalarIT4_EEPKT2_PKS4_PKS6_PS6_lPiSC_PS4_21rocsparse_index_base_20rocsparse_fill_mode_20rocsparse_diag_type_b.num_agpr, 0
	.set _ZN9rocsparseL5csrsmILj512ELj64ELb1Eli21rocsparse_complex_numIdEEEv20rocsparse_operation_T3_S4_NS_24const_host_device_scalarIT4_EEPKT2_PKS4_PKS6_PS6_lPiSC_PS4_21rocsparse_index_base_20rocsparse_fill_mode_20rocsparse_diag_type_b.numbered_sgpr, 28
	.set _ZN9rocsparseL5csrsmILj512ELj64ELb1Eli21rocsparse_complex_numIdEEEv20rocsparse_operation_T3_S4_NS_24const_host_device_scalarIT4_EEPKT2_PKS4_PKS6_PS6_lPiSC_PS4_21rocsparse_index_base_20rocsparse_fill_mode_20rocsparse_diag_type_b.num_named_barrier, 0
	.set _ZN9rocsparseL5csrsmILj512ELj64ELb1Eli21rocsparse_complex_numIdEEEv20rocsparse_operation_T3_S4_NS_24const_host_device_scalarIT4_EEPKT2_PKS4_PKS6_PS6_lPiSC_PS4_21rocsparse_index_base_20rocsparse_fill_mode_20rocsparse_diag_type_b.private_seg_size, 16
	.set _ZN9rocsparseL5csrsmILj512ELj64ELb1Eli21rocsparse_complex_numIdEEEv20rocsparse_operation_T3_S4_NS_24const_host_device_scalarIT4_EEPKT2_PKS4_PKS6_PS6_lPiSC_PS4_21rocsparse_index_base_20rocsparse_fill_mode_20rocsparse_diag_type_b.uses_vcc, 1
	.set _ZN9rocsparseL5csrsmILj512ELj64ELb1Eli21rocsparse_complex_numIdEEEv20rocsparse_operation_T3_S4_NS_24const_host_device_scalarIT4_EEPKT2_PKS4_PKS6_PS6_lPiSC_PS4_21rocsparse_index_base_20rocsparse_fill_mode_20rocsparse_diag_type_b.uses_flat_scratch, 0
	.set _ZN9rocsparseL5csrsmILj512ELj64ELb1Eli21rocsparse_complex_numIdEEEv20rocsparse_operation_T3_S4_NS_24const_host_device_scalarIT4_EEPKT2_PKS4_PKS6_PS6_lPiSC_PS4_21rocsparse_index_base_20rocsparse_fill_mode_20rocsparse_diag_type_b.has_dyn_sized_stack, 0
	.set _ZN9rocsparseL5csrsmILj512ELj64ELb1Eli21rocsparse_complex_numIdEEEv20rocsparse_operation_T3_S4_NS_24const_host_device_scalarIT4_EEPKT2_PKS4_PKS6_PS6_lPiSC_PS4_21rocsparse_index_base_20rocsparse_fill_mode_20rocsparse_diag_type_b.has_recursion, 0
	.set _ZN9rocsparseL5csrsmILj512ELj64ELb1Eli21rocsparse_complex_numIdEEEv20rocsparse_operation_T3_S4_NS_24const_host_device_scalarIT4_EEPKT2_PKS4_PKS6_PS6_lPiSC_PS4_21rocsparse_index_base_20rocsparse_fill_mode_20rocsparse_diag_type_b.has_indirect_call, 0
	.section	.AMDGPU.csdata,"",@progbits
; Kernel info:
; codeLenInByte = 2216
; TotalNumSgprs: 30
; NumVgprs: 34
; ScratchSize: 16
; MemoryBound: 1
; FloatMode: 240
; IeeeMode: 1
; LDSByteSize: 10240 bytes/workgroup (compile time only)
; SGPRBlocks: 0
; VGPRBlocks: 2
; NumSGPRsForWavesPerEU: 30
; NumVGPRsForWavesPerEU: 34
; NamedBarCnt: 0
; Occupancy: 16
; WaveLimiterHint : 1
; COMPUTE_PGM_RSRC2:SCRATCH_EN: 1
; COMPUTE_PGM_RSRC2:USER_SGPR: 2
; COMPUTE_PGM_RSRC2:TRAP_HANDLER: 0
; COMPUTE_PGM_RSRC2:TGID_X_EN: 1
; COMPUTE_PGM_RSRC2:TGID_Y_EN: 0
; COMPUTE_PGM_RSRC2:TGID_Z_EN: 0
; COMPUTE_PGM_RSRC2:TIDIG_COMP_CNT: 0
	.section	.text._ZN9rocsparseL5csrsmILj512ELj64ELb0Eli21rocsparse_complex_numIdEEEv20rocsparse_operation_T3_S4_NS_24const_host_device_scalarIT4_EEPKT2_PKS4_PKS6_PS6_lPiSC_PS4_21rocsparse_index_base_20rocsparse_fill_mode_20rocsparse_diag_type_b,"axG",@progbits,_ZN9rocsparseL5csrsmILj512ELj64ELb0Eli21rocsparse_complex_numIdEEEv20rocsparse_operation_T3_S4_NS_24const_host_device_scalarIT4_EEPKT2_PKS4_PKS6_PS6_lPiSC_PS4_21rocsparse_index_base_20rocsparse_fill_mode_20rocsparse_diag_type_b,comdat
	.globl	_ZN9rocsparseL5csrsmILj512ELj64ELb0Eli21rocsparse_complex_numIdEEEv20rocsparse_operation_T3_S4_NS_24const_host_device_scalarIT4_EEPKT2_PKS4_PKS6_PS6_lPiSC_PS4_21rocsparse_index_base_20rocsparse_fill_mode_20rocsparse_diag_type_b ; -- Begin function _ZN9rocsparseL5csrsmILj512ELj64ELb0Eli21rocsparse_complex_numIdEEEv20rocsparse_operation_T3_S4_NS_24const_host_device_scalarIT4_EEPKT2_PKS4_PKS6_PS6_lPiSC_PS4_21rocsparse_index_base_20rocsparse_fill_mode_20rocsparse_diag_type_b
	.p2align	8
	.type	_ZN9rocsparseL5csrsmILj512ELj64ELb0Eli21rocsparse_complex_numIdEEEv20rocsparse_operation_T3_S4_NS_24const_host_device_scalarIT4_EEPKT2_PKS4_PKS6_PS6_lPiSC_PS4_21rocsparse_index_base_20rocsparse_fill_mode_20rocsparse_diag_type_b,@function
_ZN9rocsparseL5csrsmILj512ELj64ELb0Eli21rocsparse_complex_numIdEEEv20rocsparse_operation_T3_S4_NS_24const_host_device_scalarIT4_EEPKT2_PKS4_PKS6_PS6_lPiSC_PS4_21rocsparse_index_base_20rocsparse_fill_mode_20rocsparse_diag_type_b: ; @_ZN9rocsparseL5csrsmILj512ELj64ELb0Eli21rocsparse_complex_numIdEEEv20rocsparse_operation_T3_S4_NS_24const_host_device_scalarIT4_EEPKT2_PKS4_PKS6_PS6_lPiSC_PS4_21rocsparse_index_base_20rocsparse_fill_mode_20rocsparse_diag_type_b
; %bb.0:
	s_clause 0x1
	s_load_b128 s[4:7], s[0:1], 0x60
	s_load_b128 s[8:11], s[0:1], 0x10
	v_mbcnt_lo_u32_b32 v1, -1, 0
	s_clause 0x1
	s_load_b64 s[2:3], s[0:1], 0x20
	s_load_b64 s[12:13], s[0:1], 0x50
	s_delay_alu instid0(VALU_DEP_1) | instskip(NEXT) | instid1(VALU_DEP_1)
	v_dual_mov_b32 v2, 0 :: v_dual_lshlrev_b32 v3, 20, v1
	v_add_nc_u64_e32 v[2:3], src_flat_scratch_base_lo, v[2:3]
	s_wait_kmcnt 0x0
	s_bitcmp1_b32 s7, 0
	v_mov_b64_e32 v[4:5], s[8:9]
	s_cselect_b32 vcc_lo, -1, 0
	v_mov_b64_e32 v[8:9], s[10:11]
	s_delay_alu instid0(VALU_DEP_3)
	v_cndmask_b32_e32 v3, s9, v3, vcc_lo
	v_cndmask_b32_e32 v2, s8, v2, vcc_lo
	s_and_b32 vcc_lo, exec_lo, vcc_lo
	scratch_store_b64 off, v[4:5], off
	flat_load_b64 v[6:7], v[2:3]
	s_cbranch_vccnz .LBB81_2
; %bb.1:
	v_mov_b32_e32 v1, 0
	flat_load_b64 v[8:9], v1, s[8:9] offset:8
.LBB81_2:
	s_load_b96 s[16:18], s[0:1], 0x0
	s_bfe_u32 s9, ttmp6, 0x4000c
	s_and_b32 s8, ttmp6, 15
	s_add_co_i32 s9, s9, 1
	s_getreg_b32 s11, hwreg(HW_REG_IB_STS2, 6, 4)
	s_mul_i32 s9, ttmp9, s9
	s_delay_alu instid0(SALU_CYCLE_1) | instskip(SKIP_3) | instid1(SALU_CYCLE_2)
	s_add_co_i32 s8, s8, s9
	s_wait_kmcnt 0x0
	s_cvt_f32_u32 s7, s17
	s_sub_co_i32 s10, 0, s17
	v_rcp_iflag_f32_e32 v1, s7
	v_nop
	s_delay_alu instid0(TRANS32_DEP_1) | instskip(SKIP_1) | instid1(SALU_CYCLE_3)
	v_readfirstlane_b32 s7, v1
	s_mul_f32 s7, s7, 0x4f7ffffe
	s_cvt_u32_f32 s7, s7
	s_delay_alu instid0(SALU_CYCLE_3) | instskip(NEXT) | instid1(SALU_CYCLE_1)
	s_mul_i32 s10, s10, s7
	s_mul_hi_u32 s10, s7, s10
	s_delay_alu instid0(SALU_CYCLE_1) | instskip(SKIP_2) | instid1(SALU_CYCLE_1)
	s_add_co_i32 s7, s7, s10
	s_cmp_eq_u32 s11, 0
	s_cselect_b32 s8, ttmp9, s8
	s_mul_hi_u32 s7, s8, s7
	s_delay_alu instid0(SALU_CYCLE_1) | instskip(SKIP_2) | instid1(SALU_CYCLE_1)
	s_mul_i32 s9, s7, s17
	s_add_co_i32 s10, s7, 1
	s_sub_co_i32 s9, s8, s9
	s_sub_co_i32 s11, s9, s17
	s_cmp_ge_u32 s9, s17
	s_cselect_b32 s7, s10, s7
	s_cselect_b32 s9, s11, s9
	s_add_co_i32 s10, s7, 1
	s_cmp_ge_u32 s9, s17
	s_cselect_b32 s19, s10, s7
	s_delay_alu instid0(SALU_CYCLE_1) | instskip(SKIP_2) | instid1(SALU_CYCLE_1)
	s_mul_i32 s7, s19, s17
	v_lshl_or_b32 v10, s19, 9, v0
	s_sub_co_i32 s8, s8, s7
	s_ashr_i32 s9, s8, 31
	s_delay_alu instid0(VALU_DEP_1) | instskip(SKIP_1) | instid1(SALU_CYCLE_1)
	v_ashrrev_i32_e32 v11, 31, v10
	s_lshl_b64 s[8:9], s[8:9], 2
	s_add_nc_u64 s[12:13], s[12:13], s[8:9]
	s_load_b32 s20, s[12:13], 0x0
	s_load_b128 s[8:11], s[0:1], 0x38
	s_wait_kmcnt 0x0
	s_ashr_i32 s21, s20, 31
	s_delay_alu instid0(SALU_CYCLE_1)
	s_lshl_b64 s[12:13], s[20:21], 3
	s_mul_u64 s[22:23], s[10:11], s[20:21]
	s_add_nc_u64 s[2:3], s[2:3], s[12:13]
	v_add_nc_u64_e32 v[12:13], s[22:23], v[10:11]
	s_load_b128 s[12:15], s[2:3], 0x0
	s_wait_xcnt 0x0
	v_cmp_gt_i32_e64 s2, s18, v10
	s_cmp_lg_u32 s16, 0x71
	s_cbranch_scc0 .LBB81_6
; %bb.3:
	v_mov_b64_e32 v[4:5], 0
	v_mov_b64_e32 v[2:3], 0
	s_and_saveexec_b32 s3, s2
	s_cbranch_execz .LBB81_5
; %bb.4:
	v_lshl_add_u64 v[2:3], v[12:13], 4, s[8:9]
	global_load_b128 v[14:17], v[2:3], off
	s_wait_loadcnt_dscnt 0x0
	v_mul_f64_e64 v[2:3], v[16:17], -v[8:9]
	v_mul_f64_e32 v[4:5], v[6:7], v[16:17]
	s_delay_alu instid0(VALU_DEP_2) | instskip(NEXT) | instid1(VALU_DEP_2)
	v_fmac_f64_e32 v[2:3], v[6:7], v[14:15]
	v_fmac_f64_e32 v[4:5], v[8:9], v[14:15]
.LBB81_5:
	s_or_b32 exec_lo, exec_lo, s3
	s_load_b64 s[16:17], s[0:1], 0x48
	s_cbranch_execz .LBB81_7
	s_branch .LBB81_10
.LBB81_6:
                                        ; implicit-def: $vgpr4_vgpr5
	s_load_b64 s[16:17], s[0:1], 0x48
.LBB81_7:
	v_mov_b64_e32 v[4:5], 0
	v_mov_b64_e32 v[2:3], 0
	s_and_saveexec_b32 s3, s2
	s_cbranch_execz .LBB81_9
; %bb.8:
	v_lshl_add_u64 v[2:3], v[12:13], 4, s[8:9]
	global_load_b128 v[12:15], v[2:3], off
	s_wait_loadcnt_dscnt 0x0
	v_mul_f64_e32 v[2:3], v[8:9], v[14:15]
	v_mul_f64_e64 v[4:5], v[6:7], -v[14:15]
	s_delay_alu instid0(VALU_DEP_2) | instskip(NEXT) | instid1(VALU_DEP_2)
	v_fmac_f64_e32 v[2:3], v[6:7], v[12:13]
	v_fmac_f64_e32 v[4:5], v[8:9], v[12:13]
.LBB81_9:
	s_or_b32 exec_lo, exec_lo, s3
.LBB81_10:
	s_wait_kmcnt 0x0
	v_cmp_ge_i64_e64 s3, s[12:13], s[14:15]
	v_lshl_add_u64 v[10:11], v[10:11], 4, s[8:9]
	s_and_b32 vcc_lo, exec_lo, s3
	v_cmp_eq_u32_e64 s3, 0, v0
	s_cbranch_vccnz .LBB81_51
; %bb.11:
	s_clause 0x1
	s_load_b128 s[24:27], s[0:1], 0x28
	s_load_b64 s[8:9], s[0:1], 0x58
	s_wait_loadcnt_dscnt 0x0
	v_dual_mov_b32 v1, 0 :: v_dual_lshlrev_b32 v6, 2, v0
	v_lshlrev_b32_e32 v12, 4, v0
	v_mov_b64_e32 v[18:19], 1.0
	v_mov_b64_e32 v[20:21], 0
	s_delay_alu instid0(VALU_DEP_4)
	v_dual_mov_b32 v7, v1 :: v_dual_mov_b32 v13, v1
	s_wait_xcnt 0x0
	s_mov_b32 s1, 0
	s_mov_b32 s0, s4
	v_or_b32_e32 v30, 0x2000, v6
	s_cmp_eq_u32 s6, 0
	s_sub_nc_u64 s[12:13], s[12:13], s[0:1]
	s_cselect_b32 s21, -1, 0
	s_sub_nc_u64 s[14:15], s[14:15], s[0:1]
	s_mov_b64 s[18:19], s[12:13]
	s_wait_kmcnt 0x0
	v_add_nc_u64_e32 v[14:15], s[24:25], v[6:7]
	v_add_nc_u64_e32 v[16:17], s[26:27], v[12:13]
	s_add_co_i32 s26, s20, s4
	s_sub_co_i32 s0, s18, s12
	s_delay_alu instid0(SALU_CYCLE_1) | instskip(NEXT) | instid1(SALU_CYCLE_1)
	s_and_b32 s1, s0, 0x1ff
	s_cmp_lg_u32 s1, 0
	s_cbranch_scc1 .LBB81_15
.LBB81_12:
	v_mov_b64_e32 v[6:7], -1.0
	v_mov_b64_e32 v[8:9], 0
	v_mov_b32_e32 v13, -1
	s_sub_nc_u64 s[24:25], s[14:15], s[18:19]
	s_mov_b32 s0, exec_lo
	v_cmpx_gt_i64_e64 s[24:25], v[0:1]
	s_cbranch_execz .LBB81_14
; %bb.13:
	v_lshl_add_u64 v[6:7], s[18:19], 2, v[14:15]
	global_load_b32 v13, v[6:7], off
	s_wait_xcnt 0x0
	v_lshl_add_u64 v[6:7], s[18:19], 4, v[16:17]
	global_load_b128 v[6:9], v[6:7], off
	s_wait_loadcnt 0x1
	v_subrev_nc_u32_e32 v13, s4, v13
.LBB81_14:
	s_wait_xcnt 0x0
	s_or_b32 exec_lo, exec_lo, s0
	ds_store_b32 v30, v13
	s_wait_loadcnt 0x0
	ds_store_b128 v12, v[6:9]
.LBB81_15:                              ; =>This Loop Header: Depth=1
                                        ;     Child Loop BB81_41 Depth 2
	s_lshl_b32 s0, s1, 4
	s_wait_storecnt_dscnt 0x0
	v_mov_b32_e32 v6, s0
	s_barrier_signal -1
	s_barrier_wait -1
	s_lshl_b32 s1, s1, 2
	ds_load_b128 v[22:25], v6
	v_mov_b32_e32 v6, s1
	ds_load_b32 v6, v6 offset:8192
	s_wait_dscnt 0x1
	v_cmp_eq_f64_e32 vcc_lo, 0, v[22:23]
	v_cmp_eq_f64_e64 s0, 0, v[24:25]
	s_wait_dscnt 0x0
	v_readfirstlane_b32 s24, v6
	s_and_b32 s0, vcc_lo, s0
	s_cmp_eq_u32 s24, s20
	s_cselect_b32 s25, -1, 0
	s_cmp_lg_u32 s24, s20
	s_cselect_b32 s1, -1, 0
	s_and_b32 s0, s0, s25
	s_delay_alu instid0(SALU_CYCLE_1) | instskip(NEXT) | instid1(SALU_CYCLE_1)
	s_and_b32 s0, s21, s0
	v_cndmask_b32_e64 v7, v25, 0, s0
	v_cndmask_b32_e64 v6, v24, 0, s0
	;; [unrolled: 1-line block ×4, first 2 shown]
	s_and_b32 s13, s3, s0
	s_delay_alu instid0(SALU_CYCLE_1)
	s_and_saveexec_b32 s0, s13
	s_cbranch_execz .LBB81_19
; %bb.16:                               ;   in Loop: Header=BB81_15 Depth=1
	v_mbcnt_lo_u32_b32 v6, exec_lo, 0
	s_mov_b32 s13, exec_lo
	s_delay_alu instid0(VALU_DEP_1)
	v_cmpx_eq_u32_e32 0, v6
	s_cbranch_execz .LBB81_18
; %bb.17:                               ;   in Loop: Header=BB81_15 Depth=1
	v_mov_b32_e32 v6, s26
	global_atomic_min_i32 v1, v6, s[8:9] scope:SCOPE_DEV
.LBB81_18:                              ;   in Loop: Header=BB81_15 Depth=1
	s_wait_xcnt 0x0
	s_or_b32 exec_lo, exec_lo, s13
	v_mov_b64_e32 v[8:9], 1.0
	v_mov_b64_e32 v[6:7], 0
.LBB81_19:                              ;   in Loop: Header=BB81_15 Depth=1
	s_or_b32 exec_lo, exec_lo, s0
	s_mov_b32 s27, -1
	s_mov_b32 s0, 0
	s_cmp_lt_i32 s5, 1
	s_mov_b32 s13, 0
                                        ; implicit-def: $vgpr22_vgpr23
                                        ; implicit-def: $vgpr24_vgpr25
	s_cbranch_scc0 .LBB81_26
; %bb.20:                               ;   in Loop: Header=BB81_15 Depth=1
	s_and_b32 vcc_lo, exec_lo, s27
	s_mov_b32 s25, 4
	s_cbranch_vccnz .LBB81_33
.LBB81_21:                              ;   in Loop: Header=BB81_15 Depth=1
	v_mov_b64_e32 v[28:29], v[4:5]
	v_mov_b64_e32 v[26:27], v[2:3]
	s_and_b32 vcc_lo, exec_lo, s13
	s_cbranch_vccnz .LBB81_38
.LBB81_22:                              ;   in Loop: Header=BB81_15 Depth=1
	s_and_b32 vcc_lo, exec_lo, s0
	s_cbranch_vccnz .LBB81_45
.LBB81_23:                              ;   in Loop: Header=BB81_15 Depth=1
	s_mov_b32 s0, -1
	s_cmp_gt_i32 s25, 3
	s_mov_b32 s1, -1
	s_cbranch_scc0 .LBB81_48
.LBB81_24:                              ;   in Loop: Header=BB81_15 Depth=1
	s_and_not1_b32 vcc_lo, exec_lo, s1
	s_cbranch_vccz .LBB81_49
.LBB81_25:                              ;   in Loop: Header=BB81_15 Depth=1
	s_delay_alu instid0(VALU_DEP_1) | instskip(NEXT) | instid1(VALU_DEP_2)
	v_mov_b64_e32 v[4:5], v[28:29]
	v_mov_b64_e32 v[2:3], v[26:27]
	s_and_not1_b32 vcc_lo, exec_lo, s0
	s_cbranch_vccnz .LBB81_50
	s_branch .LBB81_52
.LBB81_26:                              ;   in Loop: Header=BB81_15 Depth=1
	s_cmp_eq_u32 s5, 1
	s_mov_b32 s13, -1
                                        ; implicit-def: $vgpr22_vgpr23
                                        ; implicit-def: $vgpr24_vgpr25
	s_cbranch_scc0 .LBB81_32
; %bb.27:                               ;   in Loop: Header=BB81_15 Depth=1
	v_mov_b64_e32 v[22:23], v[20:21]
	v_mov_b64_e32 v[24:25], v[18:19]
	s_cmp_ge_i32 s24, s20
	s_mov_b32 s13, 0
	s_cbranch_scc0 .LBB81_32
; %bb.28:                               ;   in Loop: Header=BB81_15 Depth=1
	s_and_b32 vcc_lo, exec_lo, s25
	s_mov_b32 s13, -1
                                        ; implicit-def: $vgpr22_vgpr23
                                        ; implicit-def: $vgpr24_vgpr25
	s_cbranch_vccz .LBB81_32
; %bb.29:                               ;   in Loop: Header=BB81_15 Depth=1
	v_mov_b64_e32 v[22:23], v[20:21]
	v_mov_b64_e32 v[24:25], v[18:19]
	s_and_not1_b32 vcc_lo, exec_lo, s21
	s_cbranch_vccnz .LBB81_31
; %bb.30:                               ;   in Loop: Header=BB81_15 Depth=1
	v_mul_f64_e32 v[22:23], v[6:7], v[6:7]
	s_delay_alu instid0(VALU_DEP_1) | instskip(NEXT) | instid1(VALU_DEP_1)
	v_fmac_f64_e32 v[22:23], v[8:9], v[8:9]
	v_div_scale_f64 v[24:25], null, v[22:23], v[22:23], 1.0
	v_div_scale_f64 v[32:33], vcc_lo, 1.0, v[22:23], 1.0
	s_delay_alu instid0(VALU_DEP_2) | instskip(SKIP_1) | instid1(TRANS32_DEP_1)
	v_rcp_f64_e32 v[26:27], v[24:25]
	v_nop
	v_fma_f64 v[28:29], -v[24:25], v[26:27], 1.0
	s_delay_alu instid0(VALU_DEP_1) | instskip(NEXT) | instid1(VALU_DEP_1)
	v_fmac_f64_e32 v[26:27], v[26:27], v[28:29]
	v_fma_f64 v[28:29], -v[24:25], v[26:27], 1.0
	s_delay_alu instid0(VALU_DEP_1) | instskip(NEXT) | instid1(VALU_DEP_1)
	v_fmac_f64_e32 v[26:27], v[26:27], v[28:29]
	v_mul_f64_e32 v[28:29], v[32:33], v[26:27]
	s_delay_alu instid0(VALU_DEP_1) | instskip(NEXT) | instid1(VALU_DEP_1)
	v_fma_f64 v[24:25], -v[24:25], v[28:29], v[32:33]
	v_div_fmas_f64 v[24:25], v[24:25], v[26:27], v[28:29]
	v_fma_f64 v[26:27], 0, v[6:7], v[8:9]
	v_fma_f64 v[28:29], v[8:9], 0, -v[6:7]
	s_delay_alu instid0(VALU_DEP_3) | instskip(NEXT) | instid1(VALU_DEP_1)
	v_div_fixup_f64 v[22:23], v[24:25], v[22:23], 1.0
	v_mul_f64_e32 v[24:25], v[26:27], v[22:23]
	s_delay_alu instid0(VALU_DEP_3)
	v_mul_f64_e32 v[22:23], v[28:29], v[22:23]
.LBB81_31:                              ;   in Loop: Header=BB81_15 Depth=1
	s_mov_b32 s13, 0
.LBB81_32:                              ;   in Loop: Header=BB81_15 Depth=1
	s_mov_b32 s25, 4
	s_branch .LBB81_21
.LBB81_33:                              ;   in Loop: Header=BB81_15 Depth=1
	s_cmp_eq_u32 s5, 0
	s_cbranch_scc1 .LBB81_35
; %bb.34:                               ;   in Loop: Header=BB81_15 Depth=1
	s_mov_b32 s13, -1
	s_branch .LBB81_37
.LBB81_35:                              ;   in Loop: Header=BB81_15 Depth=1
	s_cmp_le_i32 s24, s20
	s_mov_b32 s13, 0
	s_cbranch_scc0 .LBB81_37
; %bb.36:                               ;   in Loop: Header=BB81_15 Depth=1
	s_mov_b32 s0, -1
	s_mov_b32 s13, s1
.LBB81_37:                              ;   in Loop: Header=BB81_15 Depth=1
	v_mov_b64_e32 v[22:23], v[20:21]
	v_mov_b64_e32 v[24:25], v[18:19]
	s_mov_b32 s25, 2
	v_mov_b64_e32 v[28:29], v[4:5]
	v_mov_b64_e32 v[26:27], v[2:3]
	s_and_b32 vcc_lo, exec_lo, s13
	s_cbranch_vccz .LBB81_22
.LBB81_38:                              ;   in Loop: Header=BB81_15 Depth=1
	s_and_saveexec_b32 s13, s3
	s_cbranch_execz .LBB81_42
; %bb.39:                               ;   in Loop: Header=BB81_15 Depth=1
	s_add_co_i32 s0, s24, s7
	s_delay_alu instid0(SALU_CYCLE_1)
	v_mov_b32_e32 v13, s0
	global_load_b32 v13, v13, s[16:17] scale_offset scope:SCOPE_DEV
	s_wait_loadcnt 0x0
	v_cmp_ne_u32_e32 vcc_lo, 0, v13
	s_cbranch_vccnz .LBB81_42
; %bb.40:                               ;   in Loop: Header=BB81_15 Depth=1
	s_ashr_i32 s1, s0, 31
	s_delay_alu instid0(SALU_CYCLE_1) | instskip(NEXT) | instid1(SALU_CYCLE_1)
	s_lshl_b64 s[0:1], s[0:1], 2
	s_add_nc_u64 s[0:1], s[16:17], s[0:1]
.LBB81_41:                              ;   Parent Loop BB81_15 Depth=1
                                        ; =>  This Inner Loop Header: Depth=2
	global_load_b32 v13, v1, s[0:1] scope:SCOPE_DEV
	s_wait_loadcnt 0x0
	v_cmp_eq_u32_e32 vcc_lo, 0, v13
	s_cbranch_vccnz .LBB81_41
.LBB81_42:                              ;   in Loop: Header=BB81_15 Depth=1
	s_wait_xcnt 0x0
	s_or_b32 exec_lo, exec_lo, s13
	v_mov_b64_e32 v[28:29], 0
	v_mov_b64_e32 v[26:27], 0
	s_wait_storecnt 0x0
	s_barrier_signal -1
	s_barrier_wait -1
	global_inv scope:SCOPE_DEV
	s_and_saveexec_b32 s0, s2
	s_cbranch_execz .LBB81_44
; %bb.43:                               ;   in Loop: Header=BB81_15 Depth=1
	s_ashr_i32 s25, s24, 31
	s_delay_alu instid0(SALU_CYCLE_1) | instskip(NEXT) | instid1(SALU_CYCLE_1)
	s_mul_u64 s[24:25], s[10:11], s[24:25]
	v_lshl_add_u64 v[22:23], s[24:25], 4, v[10:11]
	global_load_b128 v[22:25], v[22:23], off
	s_wait_loadcnt 0x0
	v_fma_f64 v[26:27], -v[8:9], v[22:23], v[2:3]
	v_fma_f64 v[22:23], -v[6:7], v[22:23], v[4:5]
	s_delay_alu instid0(VALU_DEP_2) | instskip(NEXT) | instid1(VALU_DEP_2)
	v_fmac_f64_e32 v[26:27], v[6:7], v[24:25]
	v_fma_f64 v[28:29], -v[8:9], v[24:25], v[22:23]
.LBB81_44:                              ;   in Loop: Header=BB81_15 Depth=1
	s_or_b32 exec_lo, exec_lo, s0
	v_mov_b64_e32 v[22:23], v[20:21]
	v_mov_b64_e32 v[24:25], v[18:19]
	s_mov_b32 s25, 0
	s_branch .LBB81_23
.LBB81_45:                              ;   in Loop: Header=BB81_15 Depth=1
	s_and_not1_b32 vcc_lo, exec_lo, s21
	s_cbranch_vccnz .LBB81_47
; %bb.46:                               ;   in Loop: Header=BB81_15 Depth=1
	v_mul_f64_e32 v[18:19], v[6:7], v[6:7]
	s_delay_alu instid0(VALU_DEP_1) | instskip(NEXT) | instid1(VALU_DEP_1)
	v_fmac_f64_e32 v[18:19], v[8:9], v[8:9]
	v_div_scale_f64 v[20:21], null, v[18:19], v[18:19], 1.0
	v_div_scale_f64 v[26:27], vcc_lo, 1.0, v[18:19], 1.0
	s_delay_alu instid0(VALU_DEP_2) | instskip(SKIP_1) | instid1(TRANS32_DEP_1)
	v_rcp_f64_e32 v[22:23], v[20:21]
	v_nop
	v_fma_f64 v[24:25], -v[20:21], v[22:23], 1.0
	s_delay_alu instid0(VALU_DEP_1) | instskip(NEXT) | instid1(VALU_DEP_1)
	v_fmac_f64_e32 v[22:23], v[22:23], v[24:25]
	v_fma_f64 v[24:25], -v[20:21], v[22:23], 1.0
	s_delay_alu instid0(VALU_DEP_1) | instskip(NEXT) | instid1(VALU_DEP_1)
	v_fmac_f64_e32 v[22:23], v[22:23], v[24:25]
	v_mul_f64_e32 v[24:25], v[26:27], v[22:23]
	s_delay_alu instid0(VALU_DEP_1) | instskip(NEXT) | instid1(VALU_DEP_1)
	v_fma_f64 v[20:21], -v[20:21], v[24:25], v[26:27]
	v_div_fmas_f64 v[20:21], v[20:21], v[22:23], v[24:25]
	v_fma_f64 v[22:23], 0, v[6:7], v[8:9]
	v_fma_f64 v[6:7], v[8:9], 0, -v[6:7]
	s_delay_alu instid0(VALU_DEP_3) | instskip(NEXT) | instid1(VALU_DEP_1)
	v_div_fixup_f64 v[20:21], v[20:21], v[18:19], 1.0
	v_mul_f64_e32 v[18:19], v[22:23], v[20:21]
	s_delay_alu instid0(VALU_DEP_3)
	v_mul_f64_e32 v[20:21], v[6:7], v[20:21]
.LBB81_47:                              ;   in Loop: Header=BB81_15 Depth=1
	s_delay_alu instid0(VALU_DEP_2) | instskip(NEXT) | instid1(VALU_DEP_2)
	v_mov_b64_e32 v[24:25], v[18:19]
	v_mov_b64_e32 v[22:23], v[20:21]
	v_mov_b64_e32 v[26:27], v[2:3]
	v_mov_b64_e32 v[28:29], v[4:5]
	s_mov_b32 s25, 2
	s_mov_b32 s0, -1
	s_cmp_gt_i32 s25, 3
	s_mov_b32 s1, -1
	s_cbranch_scc1 .LBB81_24
.LBB81_48:                              ;   in Loop: Header=BB81_15 Depth=1
	s_cmp_eq_u32 s25, 0
	s_cselect_b32 s1, -1, 0
	s_delay_alu instid0(SALU_CYCLE_1)
	s_and_not1_b32 vcc_lo, exec_lo, s1
	s_cbranch_vccnz .LBB81_25
.LBB81_49:                              ;   in Loop: Header=BB81_15 Depth=1
	s_add_nc_u64 s[18:19], s[18:19], 1
	s_delay_alu instid0(SALU_CYCLE_1) | instskip(NEXT) | instid1(VALU_DEP_2)
	v_cmp_ge_i64_e64 s0, s[18:19], s[14:15]
	v_mov_b64_e32 v[4:5], v[28:29]
	s_delay_alu instid0(VALU_DEP_3)
	v_mov_b64_e32 v[2:3], v[26:27]
	s_and_not1_b32 vcc_lo, exec_lo, s0
	s_cbranch_vccz .LBB81_52
.LBB81_50:                              ;   in Loop: Header=BB81_15 Depth=1
	s_delay_alu instid0(VALU_DEP_4) | instskip(NEXT) | instid1(VALU_DEP_4)
	v_mov_b64_e32 v[20:21], v[22:23]
	v_mov_b64_e32 v[18:19], v[24:25]
	s_sub_co_i32 s0, s18, s12
	s_delay_alu instid0(SALU_CYCLE_1) | instskip(NEXT) | instid1(SALU_CYCLE_1)
	s_and_b32 s1, s0, 0x1ff
	s_cmp_lg_u32 s1, 0
	s_cbranch_scc1 .LBB81_15
	s_branch .LBB81_12
.LBB81_51:
	v_mov_b64_e32 v[24:25], 1.0
	v_mov_b64_e32 v[22:23], 0
.LBB81_52:
	s_cmp_lg_u32 s6, 0
	s_cbranch_scc0 .LBB81_58
; %bb.53:
	s_and_saveexec_b32 s0, s2
	s_cbranch_execz .LBB81_55
.LBB81_54:
	s_wait_loadcnt_dscnt 0x0
	v_lshl_add_u64 v[6:7], s[22:23], 4, v[10:11]
	global_store_b128 v[6:7], v[2:5], off
.LBB81_55:
	s_wait_xcnt 0x0
	s_or_b32 exec_lo, exec_lo, s0
	global_wb scope:SCOPE_DEV
	s_wait_storecnt 0x0
	s_wait_loadcnt_dscnt 0x0
	global_inv scope:SCOPE_DEV
	s_wait_loadcnt 0x0
	s_barrier_signal -1
	s_barrier_wait -1
	s_mov_b32 s0, exec_lo
	v_cmpx_eq_u32_e32 0, v0
	s_cbranch_execz .LBB81_57
; %bb.56:
	s_add_co_i32 s0, s20, s7
	s_delay_alu instid0(SALU_CYCLE_1)
	v_dual_mov_b32 v0, 1 :: v_dual_mov_b32 v1, s0
	global_store_b32 v1, v0, s[16:17] scale_offset scope:SCOPE_DEV
.LBB81_57:
	s_endpgm
.LBB81_58:
	s_wait_loadcnt_dscnt 0x0
	s_delay_alu instid0(VALU_DEP_1) | instskip(SKIP_1) | instid1(VALU_DEP_2)
	v_mul_f64_e64 v[6:7], v[22:23], -v[4:5]
	v_mul_f64_e32 v[8:9], v[22:23], v[2:3]
	v_fmac_f64_e32 v[6:7], v[2:3], v[24:25]
	s_delay_alu instid0(VALU_DEP_2) | instskip(NEXT) | instid1(VALU_DEP_2)
	v_fmac_f64_e32 v[8:9], v[4:5], v[24:25]
	v_mov_b64_e32 v[2:3], v[6:7]
	s_delay_alu instid0(VALU_DEP_2)
	v_mov_b64_e32 v[4:5], v[8:9]
	s_and_saveexec_b32 s0, s2
	s_cbranch_execnz .LBB81_54
	s_branch .LBB81_55
	.section	.rodata,"a",@progbits
	.p2align	6, 0x0
	.amdhsa_kernel _ZN9rocsparseL5csrsmILj512ELj64ELb0Eli21rocsparse_complex_numIdEEEv20rocsparse_operation_T3_S4_NS_24const_host_device_scalarIT4_EEPKT2_PKS4_PKS6_PS6_lPiSC_PS4_21rocsparse_index_base_20rocsparse_fill_mode_20rocsparse_diag_type_b
		.amdhsa_group_segment_fixed_size 10240
		.amdhsa_private_segment_fixed_size 16
		.amdhsa_kernarg_size 112
		.amdhsa_user_sgpr_count 2
		.amdhsa_user_sgpr_dispatch_ptr 0
		.amdhsa_user_sgpr_queue_ptr 0
		.amdhsa_user_sgpr_kernarg_segment_ptr 1
		.amdhsa_user_sgpr_dispatch_id 0
		.amdhsa_user_sgpr_kernarg_preload_length 0
		.amdhsa_user_sgpr_kernarg_preload_offset 0
		.amdhsa_user_sgpr_private_segment_size 0
		.amdhsa_wavefront_size32 1
		.amdhsa_uses_dynamic_stack 0
		.amdhsa_enable_private_segment 1
		.amdhsa_system_sgpr_workgroup_id_x 1
		.amdhsa_system_sgpr_workgroup_id_y 0
		.amdhsa_system_sgpr_workgroup_id_z 0
		.amdhsa_system_sgpr_workgroup_info 0
		.amdhsa_system_vgpr_workitem_id 0
		.amdhsa_next_free_vgpr 34
		.amdhsa_next_free_sgpr 28
		.amdhsa_named_barrier_count 0
		.amdhsa_reserve_vcc 1
		.amdhsa_float_round_mode_32 0
		.amdhsa_float_round_mode_16_64 0
		.amdhsa_float_denorm_mode_32 3
		.amdhsa_float_denorm_mode_16_64 3
		.amdhsa_fp16_overflow 0
		.amdhsa_memory_ordered 1
		.amdhsa_forward_progress 1
		.amdhsa_inst_pref_size 17
		.amdhsa_round_robin_scheduling 0
		.amdhsa_exception_fp_ieee_invalid_op 0
		.amdhsa_exception_fp_denorm_src 0
		.amdhsa_exception_fp_ieee_div_zero 0
		.amdhsa_exception_fp_ieee_overflow 0
		.amdhsa_exception_fp_ieee_underflow 0
		.amdhsa_exception_fp_ieee_inexact 0
		.amdhsa_exception_int_div_zero 0
	.end_amdhsa_kernel
	.section	.text._ZN9rocsparseL5csrsmILj512ELj64ELb0Eli21rocsparse_complex_numIdEEEv20rocsparse_operation_T3_S4_NS_24const_host_device_scalarIT4_EEPKT2_PKS4_PKS6_PS6_lPiSC_PS4_21rocsparse_index_base_20rocsparse_fill_mode_20rocsparse_diag_type_b,"axG",@progbits,_ZN9rocsparseL5csrsmILj512ELj64ELb0Eli21rocsparse_complex_numIdEEEv20rocsparse_operation_T3_S4_NS_24const_host_device_scalarIT4_EEPKT2_PKS4_PKS6_PS6_lPiSC_PS4_21rocsparse_index_base_20rocsparse_fill_mode_20rocsparse_diag_type_b,comdat
.Lfunc_end81:
	.size	_ZN9rocsparseL5csrsmILj512ELj64ELb0Eli21rocsparse_complex_numIdEEEv20rocsparse_operation_T3_S4_NS_24const_host_device_scalarIT4_EEPKT2_PKS4_PKS6_PS6_lPiSC_PS4_21rocsparse_index_base_20rocsparse_fill_mode_20rocsparse_diag_type_b, .Lfunc_end81-_ZN9rocsparseL5csrsmILj512ELj64ELb0Eli21rocsparse_complex_numIdEEEv20rocsparse_operation_T3_S4_NS_24const_host_device_scalarIT4_EEPKT2_PKS4_PKS6_PS6_lPiSC_PS4_21rocsparse_index_base_20rocsparse_fill_mode_20rocsparse_diag_type_b
                                        ; -- End function
	.set _ZN9rocsparseL5csrsmILj512ELj64ELb0Eli21rocsparse_complex_numIdEEEv20rocsparse_operation_T3_S4_NS_24const_host_device_scalarIT4_EEPKT2_PKS4_PKS6_PS6_lPiSC_PS4_21rocsparse_index_base_20rocsparse_fill_mode_20rocsparse_diag_type_b.num_vgpr, 34
	.set _ZN9rocsparseL5csrsmILj512ELj64ELb0Eli21rocsparse_complex_numIdEEEv20rocsparse_operation_T3_S4_NS_24const_host_device_scalarIT4_EEPKT2_PKS4_PKS6_PS6_lPiSC_PS4_21rocsparse_index_base_20rocsparse_fill_mode_20rocsparse_diag_type_b.num_agpr, 0
	.set _ZN9rocsparseL5csrsmILj512ELj64ELb0Eli21rocsparse_complex_numIdEEEv20rocsparse_operation_T3_S4_NS_24const_host_device_scalarIT4_EEPKT2_PKS4_PKS6_PS6_lPiSC_PS4_21rocsparse_index_base_20rocsparse_fill_mode_20rocsparse_diag_type_b.numbered_sgpr, 28
	.set _ZN9rocsparseL5csrsmILj512ELj64ELb0Eli21rocsparse_complex_numIdEEEv20rocsparse_operation_T3_S4_NS_24const_host_device_scalarIT4_EEPKT2_PKS4_PKS6_PS6_lPiSC_PS4_21rocsparse_index_base_20rocsparse_fill_mode_20rocsparse_diag_type_b.num_named_barrier, 0
	.set _ZN9rocsparseL5csrsmILj512ELj64ELb0Eli21rocsparse_complex_numIdEEEv20rocsparse_operation_T3_S4_NS_24const_host_device_scalarIT4_EEPKT2_PKS4_PKS6_PS6_lPiSC_PS4_21rocsparse_index_base_20rocsparse_fill_mode_20rocsparse_diag_type_b.private_seg_size, 16
	.set _ZN9rocsparseL5csrsmILj512ELj64ELb0Eli21rocsparse_complex_numIdEEEv20rocsparse_operation_T3_S4_NS_24const_host_device_scalarIT4_EEPKT2_PKS4_PKS6_PS6_lPiSC_PS4_21rocsparse_index_base_20rocsparse_fill_mode_20rocsparse_diag_type_b.uses_vcc, 1
	.set _ZN9rocsparseL5csrsmILj512ELj64ELb0Eli21rocsparse_complex_numIdEEEv20rocsparse_operation_T3_S4_NS_24const_host_device_scalarIT4_EEPKT2_PKS4_PKS6_PS6_lPiSC_PS4_21rocsparse_index_base_20rocsparse_fill_mode_20rocsparse_diag_type_b.uses_flat_scratch, 0
	.set _ZN9rocsparseL5csrsmILj512ELj64ELb0Eli21rocsparse_complex_numIdEEEv20rocsparse_operation_T3_S4_NS_24const_host_device_scalarIT4_EEPKT2_PKS4_PKS6_PS6_lPiSC_PS4_21rocsparse_index_base_20rocsparse_fill_mode_20rocsparse_diag_type_b.has_dyn_sized_stack, 0
	.set _ZN9rocsparseL5csrsmILj512ELj64ELb0Eli21rocsparse_complex_numIdEEEv20rocsparse_operation_T3_S4_NS_24const_host_device_scalarIT4_EEPKT2_PKS4_PKS6_PS6_lPiSC_PS4_21rocsparse_index_base_20rocsparse_fill_mode_20rocsparse_diag_type_b.has_recursion, 0
	.set _ZN9rocsparseL5csrsmILj512ELj64ELb0Eli21rocsparse_complex_numIdEEEv20rocsparse_operation_T3_S4_NS_24const_host_device_scalarIT4_EEPKT2_PKS4_PKS6_PS6_lPiSC_PS4_21rocsparse_index_base_20rocsparse_fill_mode_20rocsparse_diag_type_b.has_indirect_call, 0
	.section	.AMDGPU.csdata,"",@progbits
; Kernel info:
; codeLenInByte = 2152
; TotalNumSgprs: 30
; NumVgprs: 34
; ScratchSize: 16
; MemoryBound: 1
; FloatMode: 240
; IeeeMode: 1
; LDSByteSize: 10240 bytes/workgroup (compile time only)
; SGPRBlocks: 0
; VGPRBlocks: 2
; NumSGPRsForWavesPerEU: 30
; NumVGPRsForWavesPerEU: 34
; NamedBarCnt: 0
; Occupancy: 16
; WaveLimiterHint : 1
; COMPUTE_PGM_RSRC2:SCRATCH_EN: 1
; COMPUTE_PGM_RSRC2:USER_SGPR: 2
; COMPUTE_PGM_RSRC2:TRAP_HANDLER: 0
; COMPUTE_PGM_RSRC2:TGID_X_EN: 1
; COMPUTE_PGM_RSRC2:TGID_Y_EN: 0
; COMPUTE_PGM_RSRC2:TGID_Z_EN: 0
; COMPUTE_PGM_RSRC2:TIDIG_COMP_CNT: 0
	.section	.text._ZN9rocsparseL5csrsmILj1024ELj64ELb1Eli21rocsparse_complex_numIdEEEv20rocsparse_operation_T3_S4_NS_24const_host_device_scalarIT4_EEPKT2_PKS4_PKS6_PS6_lPiSC_PS4_21rocsparse_index_base_20rocsparse_fill_mode_20rocsparse_diag_type_b,"axG",@progbits,_ZN9rocsparseL5csrsmILj1024ELj64ELb1Eli21rocsparse_complex_numIdEEEv20rocsparse_operation_T3_S4_NS_24const_host_device_scalarIT4_EEPKT2_PKS4_PKS6_PS6_lPiSC_PS4_21rocsparse_index_base_20rocsparse_fill_mode_20rocsparse_diag_type_b,comdat
	.globl	_ZN9rocsparseL5csrsmILj1024ELj64ELb1Eli21rocsparse_complex_numIdEEEv20rocsparse_operation_T3_S4_NS_24const_host_device_scalarIT4_EEPKT2_PKS4_PKS6_PS6_lPiSC_PS4_21rocsparse_index_base_20rocsparse_fill_mode_20rocsparse_diag_type_b ; -- Begin function _ZN9rocsparseL5csrsmILj1024ELj64ELb1Eli21rocsparse_complex_numIdEEEv20rocsparse_operation_T3_S4_NS_24const_host_device_scalarIT4_EEPKT2_PKS4_PKS6_PS6_lPiSC_PS4_21rocsparse_index_base_20rocsparse_fill_mode_20rocsparse_diag_type_b
	.p2align	8
	.type	_ZN9rocsparseL5csrsmILj1024ELj64ELb1Eli21rocsparse_complex_numIdEEEv20rocsparse_operation_T3_S4_NS_24const_host_device_scalarIT4_EEPKT2_PKS4_PKS6_PS6_lPiSC_PS4_21rocsparse_index_base_20rocsparse_fill_mode_20rocsparse_diag_type_b,@function
_ZN9rocsparseL5csrsmILj1024ELj64ELb1Eli21rocsparse_complex_numIdEEEv20rocsparse_operation_T3_S4_NS_24const_host_device_scalarIT4_EEPKT2_PKS4_PKS6_PS6_lPiSC_PS4_21rocsparse_index_base_20rocsparse_fill_mode_20rocsparse_diag_type_b: ; @_ZN9rocsparseL5csrsmILj1024ELj64ELb1Eli21rocsparse_complex_numIdEEEv20rocsparse_operation_T3_S4_NS_24const_host_device_scalarIT4_EEPKT2_PKS4_PKS6_PS6_lPiSC_PS4_21rocsparse_index_base_20rocsparse_fill_mode_20rocsparse_diag_type_b
; %bb.0:
	s_clause 0x1
	s_load_b128 s[4:7], s[0:1], 0x60
	s_load_b128 s[8:11], s[0:1], 0x10
	v_mbcnt_lo_u32_b32 v1, -1, 0
	s_clause 0x1
	s_load_b64 s[2:3], s[0:1], 0x20
	s_load_b64 s[12:13], s[0:1], 0x50
	s_delay_alu instid0(VALU_DEP_1) | instskip(NEXT) | instid1(VALU_DEP_1)
	v_dual_mov_b32 v2, 0 :: v_dual_lshlrev_b32 v3, 20, v1
	v_add_nc_u64_e32 v[2:3], src_flat_scratch_base_lo, v[2:3]
	s_wait_kmcnt 0x0
	s_bitcmp1_b32 s7, 0
	v_mov_b64_e32 v[4:5], s[8:9]
	s_cselect_b32 vcc_lo, -1, 0
	v_mov_b64_e32 v[8:9], s[10:11]
	s_delay_alu instid0(VALU_DEP_3)
	v_cndmask_b32_e32 v3, s9, v3, vcc_lo
	v_cndmask_b32_e32 v2, s8, v2, vcc_lo
	s_and_b32 vcc_lo, exec_lo, vcc_lo
	scratch_store_b64 off, v[4:5], off
	flat_load_b64 v[6:7], v[2:3]
	s_cbranch_vccnz .LBB82_2
; %bb.1:
	v_mov_b32_e32 v1, 0
	flat_load_b64 v[8:9], v1, s[8:9] offset:8
.LBB82_2:
	s_load_b96 s[16:18], s[0:1], 0x0
	s_bfe_u32 s9, ttmp6, 0x4000c
	s_and_b32 s8, ttmp6, 15
	s_add_co_i32 s9, s9, 1
	s_getreg_b32 s10, hwreg(HW_REG_IB_STS2, 6, 4)
	s_mul_i32 s9, ttmp9, s9
	s_delay_alu instid0(SALU_CYCLE_1) | instskip(SKIP_3) | instid1(SALU_CYCLE_2)
	s_add_co_i32 s8, s8, s9
	s_wait_kmcnt 0x0
	s_cvt_f32_u32 s7, s17
	s_sub_co_i32 s11, 0, s17
	v_rcp_iflag_f32_e32 v1, s7
	v_nop
	s_delay_alu instid0(TRANS32_DEP_1) | instskip(SKIP_1) | instid1(SALU_CYCLE_3)
	v_readfirstlane_b32 s7, v1
	s_mul_f32 s7, s7, 0x4f7ffffe
	s_cvt_u32_f32 s7, s7
	s_delay_alu instid0(SALU_CYCLE_3) | instskip(NEXT) | instid1(SALU_CYCLE_1)
	s_mul_i32 s11, s11, s7
	s_mul_hi_u32 s11, s7, s11
	s_delay_alu instid0(SALU_CYCLE_1) | instskip(SKIP_2) | instid1(SALU_CYCLE_1)
	s_add_co_i32 s7, s7, s11
	s_cmp_eq_u32 s10, 0
	s_cselect_b32 s8, ttmp9, s8
	s_mul_hi_u32 s7, s8, s7
	s_delay_alu instid0(SALU_CYCLE_1) | instskip(SKIP_2) | instid1(SALU_CYCLE_1)
	s_mul_i32 s9, s7, s17
	s_add_co_i32 s10, s7, 1
	s_sub_co_i32 s9, s8, s9
	s_sub_co_i32 s11, s9, s17
	s_cmp_ge_u32 s9, s17
	s_cselect_b32 s7, s10, s7
	s_cselect_b32 s9, s11, s9
	s_add_co_i32 s10, s7, 1
	s_cmp_ge_u32 s9, s17
	s_cselect_b32 s14, s10, s7
	s_delay_alu instid0(SALU_CYCLE_1) | instskip(SKIP_2) | instid1(SALU_CYCLE_1)
	s_mul_i32 s7, s14, s17
	v_lshl_or_b32 v12, s14, 10, v0
	s_sub_co_i32 s8, s8, s7
	s_ashr_i32 s9, s8, 31
	s_delay_alu instid0(VALU_DEP_1) | instskip(SKIP_1) | instid1(SALU_CYCLE_1)
	v_ashrrev_i32_e32 v13, 31, v12
	s_lshl_b64 s[8:9], s[8:9], 2
	s_add_nc_u64 s[12:13], s[12:13], s[8:9]
	s_load_b32 s20, s[12:13], 0x0
	s_load_b128 s[8:11], s[0:1], 0x38
	s_wait_kmcnt 0x0
	s_ashr_i32 s21, s20, 31
	v_mad_nc_u64_u32 v[10:11], s10, s20, v[12:13]
	s_lshl_b64 s[12:13], s[20:21], 3
	s_cmp_lg_u32 s16, 0x71
	s_add_nc_u64 s[2:3], s[2:3], s[12:13]
	s_load_b128 s[12:15], s[2:3], 0x0
	s_wait_xcnt 0x0
	s_mul_i32 s2, s10, s21
	s_mul_i32 s3, s11, s20
	s_delay_alu instid0(VALU_DEP_1) | instid1(SALU_CYCLE_1)
	v_add3_u32 v11, s2, s3, v11
	v_cmp_gt_i32_e64 s2, s18, v12
	s_cbranch_scc0 .LBB82_49
; %bb.3:
	v_mov_b64_e32 v[4:5], 0
	v_mov_b64_e32 v[2:3], 0
	s_and_saveexec_b32 s3, s2
	s_cbranch_execz .LBB82_5
; %bb.4:
	v_lshl_add_u64 v[2:3], v[10:11], 4, s[8:9]
	global_load_b128 v[14:17], v[2:3], off
	s_wait_loadcnt_dscnt 0x0
	v_mul_f64_e64 v[2:3], v[16:17], -v[8:9]
	v_mul_f64_e32 v[4:5], v[6:7], v[16:17]
	s_delay_alu instid0(VALU_DEP_2) | instskip(NEXT) | instid1(VALU_DEP_2)
	v_fmac_f64_e32 v[2:3], v[6:7], v[14:15]
	v_fmac_f64_e32 v[4:5], v[8:9], v[14:15]
.LBB82_5:
	s_or_b32 exec_lo, exec_lo, s3
	s_load_b64 s[16:17], s[0:1], 0x48
	s_cbranch_execz .LBB82_50
; %bb.6:
	s_wait_kmcnt 0x0
	v_cmp_ge_i64_e64 s3, s[12:13], s[14:15]
	s_and_b32 vcc_lo, exec_lo, s3
	v_cmp_eq_u32_e64 s3, 0, v0
	s_cbranch_vccnz .LBB82_53
.LBB82_7:
	s_clause 0x1
	s_load_b128 s[24:27], s[0:1], 0x28
	s_load_b64 s[18:19], s[0:1], 0x58
	s_wait_loadcnt_dscnt 0x0
	v_dual_mov_b32 v1, 0 :: v_dual_lshlrev_b32 v6, 2, v0
	v_lshlrev_b32_e32 v14, 4, v0
	v_mov_b64_e32 v[20:21], 1.0
	v_mov_b64_e32 v[22:23], 0
	s_delay_alu instid0(VALU_DEP_4)
	v_dual_mov_b32 v7, v1 :: v_dual_mov_b32 v15, v1
	s_wait_xcnt 0x0
	s_mov_b32 s1, 0
	s_mov_b32 s0, s4
	v_lshl_add_u64 v[12:13], v[12:13], 4, s[8:9]
	v_or_b32_e32 v32, 0x4000, v6
	s_cmp_eq_u32 s6, 0
	s_sub_nc_u64 s[12:13], s[12:13], s[0:1]
	s_cselect_b32 s21, -1, 0
	s_sub_nc_u64 s[14:15], s[14:15], s[0:1]
	s_mov_b64 s[22:23], s[12:13]
	s_wait_kmcnt 0x0
	v_add_nc_u64_e32 v[16:17], s[24:25], v[6:7]
	v_add_nc_u64_e32 v[18:19], s[26:27], v[14:15]
	s_add_co_i32 s26, s20, s4
	s_sub_co_i32 s0, s22, s12
	s_delay_alu instid0(SALU_CYCLE_1) | instskip(NEXT) | instid1(SALU_CYCLE_1)
	s_and_b32 s1, s0, 0x3ff
	s_cmp_lg_u32 s1, 0
	s_cbranch_scc1 .LBB82_11
.LBB82_8:
	v_mov_b64_e32 v[6:7], -1.0
	v_mov_b64_e32 v[8:9], 0
	v_mov_b32_e32 v15, -1
	s_sub_nc_u64 s[24:25], s[14:15], s[22:23]
	s_mov_b32 s0, exec_lo
	v_cmpx_gt_i64_e64 s[24:25], v[0:1]
	s_cbranch_execz .LBB82_10
; %bb.9:
	v_lshl_add_u64 v[6:7], s[22:23], 2, v[16:17]
	global_load_b32 v15, v[6:7], off
	s_wait_xcnt 0x0
	v_lshl_add_u64 v[6:7], s[22:23], 4, v[18:19]
	global_load_b128 v[6:9], v[6:7], off
	s_wait_loadcnt 0x1
	v_subrev_nc_u32_e32 v15, s4, v15
.LBB82_10:
	s_wait_xcnt 0x0
	s_or_b32 exec_lo, exec_lo, s0
	ds_store_b32 v32, v15
	s_wait_loadcnt 0x0
	ds_store_b128 v14, v[6:9]
.LBB82_11:                              ; =>This Loop Header: Depth=1
                                        ;     Child Loop BB82_47 Depth 2
                                        ;       Child Loop BB82_48 Depth 3
	s_lshl_b32 s0, s1, 4
	s_wait_storecnt_dscnt 0x0
	v_mov_b32_e32 v6, s0
	s_barrier_signal -1
	s_barrier_wait -1
	s_lshl_b32 s1, s1, 2
	ds_load_b128 v[24:27], v6
	v_mov_b32_e32 v6, s1
	ds_load_b32 v6, v6 offset:16384
	s_wait_dscnt 0x1
	v_cmp_eq_f64_e32 vcc_lo, 0, v[24:25]
	v_cmp_eq_f64_e64 s0, 0, v[26:27]
	s_wait_dscnt 0x0
	v_readfirstlane_b32 s24, v6
	s_and_b32 s0, vcc_lo, s0
	s_cmp_eq_u32 s24, s20
	s_cselect_b32 s25, -1, 0
	s_cmp_lg_u32 s24, s20
	s_cselect_b32 s1, -1, 0
	s_and_b32 s0, s0, s25
	s_delay_alu instid0(SALU_CYCLE_1) | instskip(NEXT) | instid1(SALU_CYCLE_1)
	s_and_b32 s0, s21, s0
	v_cndmask_b32_e64 v7, v27, 0, s0
	v_cndmask_b32_e64 v6, v26, 0, s0
	;; [unrolled: 1-line block ×4, first 2 shown]
	s_and_b32 s13, s3, s0
	s_delay_alu instid0(SALU_CYCLE_1)
	s_and_saveexec_b32 s0, s13
	s_cbranch_execz .LBB82_15
; %bb.12:                               ;   in Loop: Header=BB82_11 Depth=1
	v_mbcnt_lo_u32_b32 v6, exec_lo, 0
	s_mov_b32 s13, exec_lo
	s_delay_alu instid0(VALU_DEP_1)
	v_cmpx_eq_u32_e32 0, v6
	s_cbranch_execz .LBB82_14
; %bb.13:                               ;   in Loop: Header=BB82_11 Depth=1
	v_mov_b32_e32 v6, s26
	global_atomic_min_i32 v1, v6, s[18:19] scope:SCOPE_DEV
.LBB82_14:                              ;   in Loop: Header=BB82_11 Depth=1
	s_wait_xcnt 0x0
	s_or_b32 exec_lo, exec_lo, s13
	v_mov_b64_e32 v[8:9], 1.0
	v_mov_b64_e32 v[6:7], 0
.LBB82_15:                              ;   in Loop: Header=BB82_11 Depth=1
	s_or_b32 exec_lo, exec_lo, s0
	s_mov_b32 s27, -1
	s_mov_b32 s0, 0
	s_cmp_lt_i32 s5, 1
	s_mov_b32 s13, 0
                                        ; implicit-def: $vgpr24_vgpr25
                                        ; implicit-def: $vgpr26_vgpr27
	s_cbranch_scc0 .LBB82_22
; %bb.16:                               ;   in Loop: Header=BB82_11 Depth=1
	s_and_b32 vcc_lo, exec_lo, s27
	s_mov_b32 s25, 4
	s_cbranch_vccnz .LBB82_29
.LBB82_17:                              ;   in Loop: Header=BB82_11 Depth=1
	v_mov_b64_e32 v[30:31], v[4:5]
	v_mov_b64_e32 v[28:29], v[2:3]
	s_and_b32 vcc_lo, exec_lo, s13
	s_cbranch_vccnz .LBB82_34
.LBB82_18:                              ;   in Loop: Header=BB82_11 Depth=1
	s_and_b32 vcc_lo, exec_lo, s0
	s_cbranch_vccnz .LBB82_39
.LBB82_19:                              ;   in Loop: Header=BB82_11 Depth=1
	s_mov_b32 s0, -1
	s_cmp_gt_i32 s25, 3
	s_mov_b32 s1, -1
	s_cbranch_scc0 .LBB82_42
.LBB82_20:                              ;   in Loop: Header=BB82_11 Depth=1
	s_and_not1_b32 vcc_lo, exec_lo, s1
	s_cbranch_vccz .LBB82_43
.LBB82_21:                              ;   in Loop: Header=BB82_11 Depth=1
	s_delay_alu instid0(VALU_DEP_1) | instskip(NEXT) | instid1(VALU_DEP_2)
	v_mov_b64_e32 v[4:5], v[30:31]
	v_mov_b64_e32 v[2:3], v[28:29]
	s_and_not1_b32 vcc_lo, exec_lo, s0
	s_cbranch_vccnz .LBB82_44
	s_branch .LBB82_54
.LBB82_22:                              ;   in Loop: Header=BB82_11 Depth=1
	s_cmp_eq_u32 s5, 1
	s_mov_b32 s13, -1
                                        ; implicit-def: $vgpr24_vgpr25
                                        ; implicit-def: $vgpr26_vgpr27
	s_cbranch_scc0 .LBB82_28
; %bb.23:                               ;   in Loop: Header=BB82_11 Depth=1
	v_mov_b64_e32 v[24:25], v[22:23]
	v_mov_b64_e32 v[26:27], v[20:21]
	s_cmp_ge_i32 s24, s20
	s_mov_b32 s13, 0
	s_cbranch_scc0 .LBB82_28
; %bb.24:                               ;   in Loop: Header=BB82_11 Depth=1
	s_and_b32 vcc_lo, exec_lo, s25
	s_mov_b32 s13, -1
                                        ; implicit-def: $vgpr24_vgpr25
                                        ; implicit-def: $vgpr26_vgpr27
	s_cbranch_vccz .LBB82_28
; %bb.25:                               ;   in Loop: Header=BB82_11 Depth=1
	v_mov_b64_e32 v[24:25], v[22:23]
	v_mov_b64_e32 v[26:27], v[20:21]
	s_and_not1_b32 vcc_lo, exec_lo, s21
	s_cbranch_vccnz .LBB82_27
; %bb.26:                               ;   in Loop: Header=BB82_11 Depth=1
	v_mul_f64_e32 v[24:25], v[6:7], v[6:7]
	s_delay_alu instid0(VALU_DEP_1) | instskip(NEXT) | instid1(VALU_DEP_1)
	v_fmac_f64_e32 v[24:25], v[8:9], v[8:9]
	v_div_scale_f64 v[26:27], null, v[24:25], v[24:25], 1.0
	v_div_scale_f64 v[34:35], vcc_lo, 1.0, v[24:25], 1.0
	s_delay_alu instid0(VALU_DEP_2) | instskip(SKIP_1) | instid1(TRANS32_DEP_1)
	v_rcp_f64_e32 v[28:29], v[26:27]
	v_nop
	v_fma_f64 v[30:31], -v[26:27], v[28:29], 1.0
	s_delay_alu instid0(VALU_DEP_1) | instskip(NEXT) | instid1(VALU_DEP_1)
	v_fmac_f64_e32 v[28:29], v[28:29], v[30:31]
	v_fma_f64 v[30:31], -v[26:27], v[28:29], 1.0
	s_delay_alu instid0(VALU_DEP_1) | instskip(NEXT) | instid1(VALU_DEP_1)
	v_fmac_f64_e32 v[28:29], v[28:29], v[30:31]
	v_mul_f64_e32 v[30:31], v[34:35], v[28:29]
	s_delay_alu instid0(VALU_DEP_1) | instskip(NEXT) | instid1(VALU_DEP_1)
	v_fma_f64 v[26:27], -v[26:27], v[30:31], v[34:35]
	v_div_fmas_f64 v[26:27], v[26:27], v[28:29], v[30:31]
	v_fma_f64 v[28:29], 0, v[6:7], v[8:9]
	v_fma_f64 v[30:31], v[8:9], 0, -v[6:7]
	s_delay_alu instid0(VALU_DEP_3) | instskip(NEXT) | instid1(VALU_DEP_1)
	v_div_fixup_f64 v[24:25], v[26:27], v[24:25], 1.0
	v_mul_f64_e32 v[26:27], v[28:29], v[24:25]
	s_delay_alu instid0(VALU_DEP_3)
	v_mul_f64_e32 v[24:25], v[30:31], v[24:25]
.LBB82_27:                              ;   in Loop: Header=BB82_11 Depth=1
	s_mov_b32 s13, 0
.LBB82_28:                              ;   in Loop: Header=BB82_11 Depth=1
	s_mov_b32 s25, 4
	s_branch .LBB82_17
.LBB82_29:                              ;   in Loop: Header=BB82_11 Depth=1
	s_cmp_eq_u32 s5, 0
	s_cbranch_scc1 .LBB82_31
; %bb.30:                               ;   in Loop: Header=BB82_11 Depth=1
	s_mov_b32 s13, -1
	s_branch .LBB82_33
.LBB82_31:                              ;   in Loop: Header=BB82_11 Depth=1
	s_cmp_le_i32 s24, s20
	s_mov_b32 s13, 0
	s_cbranch_scc0 .LBB82_33
; %bb.32:                               ;   in Loop: Header=BB82_11 Depth=1
	s_mov_b32 s0, -1
	s_mov_b32 s13, s1
.LBB82_33:                              ;   in Loop: Header=BB82_11 Depth=1
	v_mov_b64_e32 v[24:25], v[22:23]
	v_mov_b64_e32 v[26:27], v[20:21]
	s_mov_b32 s25, 2
	v_mov_b64_e32 v[30:31], v[4:5]
	v_mov_b64_e32 v[28:29], v[2:3]
	s_and_b32 vcc_lo, exec_lo, s13
	s_cbranch_vccz .LBB82_18
.LBB82_34:                              ;   in Loop: Header=BB82_11 Depth=1
	s_and_saveexec_b32 s13, s3
	s_cbranch_execz .LBB82_36
; %bb.35:                               ;   in Loop: Header=BB82_11 Depth=1
	s_add_co_i32 s0, s24, s7
	s_delay_alu instid0(SALU_CYCLE_1)
	v_mov_b32_e32 v15, s0
	global_load_b32 v15, v15, s[16:17] scale_offset scope:SCOPE_DEV
	s_wait_loadcnt 0x0
	v_cmp_ne_u32_e32 vcc_lo, 0, v15
	s_cbranch_vccz .LBB82_45
.LBB82_36:                              ;   in Loop: Header=BB82_11 Depth=1
	s_wait_xcnt 0x0
	s_or_b32 exec_lo, exec_lo, s13
	v_mov_b64_e32 v[30:31], 0
	v_mov_b64_e32 v[28:29], 0
	s_wait_storecnt 0x0
	s_barrier_signal -1
	s_barrier_wait -1
	global_inv scope:SCOPE_DEV
	s_and_saveexec_b32 s0, s2
	s_cbranch_execz .LBB82_38
; %bb.37:                               ;   in Loop: Header=BB82_11 Depth=1
	s_ashr_i32 s25, s24, 31
	s_delay_alu instid0(SALU_CYCLE_1) | instskip(NEXT) | instid1(SALU_CYCLE_1)
	s_mul_u64 s[24:25], s[10:11], s[24:25]
	v_lshl_add_u64 v[24:25], s[24:25], 4, v[12:13]
	global_load_b128 v[24:27], v[24:25], off
	s_wait_loadcnt 0x0
	v_fma_f64 v[28:29], -v[8:9], v[24:25], v[2:3]
	v_fma_f64 v[24:25], -v[6:7], v[24:25], v[4:5]
	s_delay_alu instid0(VALU_DEP_2) | instskip(NEXT) | instid1(VALU_DEP_2)
	v_fmac_f64_e32 v[28:29], v[6:7], v[26:27]
	v_fma_f64 v[30:31], -v[8:9], v[26:27], v[24:25]
.LBB82_38:                              ;   in Loop: Header=BB82_11 Depth=1
	s_or_b32 exec_lo, exec_lo, s0
	v_mov_b64_e32 v[24:25], v[22:23]
	v_mov_b64_e32 v[26:27], v[20:21]
	s_mov_b32 s25, 0
	s_branch .LBB82_19
.LBB82_39:                              ;   in Loop: Header=BB82_11 Depth=1
	s_and_not1_b32 vcc_lo, exec_lo, s21
	s_cbranch_vccnz .LBB82_41
; %bb.40:                               ;   in Loop: Header=BB82_11 Depth=1
	v_mul_f64_e32 v[20:21], v[6:7], v[6:7]
	s_delay_alu instid0(VALU_DEP_1) | instskip(NEXT) | instid1(VALU_DEP_1)
	v_fmac_f64_e32 v[20:21], v[8:9], v[8:9]
	v_div_scale_f64 v[22:23], null, v[20:21], v[20:21], 1.0
	v_div_scale_f64 v[28:29], vcc_lo, 1.0, v[20:21], 1.0
	s_delay_alu instid0(VALU_DEP_2) | instskip(SKIP_1) | instid1(TRANS32_DEP_1)
	v_rcp_f64_e32 v[24:25], v[22:23]
	v_nop
	v_fma_f64 v[26:27], -v[22:23], v[24:25], 1.0
	s_delay_alu instid0(VALU_DEP_1) | instskip(NEXT) | instid1(VALU_DEP_1)
	v_fmac_f64_e32 v[24:25], v[24:25], v[26:27]
	v_fma_f64 v[26:27], -v[22:23], v[24:25], 1.0
	s_delay_alu instid0(VALU_DEP_1) | instskip(NEXT) | instid1(VALU_DEP_1)
	v_fmac_f64_e32 v[24:25], v[24:25], v[26:27]
	v_mul_f64_e32 v[26:27], v[28:29], v[24:25]
	s_delay_alu instid0(VALU_DEP_1) | instskip(NEXT) | instid1(VALU_DEP_1)
	v_fma_f64 v[22:23], -v[22:23], v[26:27], v[28:29]
	v_div_fmas_f64 v[22:23], v[22:23], v[24:25], v[26:27]
	v_fma_f64 v[24:25], 0, v[6:7], v[8:9]
	v_fma_f64 v[6:7], v[8:9], 0, -v[6:7]
	s_delay_alu instid0(VALU_DEP_3) | instskip(NEXT) | instid1(VALU_DEP_1)
	v_div_fixup_f64 v[22:23], v[22:23], v[20:21], 1.0
	v_mul_f64_e32 v[20:21], v[24:25], v[22:23]
	s_delay_alu instid0(VALU_DEP_3)
	v_mul_f64_e32 v[22:23], v[6:7], v[22:23]
.LBB82_41:                              ;   in Loop: Header=BB82_11 Depth=1
	s_delay_alu instid0(VALU_DEP_2) | instskip(NEXT) | instid1(VALU_DEP_2)
	v_mov_b64_e32 v[26:27], v[20:21]
	v_mov_b64_e32 v[24:25], v[22:23]
	;; [unrolled: 1-line block ×4, first 2 shown]
	s_mov_b32 s25, 2
	s_mov_b32 s0, -1
	s_cmp_gt_i32 s25, 3
	s_mov_b32 s1, -1
	s_cbranch_scc1 .LBB82_20
.LBB82_42:                              ;   in Loop: Header=BB82_11 Depth=1
	s_cmp_eq_u32 s25, 0
	s_cselect_b32 s1, -1, 0
	s_delay_alu instid0(SALU_CYCLE_1)
	s_and_not1_b32 vcc_lo, exec_lo, s1
	s_cbranch_vccnz .LBB82_21
.LBB82_43:                              ;   in Loop: Header=BB82_11 Depth=1
	s_add_nc_u64 s[22:23], s[22:23], 1
	s_delay_alu instid0(SALU_CYCLE_1) | instskip(NEXT) | instid1(VALU_DEP_2)
	v_cmp_ge_i64_e64 s0, s[22:23], s[14:15]
	v_mov_b64_e32 v[4:5], v[30:31]
	s_delay_alu instid0(VALU_DEP_3)
	v_mov_b64_e32 v[2:3], v[28:29]
	s_and_not1_b32 vcc_lo, exec_lo, s0
	s_cbranch_vccz .LBB82_54
.LBB82_44:                              ;   in Loop: Header=BB82_11 Depth=1
	s_delay_alu instid0(VALU_DEP_4) | instskip(NEXT) | instid1(VALU_DEP_4)
	v_mov_b64_e32 v[22:23], v[24:25]
	v_mov_b64_e32 v[20:21], v[26:27]
	s_sub_co_i32 s0, s22, s12
	s_delay_alu instid0(SALU_CYCLE_1) | instskip(NEXT) | instid1(SALU_CYCLE_1)
	s_and_b32 s1, s0, 0x3ff
	s_cmp_lg_u32 s1, 0
	s_cbranch_scc1 .LBB82_11
	s_branch .LBB82_8
.LBB82_45:                              ;   in Loop: Header=BB82_11 Depth=1
	s_ashr_i32 s1, s0, 31
	s_mov_b32 s25, 0
	s_lshl_b64 s[0:1], s[0:1], 2
	s_delay_alu instid0(SALU_CYCLE_1)
	s_add_nc_u64 s[0:1], s[16:17], s[0:1]
	s_branch .LBB82_47
.LBB82_46:                              ;   in Loop: Header=BB82_47 Depth=2
	global_load_b32 v15, v1, s[0:1] scope:SCOPE_DEV
	s_cmp_lt_u32 s25, 0xf43
	s_cselect_b32 s27, -1, 0
	s_delay_alu instid0(SALU_CYCLE_1)
	s_cmp_lg_u32 s27, 0
	s_add_co_ci_u32 s25, s25, 0
	s_wait_loadcnt 0x0
	v_cmp_ne_u32_e32 vcc_lo, 0, v15
	s_cbranch_vccnz .LBB82_36
.LBB82_47:                              ;   Parent Loop BB82_11 Depth=1
                                        ; =>  This Loop Header: Depth=2
                                        ;       Child Loop BB82_48 Depth 3
	s_cmp_eq_u32 s25, 0
	s_mov_b32 s27, s25
	s_cbranch_scc1 .LBB82_46
.LBB82_48:                              ;   Parent Loop BB82_11 Depth=1
                                        ;     Parent Loop BB82_47 Depth=2
                                        ; =>    This Inner Loop Header: Depth=3
	s_add_co_i32 s27, s27, -1
	s_sleep 1
	s_cmp_eq_u32 s27, 0
	s_cbranch_scc0 .LBB82_48
	s_branch .LBB82_46
.LBB82_49:
                                        ; implicit-def: $vgpr4_vgpr5
	s_load_b64 s[16:17], s[0:1], 0x48
.LBB82_50:
	v_mov_b64_e32 v[4:5], 0
	v_mov_b64_e32 v[2:3], 0
	s_and_saveexec_b32 s3, s2
	s_cbranch_execz .LBB82_52
; %bb.51:
	v_lshl_add_u64 v[2:3], v[10:11], 4, s[8:9]
	global_load_b128 v[14:17], v[2:3], off
	s_wait_loadcnt_dscnt 0x0
	v_mul_f64_e32 v[2:3], v[8:9], v[16:17]
	v_mul_f64_e64 v[4:5], v[6:7], -v[16:17]
	s_delay_alu instid0(VALU_DEP_2) | instskip(NEXT) | instid1(VALU_DEP_2)
	v_fmac_f64_e32 v[2:3], v[6:7], v[14:15]
	v_fmac_f64_e32 v[4:5], v[8:9], v[14:15]
.LBB82_52:
	s_or_b32 exec_lo, exec_lo, s3
	s_wait_kmcnt 0x0
	v_cmp_ge_i64_e64 s3, s[12:13], s[14:15]
	s_and_b32 vcc_lo, exec_lo, s3
	v_cmp_eq_u32_e64 s3, 0, v0
	s_cbranch_vccz .LBB82_7
.LBB82_53:
	v_mov_b64_e32 v[26:27], 1.0
	v_mov_b64_e32 v[24:25], 0
.LBB82_54:
	s_cmp_lg_u32 s6, 0
	s_cbranch_scc0 .LBB82_60
; %bb.55:
	s_and_saveexec_b32 s0, s2
	s_cbranch_execz .LBB82_57
.LBB82_56:
	s_wait_loadcnt_dscnt 0x0
	v_lshl_add_u64 v[6:7], v[10:11], 4, s[8:9]
	global_store_b128 v[6:7], v[2:5], off
.LBB82_57:
	s_wait_xcnt 0x0
	s_or_b32 exec_lo, exec_lo, s0
	global_wb scope:SCOPE_DEV
	s_wait_storecnt 0x0
	s_wait_loadcnt_dscnt 0x0
	global_inv scope:SCOPE_DEV
	s_wait_loadcnt 0x0
	s_barrier_signal -1
	s_barrier_wait -1
	s_mov_b32 s0, exec_lo
	v_cmpx_eq_u32_e32 0, v0
	s_cbranch_execz .LBB82_59
; %bb.58:
	s_add_co_i32 s0, s20, s7
	s_delay_alu instid0(SALU_CYCLE_1)
	v_dual_mov_b32 v0, 1 :: v_dual_mov_b32 v1, s0
	global_store_b32 v1, v0, s[16:17] scale_offset scope:SCOPE_DEV
.LBB82_59:
	s_endpgm
.LBB82_60:
	s_wait_loadcnt_dscnt 0x0
	s_delay_alu instid0(VALU_DEP_1) | instskip(SKIP_1) | instid1(VALU_DEP_2)
	v_mul_f64_e64 v[6:7], v[24:25], -v[4:5]
	v_mul_f64_e32 v[8:9], v[24:25], v[2:3]
	v_fmac_f64_e32 v[6:7], v[2:3], v[26:27]
	s_delay_alu instid0(VALU_DEP_2) | instskip(NEXT) | instid1(VALU_DEP_2)
	v_fmac_f64_e32 v[8:9], v[4:5], v[26:27]
	v_mov_b64_e32 v[2:3], v[6:7]
	s_delay_alu instid0(VALU_DEP_2)
	v_mov_b64_e32 v[4:5], v[8:9]
	s_and_saveexec_b32 s0, s2
	s_cbranch_execnz .LBB82_56
	s_branch .LBB82_57
	.section	.rodata,"a",@progbits
	.p2align	6, 0x0
	.amdhsa_kernel _ZN9rocsparseL5csrsmILj1024ELj64ELb1Eli21rocsparse_complex_numIdEEEv20rocsparse_operation_T3_S4_NS_24const_host_device_scalarIT4_EEPKT2_PKS4_PKS6_PS6_lPiSC_PS4_21rocsparse_index_base_20rocsparse_fill_mode_20rocsparse_diag_type_b
		.amdhsa_group_segment_fixed_size 20480
		.amdhsa_private_segment_fixed_size 16
		.amdhsa_kernarg_size 112
		.amdhsa_user_sgpr_count 2
		.amdhsa_user_sgpr_dispatch_ptr 0
		.amdhsa_user_sgpr_queue_ptr 0
		.amdhsa_user_sgpr_kernarg_segment_ptr 1
		.amdhsa_user_sgpr_dispatch_id 0
		.amdhsa_user_sgpr_kernarg_preload_length 0
		.amdhsa_user_sgpr_kernarg_preload_offset 0
		.amdhsa_user_sgpr_private_segment_size 0
		.amdhsa_wavefront_size32 1
		.amdhsa_uses_dynamic_stack 0
		.amdhsa_enable_private_segment 1
		.amdhsa_system_sgpr_workgroup_id_x 1
		.amdhsa_system_sgpr_workgroup_id_y 0
		.amdhsa_system_sgpr_workgroup_id_z 0
		.amdhsa_system_sgpr_workgroup_info 0
		.amdhsa_system_vgpr_workitem_id 0
		.amdhsa_next_free_vgpr 36
		.amdhsa_next_free_sgpr 28
		.amdhsa_named_barrier_count 0
		.amdhsa_reserve_vcc 1
		.amdhsa_float_round_mode_32 0
		.amdhsa_float_round_mode_16_64 0
		.amdhsa_float_denorm_mode_32 3
		.amdhsa_float_denorm_mode_16_64 3
		.amdhsa_fp16_overflow 0
		.amdhsa_memory_ordered 1
		.amdhsa_forward_progress 1
		.amdhsa_inst_pref_size 18
		.amdhsa_round_robin_scheduling 0
		.amdhsa_exception_fp_ieee_invalid_op 0
		.amdhsa_exception_fp_denorm_src 0
		.amdhsa_exception_fp_ieee_div_zero 0
		.amdhsa_exception_fp_ieee_overflow 0
		.amdhsa_exception_fp_ieee_underflow 0
		.amdhsa_exception_fp_ieee_inexact 0
		.amdhsa_exception_int_div_zero 0
	.end_amdhsa_kernel
	.section	.text._ZN9rocsparseL5csrsmILj1024ELj64ELb1Eli21rocsparse_complex_numIdEEEv20rocsparse_operation_T3_S4_NS_24const_host_device_scalarIT4_EEPKT2_PKS4_PKS6_PS6_lPiSC_PS4_21rocsparse_index_base_20rocsparse_fill_mode_20rocsparse_diag_type_b,"axG",@progbits,_ZN9rocsparseL5csrsmILj1024ELj64ELb1Eli21rocsparse_complex_numIdEEEv20rocsparse_operation_T3_S4_NS_24const_host_device_scalarIT4_EEPKT2_PKS4_PKS6_PS6_lPiSC_PS4_21rocsparse_index_base_20rocsparse_fill_mode_20rocsparse_diag_type_b,comdat
.Lfunc_end82:
	.size	_ZN9rocsparseL5csrsmILj1024ELj64ELb1Eli21rocsparse_complex_numIdEEEv20rocsparse_operation_T3_S4_NS_24const_host_device_scalarIT4_EEPKT2_PKS4_PKS6_PS6_lPiSC_PS4_21rocsparse_index_base_20rocsparse_fill_mode_20rocsparse_diag_type_b, .Lfunc_end82-_ZN9rocsparseL5csrsmILj1024ELj64ELb1Eli21rocsparse_complex_numIdEEEv20rocsparse_operation_T3_S4_NS_24const_host_device_scalarIT4_EEPKT2_PKS4_PKS6_PS6_lPiSC_PS4_21rocsparse_index_base_20rocsparse_fill_mode_20rocsparse_diag_type_b
                                        ; -- End function
	.set _ZN9rocsparseL5csrsmILj1024ELj64ELb1Eli21rocsparse_complex_numIdEEEv20rocsparse_operation_T3_S4_NS_24const_host_device_scalarIT4_EEPKT2_PKS4_PKS6_PS6_lPiSC_PS4_21rocsparse_index_base_20rocsparse_fill_mode_20rocsparse_diag_type_b.num_vgpr, 36
	.set _ZN9rocsparseL5csrsmILj1024ELj64ELb1Eli21rocsparse_complex_numIdEEEv20rocsparse_operation_T3_S4_NS_24const_host_device_scalarIT4_EEPKT2_PKS4_PKS6_PS6_lPiSC_PS4_21rocsparse_index_base_20rocsparse_fill_mode_20rocsparse_diag_type_b.num_agpr, 0
	.set _ZN9rocsparseL5csrsmILj1024ELj64ELb1Eli21rocsparse_complex_numIdEEEv20rocsparse_operation_T3_S4_NS_24const_host_device_scalarIT4_EEPKT2_PKS4_PKS6_PS6_lPiSC_PS4_21rocsparse_index_base_20rocsparse_fill_mode_20rocsparse_diag_type_b.numbered_sgpr, 28
	.set _ZN9rocsparseL5csrsmILj1024ELj64ELb1Eli21rocsparse_complex_numIdEEEv20rocsparse_operation_T3_S4_NS_24const_host_device_scalarIT4_EEPKT2_PKS4_PKS6_PS6_lPiSC_PS4_21rocsparse_index_base_20rocsparse_fill_mode_20rocsparse_diag_type_b.num_named_barrier, 0
	.set _ZN9rocsparseL5csrsmILj1024ELj64ELb1Eli21rocsparse_complex_numIdEEEv20rocsparse_operation_T3_S4_NS_24const_host_device_scalarIT4_EEPKT2_PKS4_PKS6_PS6_lPiSC_PS4_21rocsparse_index_base_20rocsparse_fill_mode_20rocsparse_diag_type_b.private_seg_size, 16
	.set _ZN9rocsparseL5csrsmILj1024ELj64ELb1Eli21rocsparse_complex_numIdEEEv20rocsparse_operation_T3_S4_NS_24const_host_device_scalarIT4_EEPKT2_PKS4_PKS6_PS6_lPiSC_PS4_21rocsparse_index_base_20rocsparse_fill_mode_20rocsparse_diag_type_b.uses_vcc, 1
	.set _ZN9rocsparseL5csrsmILj1024ELj64ELb1Eli21rocsparse_complex_numIdEEEv20rocsparse_operation_T3_S4_NS_24const_host_device_scalarIT4_EEPKT2_PKS4_PKS6_PS6_lPiSC_PS4_21rocsparse_index_base_20rocsparse_fill_mode_20rocsparse_diag_type_b.uses_flat_scratch, 0
	.set _ZN9rocsparseL5csrsmILj1024ELj64ELb1Eli21rocsparse_complex_numIdEEEv20rocsparse_operation_T3_S4_NS_24const_host_device_scalarIT4_EEPKT2_PKS4_PKS6_PS6_lPiSC_PS4_21rocsparse_index_base_20rocsparse_fill_mode_20rocsparse_diag_type_b.has_dyn_sized_stack, 0
	.set _ZN9rocsparseL5csrsmILj1024ELj64ELb1Eli21rocsparse_complex_numIdEEEv20rocsparse_operation_T3_S4_NS_24const_host_device_scalarIT4_EEPKT2_PKS4_PKS6_PS6_lPiSC_PS4_21rocsparse_index_base_20rocsparse_fill_mode_20rocsparse_diag_type_b.has_recursion, 0
	.set _ZN9rocsparseL5csrsmILj1024ELj64ELb1Eli21rocsparse_complex_numIdEEEv20rocsparse_operation_T3_S4_NS_24const_host_device_scalarIT4_EEPKT2_PKS4_PKS6_PS6_lPiSC_PS4_21rocsparse_index_base_20rocsparse_fill_mode_20rocsparse_diag_type_b.has_indirect_call, 0
	.section	.AMDGPU.csdata,"",@progbits
; Kernel info:
; codeLenInByte = 2256
; TotalNumSgprs: 30
; NumVgprs: 36
; ScratchSize: 16
; MemoryBound: 1
; FloatMode: 240
; IeeeMode: 1
; LDSByteSize: 20480 bytes/workgroup (compile time only)
; SGPRBlocks: 0
; VGPRBlocks: 2
; NumSGPRsForWavesPerEU: 30
; NumVGPRsForWavesPerEU: 36
; NamedBarCnt: 0
; Occupancy: 16
; WaveLimiterHint : 1
; COMPUTE_PGM_RSRC2:SCRATCH_EN: 1
; COMPUTE_PGM_RSRC2:USER_SGPR: 2
; COMPUTE_PGM_RSRC2:TRAP_HANDLER: 0
; COMPUTE_PGM_RSRC2:TGID_X_EN: 1
; COMPUTE_PGM_RSRC2:TGID_Y_EN: 0
; COMPUTE_PGM_RSRC2:TGID_Z_EN: 0
; COMPUTE_PGM_RSRC2:TIDIG_COMP_CNT: 0
	.section	.text._ZN9rocsparseL5csrsmILj1024ELj64ELb0Eli21rocsparse_complex_numIdEEEv20rocsparse_operation_T3_S4_NS_24const_host_device_scalarIT4_EEPKT2_PKS4_PKS6_PS6_lPiSC_PS4_21rocsparse_index_base_20rocsparse_fill_mode_20rocsparse_diag_type_b,"axG",@progbits,_ZN9rocsparseL5csrsmILj1024ELj64ELb0Eli21rocsparse_complex_numIdEEEv20rocsparse_operation_T3_S4_NS_24const_host_device_scalarIT4_EEPKT2_PKS4_PKS6_PS6_lPiSC_PS4_21rocsparse_index_base_20rocsparse_fill_mode_20rocsparse_diag_type_b,comdat
	.globl	_ZN9rocsparseL5csrsmILj1024ELj64ELb0Eli21rocsparse_complex_numIdEEEv20rocsparse_operation_T3_S4_NS_24const_host_device_scalarIT4_EEPKT2_PKS4_PKS6_PS6_lPiSC_PS4_21rocsparse_index_base_20rocsparse_fill_mode_20rocsparse_diag_type_b ; -- Begin function _ZN9rocsparseL5csrsmILj1024ELj64ELb0Eli21rocsparse_complex_numIdEEEv20rocsparse_operation_T3_S4_NS_24const_host_device_scalarIT4_EEPKT2_PKS4_PKS6_PS6_lPiSC_PS4_21rocsparse_index_base_20rocsparse_fill_mode_20rocsparse_diag_type_b
	.p2align	8
	.type	_ZN9rocsparseL5csrsmILj1024ELj64ELb0Eli21rocsparse_complex_numIdEEEv20rocsparse_operation_T3_S4_NS_24const_host_device_scalarIT4_EEPKT2_PKS4_PKS6_PS6_lPiSC_PS4_21rocsparse_index_base_20rocsparse_fill_mode_20rocsparse_diag_type_b,@function
_ZN9rocsparseL5csrsmILj1024ELj64ELb0Eli21rocsparse_complex_numIdEEEv20rocsparse_operation_T3_S4_NS_24const_host_device_scalarIT4_EEPKT2_PKS4_PKS6_PS6_lPiSC_PS4_21rocsparse_index_base_20rocsparse_fill_mode_20rocsparse_diag_type_b: ; @_ZN9rocsparseL5csrsmILj1024ELj64ELb0Eli21rocsparse_complex_numIdEEEv20rocsparse_operation_T3_S4_NS_24const_host_device_scalarIT4_EEPKT2_PKS4_PKS6_PS6_lPiSC_PS4_21rocsparse_index_base_20rocsparse_fill_mode_20rocsparse_diag_type_b
; %bb.0:
	s_clause 0x1
	s_load_b128 s[4:7], s[0:1], 0x60
	s_load_b128 s[8:11], s[0:1], 0x10
	v_mbcnt_lo_u32_b32 v1, -1, 0
	s_clause 0x1
	s_load_b64 s[2:3], s[0:1], 0x20
	s_load_b64 s[12:13], s[0:1], 0x50
	s_delay_alu instid0(VALU_DEP_1) | instskip(NEXT) | instid1(VALU_DEP_1)
	v_dual_mov_b32 v2, 0 :: v_dual_lshlrev_b32 v3, 20, v1
	v_add_nc_u64_e32 v[2:3], src_flat_scratch_base_lo, v[2:3]
	s_wait_kmcnt 0x0
	s_bitcmp1_b32 s7, 0
	v_mov_b64_e32 v[4:5], s[8:9]
	s_cselect_b32 vcc_lo, -1, 0
	v_mov_b64_e32 v[8:9], s[10:11]
	s_delay_alu instid0(VALU_DEP_3)
	v_cndmask_b32_e32 v3, s9, v3, vcc_lo
	v_cndmask_b32_e32 v2, s8, v2, vcc_lo
	s_and_b32 vcc_lo, exec_lo, vcc_lo
	scratch_store_b64 off, v[4:5], off
	flat_load_b64 v[6:7], v[2:3]
	s_cbranch_vccnz .LBB83_2
; %bb.1:
	v_mov_b32_e32 v1, 0
	flat_load_b64 v[8:9], v1, s[8:9] offset:8
.LBB83_2:
	s_load_b96 s[16:18], s[0:1], 0x0
	s_bfe_u32 s9, ttmp6, 0x4000c
	s_and_b32 s8, ttmp6, 15
	s_add_co_i32 s9, s9, 1
	s_getreg_b32 s10, hwreg(HW_REG_IB_STS2, 6, 4)
	s_mul_i32 s9, ttmp9, s9
	s_delay_alu instid0(SALU_CYCLE_1) | instskip(SKIP_3) | instid1(SALU_CYCLE_2)
	s_add_co_i32 s8, s8, s9
	s_wait_kmcnt 0x0
	s_cvt_f32_u32 s7, s17
	s_sub_co_i32 s11, 0, s17
	v_rcp_iflag_f32_e32 v1, s7
	v_nop
	s_delay_alu instid0(TRANS32_DEP_1) | instskip(SKIP_1) | instid1(SALU_CYCLE_3)
	v_readfirstlane_b32 s7, v1
	s_mul_f32 s7, s7, 0x4f7ffffe
	s_cvt_u32_f32 s7, s7
	s_delay_alu instid0(SALU_CYCLE_3) | instskip(NEXT) | instid1(SALU_CYCLE_1)
	s_mul_i32 s11, s11, s7
	s_mul_hi_u32 s11, s7, s11
	s_delay_alu instid0(SALU_CYCLE_1) | instskip(SKIP_2) | instid1(SALU_CYCLE_1)
	s_add_co_i32 s7, s7, s11
	s_cmp_eq_u32 s10, 0
	s_cselect_b32 s8, ttmp9, s8
	s_mul_hi_u32 s7, s8, s7
	s_delay_alu instid0(SALU_CYCLE_1) | instskip(SKIP_2) | instid1(SALU_CYCLE_1)
	s_mul_i32 s9, s7, s17
	s_add_co_i32 s10, s7, 1
	s_sub_co_i32 s9, s8, s9
	s_sub_co_i32 s11, s9, s17
	s_cmp_ge_u32 s9, s17
	s_cselect_b32 s7, s10, s7
	s_cselect_b32 s9, s11, s9
	s_add_co_i32 s10, s7, 1
	s_cmp_ge_u32 s9, s17
	s_cselect_b32 s14, s10, s7
	s_delay_alu instid0(SALU_CYCLE_1) | instskip(SKIP_2) | instid1(SALU_CYCLE_1)
	s_mul_i32 s7, s14, s17
	v_lshl_or_b32 v12, s14, 10, v0
	s_sub_co_i32 s8, s8, s7
	s_ashr_i32 s9, s8, 31
	s_delay_alu instid0(VALU_DEP_1) | instskip(SKIP_1) | instid1(SALU_CYCLE_1)
	v_ashrrev_i32_e32 v13, 31, v12
	s_lshl_b64 s[8:9], s[8:9], 2
	s_add_nc_u64 s[12:13], s[12:13], s[8:9]
	s_load_b32 s20, s[12:13], 0x0
	s_load_b128 s[8:11], s[0:1], 0x38
	s_wait_kmcnt 0x0
	s_ashr_i32 s21, s20, 31
	v_mad_nc_u64_u32 v[10:11], s10, s20, v[12:13]
	s_lshl_b64 s[12:13], s[20:21], 3
	s_cmp_lg_u32 s16, 0x71
	s_add_nc_u64 s[2:3], s[2:3], s[12:13]
	s_load_b128 s[12:15], s[2:3], 0x0
	s_wait_xcnt 0x0
	s_mul_i32 s2, s10, s21
	s_mul_i32 s3, s11, s20
	s_delay_alu instid0(VALU_DEP_1) | instid1(SALU_CYCLE_1)
	v_add3_u32 v11, s2, s3, v11
	v_cmp_gt_i32_e64 s2, s18, v12
	s_cbranch_scc0 .LBB83_47
; %bb.3:
	v_mov_b64_e32 v[4:5], 0
	v_mov_b64_e32 v[2:3], 0
	s_and_saveexec_b32 s3, s2
	s_cbranch_execz .LBB83_5
; %bb.4:
	v_lshl_add_u64 v[2:3], v[10:11], 4, s[8:9]
	global_load_b128 v[14:17], v[2:3], off
	s_wait_loadcnt_dscnt 0x0
	v_mul_f64_e64 v[2:3], v[16:17], -v[8:9]
	v_mul_f64_e32 v[4:5], v[6:7], v[16:17]
	s_delay_alu instid0(VALU_DEP_2) | instskip(NEXT) | instid1(VALU_DEP_2)
	v_fmac_f64_e32 v[2:3], v[6:7], v[14:15]
	v_fmac_f64_e32 v[4:5], v[8:9], v[14:15]
.LBB83_5:
	s_or_b32 exec_lo, exec_lo, s3
	s_load_b64 s[16:17], s[0:1], 0x48
	s_cbranch_execz .LBB83_48
; %bb.6:
	s_wait_kmcnt 0x0
	v_cmp_ge_i64_e64 s3, s[12:13], s[14:15]
	s_and_b32 vcc_lo, exec_lo, s3
	v_cmp_eq_u32_e64 s3, 0, v0
	s_cbranch_vccnz .LBB83_51
.LBB83_7:
	s_clause 0x1
	s_load_b128 s[24:27], s[0:1], 0x28
	s_load_b64 s[18:19], s[0:1], 0x58
	s_wait_loadcnt_dscnt 0x0
	v_dual_mov_b32 v1, 0 :: v_dual_lshlrev_b32 v6, 2, v0
	v_lshlrev_b32_e32 v14, 4, v0
	v_mov_b64_e32 v[20:21], 1.0
	v_mov_b64_e32 v[22:23], 0
	s_delay_alu instid0(VALU_DEP_4)
	v_dual_mov_b32 v7, v1 :: v_dual_mov_b32 v15, v1
	s_wait_xcnt 0x0
	s_mov_b32 s1, 0
	s_mov_b32 s0, s4
	v_lshl_add_u64 v[12:13], v[12:13], 4, s[8:9]
	v_or_b32_e32 v32, 0x4000, v6
	s_cmp_eq_u32 s6, 0
	s_sub_nc_u64 s[12:13], s[12:13], s[0:1]
	s_cselect_b32 s21, -1, 0
	s_sub_nc_u64 s[14:15], s[14:15], s[0:1]
	s_mov_b64 s[22:23], s[12:13]
	s_wait_kmcnt 0x0
	v_add_nc_u64_e32 v[16:17], s[24:25], v[6:7]
	v_add_nc_u64_e32 v[18:19], s[26:27], v[14:15]
	s_add_co_i32 s26, s20, s4
	s_sub_co_i32 s0, s22, s12
	s_delay_alu instid0(SALU_CYCLE_1) | instskip(NEXT) | instid1(SALU_CYCLE_1)
	s_and_b32 s1, s0, 0x3ff
	s_cmp_lg_u32 s1, 0
	s_cbranch_scc1 .LBB83_11
.LBB83_8:
	v_mov_b64_e32 v[6:7], -1.0
	v_mov_b64_e32 v[8:9], 0
	v_mov_b32_e32 v15, -1
	s_sub_nc_u64 s[24:25], s[14:15], s[22:23]
	s_mov_b32 s0, exec_lo
	v_cmpx_gt_i64_e64 s[24:25], v[0:1]
	s_cbranch_execz .LBB83_10
; %bb.9:
	v_lshl_add_u64 v[6:7], s[22:23], 2, v[16:17]
	global_load_b32 v15, v[6:7], off
	s_wait_xcnt 0x0
	v_lshl_add_u64 v[6:7], s[22:23], 4, v[18:19]
	global_load_b128 v[6:9], v[6:7], off
	s_wait_loadcnt 0x1
	v_subrev_nc_u32_e32 v15, s4, v15
.LBB83_10:
	s_wait_xcnt 0x0
	s_or_b32 exec_lo, exec_lo, s0
	ds_store_b32 v32, v15
	s_wait_loadcnt 0x0
	ds_store_b128 v14, v[6:9]
.LBB83_11:                              ; =>This Loop Header: Depth=1
                                        ;     Child Loop BB83_37 Depth 2
	s_lshl_b32 s0, s1, 4
	s_wait_storecnt_dscnt 0x0
	v_mov_b32_e32 v6, s0
	s_barrier_signal -1
	s_barrier_wait -1
	s_lshl_b32 s1, s1, 2
	ds_load_b128 v[24:27], v6
	v_mov_b32_e32 v6, s1
	ds_load_b32 v6, v6 offset:16384
	s_wait_dscnt 0x1
	v_cmp_eq_f64_e32 vcc_lo, 0, v[24:25]
	v_cmp_eq_f64_e64 s0, 0, v[26:27]
	s_wait_dscnt 0x0
	v_readfirstlane_b32 s24, v6
	s_and_b32 s0, vcc_lo, s0
	s_cmp_eq_u32 s24, s20
	s_cselect_b32 s25, -1, 0
	s_cmp_lg_u32 s24, s20
	s_cselect_b32 s1, -1, 0
	s_and_b32 s0, s0, s25
	s_delay_alu instid0(SALU_CYCLE_1) | instskip(NEXT) | instid1(SALU_CYCLE_1)
	s_and_b32 s0, s21, s0
	v_cndmask_b32_e64 v7, v27, 0, s0
	v_cndmask_b32_e64 v6, v26, 0, s0
	;; [unrolled: 1-line block ×4, first 2 shown]
	s_and_b32 s13, s3, s0
	s_delay_alu instid0(SALU_CYCLE_1)
	s_and_saveexec_b32 s0, s13
	s_cbranch_execz .LBB83_15
; %bb.12:                               ;   in Loop: Header=BB83_11 Depth=1
	v_mbcnt_lo_u32_b32 v6, exec_lo, 0
	s_mov_b32 s13, exec_lo
	s_delay_alu instid0(VALU_DEP_1)
	v_cmpx_eq_u32_e32 0, v6
	s_cbranch_execz .LBB83_14
; %bb.13:                               ;   in Loop: Header=BB83_11 Depth=1
	v_mov_b32_e32 v6, s26
	global_atomic_min_i32 v1, v6, s[18:19] scope:SCOPE_DEV
.LBB83_14:                              ;   in Loop: Header=BB83_11 Depth=1
	s_wait_xcnt 0x0
	s_or_b32 exec_lo, exec_lo, s13
	v_mov_b64_e32 v[8:9], 1.0
	v_mov_b64_e32 v[6:7], 0
.LBB83_15:                              ;   in Loop: Header=BB83_11 Depth=1
	s_or_b32 exec_lo, exec_lo, s0
	s_mov_b32 s27, -1
	s_mov_b32 s0, 0
	s_cmp_lt_i32 s5, 1
	s_mov_b32 s13, 0
                                        ; implicit-def: $vgpr24_vgpr25
                                        ; implicit-def: $vgpr26_vgpr27
	s_cbranch_scc0 .LBB83_22
; %bb.16:                               ;   in Loop: Header=BB83_11 Depth=1
	s_and_b32 vcc_lo, exec_lo, s27
	s_mov_b32 s25, 4
	s_cbranch_vccnz .LBB83_29
.LBB83_17:                              ;   in Loop: Header=BB83_11 Depth=1
	v_mov_b64_e32 v[30:31], v[4:5]
	v_mov_b64_e32 v[28:29], v[2:3]
	s_and_b32 vcc_lo, exec_lo, s13
	s_cbranch_vccnz .LBB83_34
.LBB83_18:                              ;   in Loop: Header=BB83_11 Depth=1
	s_and_b32 vcc_lo, exec_lo, s0
	s_cbranch_vccnz .LBB83_41
.LBB83_19:                              ;   in Loop: Header=BB83_11 Depth=1
	s_mov_b32 s0, -1
	s_cmp_gt_i32 s25, 3
	s_mov_b32 s1, -1
	s_cbranch_scc0 .LBB83_44
.LBB83_20:                              ;   in Loop: Header=BB83_11 Depth=1
	s_and_not1_b32 vcc_lo, exec_lo, s1
	s_cbranch_vccz .LBB83_45
.LBB83_21:                              ;   in Loop: Header=BB83_11 Depth=1
	s_delay_alu instid0(VALU_DEP_1) | instskip(NEXT) | instid1(VALU_DEP_2)
	v_mov_b64_e32 v[4:5], v[30:31]
	v_mov_b64_e32 v[2:3], v[28:29]
	s_and_not1_b32 vcc_lo, exec_lo, s0
	s_cbranch_vccnz .LBB83_46
	s_branch .LBB83_52
.LBB83_22:                              ;   in Loop: Header=BB83_11 Depth=1
	s_cmp_eq_u32 s5, 1
	s_mov_b32 s13, -1
                                        ; implicit-def: $vgpr24_vgpr25
                                        ; implicit-def: $vgpr26_vgpr27
	s_cbranch_scc0 .LBB83_28
; %bb.23:                               ;   in Loop: Header=BB83_11 Depth=1
	v_mov_b64_e32 v[24:25], v[22:23]
	v_mov_b64_e32 v[26:27], v[20:21]
	s_cmp_ge_i32 s24, s20
	s_mov_b32 s13, 0
	s_cbranch_scc0 .LBB83_28
; %bb.24:                               ;   in Loop: Header=BB83_11 Depth=1
	s_and_b32 vcc_lo, exec_lo, s25
	s_mov_b32 s13, -1
                                        ; implicit-def: $vgpr24_vgpr25
                                        ; implicit-def: $vgpr26_vgpr27
	s_cbranch_vccz .LBB83_28
; %bb.25:                               ;   in Loop: Header=BB83_11 Depth=1
	v_mov_b64_e32 v[24:25], v[22:23]
	v_mov_b64_e32 v[26:27], v[20:21]
	s_and_not1_b32 vcc_lo, exec_lo, s21
	s_cbranch_vccnz .LBB83_27
; %bb.26:                               ;   in Loop: Header=BB83_11 Depth=1
	v_mul_f64_e32 v[24:25], v[6:7], v[6:7]
	s_delay_alu instid0(VALU_DEP_1) | instskip(NEXT) | instid1(VALU_DEP_1)
	v_fmac_f64_e32 v[24:25], v[8:9], v[8:9]
	v_div_scale_f64 v[26:27], null, v[24:25], v[24:25], 1.0
	v_div_scale_f64 v[34:35], vcc_lo, 1.0, v[24:25], 1.0
	s_delay_alu instid0(VALU_DEP_2) | instskip(SKIP_1) | instid1(TRANS32_DEP_1)
	v_rcp_f64_e32 v[28:29], v[26:27]
	v_nop
	v_fma_f64 v[30:31], -v[26:27], v[28:29], 1.0
	s_delay_alu instid0(VALU_DEP_1) | instskip(NEXT) | instid1(VALU_DEP_1)
	v_fmac_f64_e32 v[28:29], v[28:29], v[30:31]
	v_fma_f64 v[30:31], -v[26:27], v[28:29], 1.0
	s_delay_alu instid0(VALU_DEP_1) | instskip(NEXT) | instid1(VALU_DEP_1)
	v_fmac_f64_e32 v[28:29], v[28:29], v[30:31]
	v_mul_f64_e32 v[30:31], v[34:35], v[28:29]
	s_delay_alu instid0(VALU_DEP_1) | instskip(NEXT) | instid1(VALU_DEP_1)
	v_fma_f64 v[26:27], -v[26:27], v[30:31], v[34:35]
	v_div_fmas_f64 v[26:27], v[26:27], v[28:29], v[30:31]
	v_fma_f64 v[28:29], 0, v[6:7], v[8:9]
	v_fma_f64 v[30:31], v[8:9], 0, -v[6:7]
	s_delay_alu instid0(VALU_DEP_3) | instskip(NEXT) | instid1(VALU_DEP_1)
	v_div_fixup_f64 v[24:25], v[26:27], v[24:25], 1.0
	v_mul_f64_e32 v[26:27], v[28:29], v[24:25]
	s_delay_alu instid0(VALU_DEP_3)
	v_mul_f64_e32 v[24:25], v[30:31], v[24:25]
.LBB83_27:                              ;   in Loop: Header=BB83_11 Depth=1
	s_mov_b32 s13, 0
.LBB83_28:                              ;   in Loop: Header=BB83_11 Depth=1
	s_mov_b32 s25, 4
	s_branch .LBB83_17
.LBB83_29:                              ;   in Loop: Header=BB83_11 Depth=1
	s_cmp_eq_u32 s5, 0
	s_cbranch_scc1 .LBB83_31
; %bb.30:                               ;   in Loop: Header=BB83_11 Depth=1
	s_mov_b32 s13, -1
	s_branch .LBB83_33
.LBB83_31:                              ;   in Loop: Header=BB83_11 Depth=1
	s_cmp_le_i32 s24, s20
	s_mov_b32 s13, 0
	s_cbranch_scc0 .LBB83_33
; %bb.32:                               ;   in Loop: Header=BB83_11 Depth=1
	s_mov_b32 s0, -1
	s_mov_b32 s13, s1
.LBB83_33:                              ;   in Loop: Header=BB83_11 Depth=1
	v_mov_b64_e32 v[24:25], v[22:23]
	v_mov_b64_e32 v[26:27], v[20:21]
	s_mov_b32 s25, 2
	v_mov_b64_e32 v[30:31], v[4:5]
	v_mov_b64_e32 v[28:29], v[2:3]
	s_and_b32 vcc_lo, exec_lo, s13
	s_cbranch_vccz .LBB83_18
.LBB83_34:                              ;   in Loop: Header=BB83_11 Depth=1
	s_and_saveexec_b32 s13, s3
	s_cbranch_execz .LBB83_38
; %bb.35:                               ;   in Loop: Header=BB83_11 Depth=1
	s_add_co_i32 s0, s24, s7
	s_delay_alu instid0(SALU_CYCLE_1)
	v_mov_b32_e32 v15, s0
	global_load_b32 v15, v15, s[16:17] scale_offset scope:SCOPE_DEV
	s_wait_loadcnt 0x0
	v_cmp_ne_u32_e32 vcc_lo, 0, v15
	s_cbranch_vccnz .LBB83_38
; %bb.36:                               ;   in Loop: Header=BB83_11 Depth=1
	s_ashr_i32 s1, s0, 31
	s_delay_alu instid0(SALU_CYCLE_1) | instskip(NEXT) | instid1(SALU_CYCLE_1)
	s_lshl_b64 s[0:1], s[0:1], 2
	s_add_nc_u64 s[0:1], s[16:17], s[0:1]
.LBB83_37:                              ;   Parent Loop BB83_11 Depth=1
                                        ; =>  This Inner Loop Header: Depth=2
	global_load_b32 v15, v1, s[0:1] scope:SCOPE_DEV
	s_wait_loadcnt 0x0
	v_cmp_eq_u32_e32 vcc_lo, 0, v15
	s_cbranch_vccnz .LBB83_37
.LBB83_38:                              ;   in Loop: Header=BB83_11 Depth=1
	s_wait_xcnt 0x0
	s_or_b32 exec_lo, exec_lo, s13
	v_mov_b64_e32 v[30:31], 0
	v_mov_b64_e32 v[28:29], 0
	s_wait_storecnt 0x0
	s_barrier_signal -1
	s_barrier_wait -1
	global_inv scope:SCOPE_DEV
	s_and_saveexec_b32 s0, s2
	s_cbranch_execz .LBB83_40
; %bb.39:                               ;   in Loop: Header=BB83_11 Depth=1
	s_ashr_i32 s25, s24, 31
	s_delay_alu instid0(SALU_CYCLE_1) | instskip(NEXT) | instid1(SALU_CYCLE_1)
	s_mul_u64 s[24:25], s[10:11], s[24:25]
	v_lshl_add_u64 v[24:25], s[24:25], 4, v[12:13]
	global_load_b128 v[24:27], v[24:25], off
	s_wait_loadcnt 0x0
	v_fma_f64 v[28:29], -v[8:9], v[24:25], v[2:3]
	v_fma_f64 v[24:25], -v[6:7], v[24:25], v[4:5]
	s_delay_alu instid0(VALU_DEP_2) | instskip(NEXT) | instid1(VALU_DEP_2)
	v_fmac_f64_e32 v[28:29], v[6:7], v[26:27]
	v_fma_f64 v[30:31], -v[8:9], v[26:27], v[24:25]
.LBB83_40:                              ;   in Loop: Header=BB83_11 Depth=1
	s_or_b32 exec_lo, exec_lo, s0
	v_mov_b64_e32 v[24:25], v[22:23]
	v_mov_b64_e32 v[26:27], v[20:21]
	s_mov_b32 s25, 0
	s_branch .LBB83_19
.LBB83_41:                              ;   in Loop: Header=BB83_11 Depth=1
	s_and_not1_b32 vcc_lo, exec_lo, s21
	s_cbranch_vccnz .LBB83_43
; %bb.42:                               ;   in Loop: Header=BB83_11 Depth=1
	v_mul_f64_e32 v[20:21], v[6:7], v[6:7]
	s_delay_alu instid0(VALU_DEP_1) | instskip(NEXT) | instid1(VALU_DEP_1)
	v_fmac_f64_e32 v[20:21], v[8:9], v[8:9]
	v_div_scale_f64 v[22:23], null, v[20:21], v[20:21], 1.0
	v_div_scale_f64 v[28:29], vcc_lo, 1.0, v[20:21], 1.0
	s_delay_alu instid0(VALU_DEP_2) | instskip(SKIP_1) | instid1(TRANS32_DEP_1)
	v_rcp_f64_e32 v[24:25], v[22:23]
	v_nop
	v_fma_f64 v[26:27], -v[22:23], v[24:25], 1.0
	s_delay_alu instid0(VALU_DEP_1) | instskip(NEXT) | instid1(VALU_DEP_1)
	v_fmac_f64_e32 v[24:25], v[24:25], v[26:27]
	v_fma_f64 v[26:27], -v[22:23], v[24:25], 1.0
	s_delay_alu instid0(VALU_DEP_1) | instskip(NEXT) | instid1(VALU_DEP_1)
	v_fmac_f64_e32 v[24:25], v[24:25], v[26:27]
	v_mul_f64_e32 v[26:27], v[28:29], v[24:25]
	s_delay_alu instid0(VALU_DEP_1) | instskip(NEXT) | instid1(VALU_DEP_1)
	v_fma_f64 v[22:23], -v[22:23], v[26:27], v[28:29]
	v_div_fmas_f64 v[22:23], v[22:23], v[24:25], v[26:27]
	v_fma_f64 v[24:25], 0, v[6:7], v[8:9]
	v_fma_f64 v[6:7], v[8:9], 0, -v[6:7]
	s_delay_alu instid0(VALU_DEP_3) | instskip(NEXT) | instid1(VALU_DEP_1)
	v_div_fixup_f64 v[22:23], v[22:23], v[20:21], 1.0
	v_mul_f64_e32 v[20:21], v[24:25], v[22:23]
	s_delay_alu instid0(VALU_DEP_3)
	v_mul_f64_e32 v[22:23], v[6:7], v[22:23]
.LBB83_43:                              ;   in Loop: Header=BB83_11 Depth=1
	s_delay_alu instid0(VALU_DEP_2) | instskip(NEXT) | instid1(VALU_DEP_2)
	v_mov_b64_e32 v[26:27], v[20:21]
	v_mov_b64_e32 v[24:25], v[22:23]
	v_mov_b64_e32 v[28:29], v[2:3]
	v_mov_b64_e32 v[30:31], v[4:5]
	s_mov_b32 s25, 2
	s_mov_b32 s0, -1
	s_cmp_gt_i32 s25, 3
	s_mov_b32 s1, -1
	s_cbranch_scc1 .LBB83_20
.LBB83_44:                              ;   in Loop: Header=BB83_11 Depth=1
	s_cmp_eq_u32 s25, 0
	s_cselect_b32 s1, -1, 0
	s_delay_alu instid0(SALU_CYCLE_1)
	s_and_not1_b32 vcc_lo, exec_lo, s1
	s_cbranch_vccnz .LBB83_21
.LBB83_45:                              ;   in Loop: Header=BB83_11 Depth=1
	s_add_nc_u64 s[22:23], s[22:23], 1
	s_delay_alu instid0(SALU_CYCLE_1) | instskip(NEXT) | instid1(VALU_DEP_2)
	v_cmp_ge_i64_e64 s0, s[22:23], s[14:15]
	v_mov_b64_e32 v[4:5], v[30:31]
	s_delay_alu instid0(VALU_DEP_3)
	v_mov_b64_e32 v[2:3], v[28:29]
	s_and_not1_b32 vcc_lo, exec_lo, s0
	s_cbranch_vccz .LBB83_52
.LBB83_46:                              ;   in Loop: Header=BB83_11 Depth=1
	s_delay_alu instid0(VALU_DEP_4) | instskip(NEXT) | instid1(VALU_DEP_4)
	v_mov_b64_e32 v[22:23], v[24:25]
	v_mov_b64_e32 v[20:21], v[26:27]
	s_sub_co_i32 s0, s22, s12
	s_delay_alu instid0(SALU_CYCLE_1) | instskip(NEXT) | instid1(SALU_CYCLE_1)
	s_and_b32 s1, s0, 0x3ff
	s_cmp_lg_u32 s1, 0
	s_cbranch_scc1 .LBB83_11
	s_branch .LBB83_8
.LBB83_47:
                                        ; implicit-def: $vgpr4_vgpr5
	s_load_b64 s[16:17], s[0:1], 0x48
.LBB83_48:
	v_mov_b64_e32 v[4:5], 0
	v_mov_b64_e32 v[2:3], 0
	s_and_saveexec_b32 s3, s2
	s_cbranch_execz .LBB83_50
; %bb.49:
	v_lshl_add_u64 v[2:3], v[10:11], 4, s[8:9]
	global_load_b128 v[14:17], v[2:3], off
	s_wait_loadcnt_dscnt 0x0
	v_mul_f64_e32 v[2:3], v[8:9], v[16:17]
	v_mul_f64_e64 v[4:5], v[6:7], -v[16:17]
	s_delay_alu instid0(VALU_DEP_2) | instskip(NEXT) | instid1(VALU_DEP_2)
	v_fmac_f64_e32 v[2:3], v[6:7], v[14:15]
	v_fmac_f64_e32 v[4:5], v[8:9], v[14:15]
.LBB83_50:
	s_or_b32 exec_lo, exec_lo, s3
	s_wait_kmcnt 0x0
	v_cmp_ge_i64_e64 s3, s[12:13], s[14:15]
	s_and_b32 vcc_lo, exec_lo, s3
	v_cmp_eq_u32_e64 s3, 0, v0
	s_cbranch_vccz .LBB83_7
.LBB83_51:
	v_mov_b64_e32 v[26:27], 1.0
	v_mov_b64_e32 v[24:25], 0
.LBB83_52:
	s_cmp_lg_u32 s6, 0
	s_cbranch_scc0 .LBB83_58
; %bb.53:
	s_and_saveexec_b32 s0, s2
	s_cbranch_execz .LBB83_55
.LBB83_54:
	s_wait_loadcnt_dscnt 0x0
	v_lshl_add_u64 v[6:7], v[10:11], 4, s[8:9]
	global_store_b128 v[6:7], v[2:5], off
.LBB83_55:
	s_wait_xcnt 0x0
	s_or_b32 exec_lo, exec_lo, s0
	global_wb scope:SCOPE_DEV
	s_wait_storecnt 0x0
	s_wait_loadcnt_dscnt 0x0
	global_inv scope:SCOPE_DEV
	s_wait_loadcnt 0x0
	s_barrier_signal -1
	s_barrier_wait -1
	s_mov_b32 s0, exec_lo
	v_cmpx_eq_u32_e32 0, v0
	s_cbranch_execz .LBB83_57
; %bb.56:
	s_add_co_i32 s0, s20, s7
	s_delay_alu instid0(SALU_CYCLE_1)
	v_dual_mov_b32 v0, 1 :: v_dual_mov_b32 v1, s0
	global_store_b32 v1, v0, s[16:17] scale_offset scope:SCOPE_DEV
.LBB83_57:
	s_endpgm
.LBB83_58:
	s_wait_loadcnt_dscnt 0x0
	s_delay_alu instid0(VALU_DEP_1) | instskip(SKIP_1) | instid1(VALU_DEP_2)
	v_mul_f64_e64 v[6:7], v[24:25], -v[4:5]
	v_mul_f64_e32 v[8:9], v[24:25], v[2:3]
	v_fmac_f64_e32 v[6:7], v[2:3], v[26:27]
	s_delay_alu instid0(VALU_DEP_2) | instskip(NEXT) | instid1(VALU_DEP_2)
	v_fmac_f64_e32 v[8:9], v[4:5], v[26:27]
	v_mov_b64_e32 v[2:3], v[6:7]
	s_delay_alu instid0(VALU_DEP_2)
	v_mov_b64_e32 v[4:5], v[8:9]
	s_and_saveexec_b32 s0, s2
	s_cbranch_execnz .LBB83_54
	s_branch .LBB83_55
	.section	.rodata,"a",@progbits
	.p2align	6, 0x0
	.amdhsa_kernel _ZN9rocsparseL5csrsmILj1024ELj64ELb0Eli21rocsparse_complex_numIdEEEv20rocsparse_operation_T3_S4_NS_24const_host_device_scalarIT4_EEPKT2_PKS4_PKS6_PS6_lPiSC_PS4_21rocsparse_index_base_20rocsparse_fill_mode_20rocsparse_diag_type_b
		.amdhsa_group_segment_fixed_size 20480
		.amdhsa_private_segment_fixed_size 16
		.amdhsa_kernarg_size 112
		.amdhsa_user_sgpr_count 2
		.amdhsa_user_sgpr_dispatch_ptr 0
		.amdhsa_user_sgpr_queue_ptr 0
		.amdhsa_user_sgpr_kernarg_segment_ptr 1
		.amdhsa_user_sgpr_dispatch_id 0
		.amdhsa_user_sgpr_kernarg_preload_length 0
		.amdhsa_user_sgpr_kernarg_preload_offset 0
		.amdhsa_user_sgpr_private_segment_size 0
		.amdhsa_wavefront_size32 1
		.amdhsa_uses_dynamic_stack 0
		.amdhsa_enable_private_segment 1
		.amdhsa_system_sgpr_workgroup_id_x 1
		.amdhsa_system_sgpr_workgroup_id_y 0
		.amdhsa_system_sgpr_workgroup_id_z 0
		.amdhsa_system_sgpr_workgroup_info 0
		.amdhsa_system_vgpr_workitem_id 0
		.amdhsa_next_free_vgpr 36
		.amdhsa_next_free_sgpr 28
		.amdhsa_named_barrier_count 0
		.amdhsa_reserve_vcc 1
		.amdhsa_float_round_mode_32 0
		.amdhsa_float_round_mode_16_64 0
		.amdhsa_float_denorm_mode_32 3
		.amdhsa_float_denorm_mode_16_64 3
		.amdhsa_fp16_overflow 0
		.amdhsa_memory_ordered 1
		.amdhsa_forward_progress 1
		.amdhsa_inst_pref_size 18
		.amdhsa_round_robin_scheduling 0
		.amdhsa_exception_fp_ieee_invalid_op 0
		.amdhsa_exception_fp_denorm_src 0
		.amdhsa_exception_fp_ieee_div_zero 0
		.amdhsa_exception_fp_ieee_overflow 0
		.amdhsa_exception_fp_ieee_underflow 0
		.amdhsa_exception_fp_ieee_inexact 0
		.amdhsa_exception_int_div_zero 0
	.end_amdhsa_kernel
	.section	.text._ZN9rocsparseL5csrsmILj1024ELj64ELb0Eli21rocsparse_complex_numIdEEEv20rocsparse_operation_T3_S4_NS_24const_host_device_scalarIT4_EEPKT2_PKS4_PKS6_PS6_lPiSC_PS4_21rocsparse_index_base_20rocsparse_fill_mode_20rocsparse_diag_type_b,"axG",@progbits,_ZN9rocsparseL5csrsmILj1024ELj64ELb0Eli21rocsparse_complex_numIdEEEv20rocsparse_operation_T3_S4_NS_24const_host_device_scalarIT4_EEPKT2_PKS4_PKS6_PS6_lPiSC_PS4_21rocsparse_index_base_20rocsparse_fill_mode_20rocsparse_diag_type_b,comdat
.Lfunc_end83:
	.size	_ZN9rocsparseL5csrsmILj1024ELj64ELb0Eli21rocsparse_complex_numIdEEEv20rocsparse_operation_T3_S4_NS_24const_host_device_scalarIT4_EEPKT2_PKS4_PKS6_PS6_lPiSC_PS4_21rocsparse_index_base_20rocsparse_fill_mode_20rocsparse_diag_type_b, .Lfunc_end83-_ZN9rocsparseL5csrsmILj1024ELj64ELb0Eli21rocsparse_complex_numIdEEEv20rocsparse_operation_T3_S4_NS_24const_host_device_scalarIT4_EEPKT2_PKS4_PKS6_PS6_lPiSC_PS4_21rocsparse_index_base_20rocsparse_fill_mode_20rocsparse_diag_type_b
                                        ; -- End function
	.set _ZN9rocsparseL5csrsmILj1024ELj64ELb0Eli21rocsparse_complex_numIdEEEv20rocsparse_operation_T3_S4_NS_24const_host_device_scalarIT4_EEPKT2_PKS4_PKS6_PS6_lPiSC_PS4_21rocsparse_index_base_20rocsparse_fill_mode_20rocsparse_diag_type_b.num_vgpr, 36
	.set _ZN9rocsparseL5csrsmILj1024ELj64ELb0Eli21rocsparse_complex_numIdEEEv20rocsparse_operation_T3_S4_NS_24const_host_device_scalarIT4_EEPKT2_PKS4_PKS6_PS6_lPiSC_PS4_21rocsparse_index_base_20rocsparse_fill_mode_20rocsparse_diag_type_b.num_agpr, 0
	.set _ZN9rocsparseL5csrsmILj1024ELj64ELb0Eli21rocsparse_complex_numIdEEEv20rocsparse_operation_T3_S4_NS_24const_host_device_scalarIT4_EEPKT2_PKS4_PKS6_PS6_lPiSC_PS4_21rocsparse_index_base_20rocsparse_fill_mode_20rocsparse_diag_type_b.numbered_sgpr, 28
	.set _ZN9rocsparseL5csrsmILj1024ELj64ELb0Eli21rocsparse_complex_numIdEEEv20rocsparse_operation_T3_S4_NS_24const_host_device_scalarIT4_EEPKT2_PKS4_PKS6_PS6_lPiSC_PS4_21rocsparse_index_base_20rocsparse_fill_mode_20rocsparse_diag_type_b.num_named_barrier, 0
	.set _ZN9rocsparseL5csrsmILj1024ELj64ELb0Eli21rocsparse_complex_numIdEEEv20rocsparse_operation_T3_S4_NS_24const_host_device_scalarIT4_EEPKT2_PKS4_PKS6_PS6_lPiSC_PS4_21rocsparse_index_base_20rocsparse_fill_mode_20rocsparse_diag_type_b.private_seg_size, 16
	.set _ZN9rocsparseL5csrsmILj1024ELj64ELb0Eli21rocsparse_complex_numIdEEEv20rocsparse_operation_T3_S4_NS_24const_host_device_scalarIT4_EEPKT2_PKS4_PKS6_PS6_lPiSC_PS4_21rocsparse_index_base_20rocsparse_fill_mode_20rocsparse_diag_type_b.uses_vcc, 1
	.set _ZN9rocsparseL5csrsmILj1024ELj64ELb0Eli21rocsparse_complex_numIdEEEv20rocsparse_operation_T3_S4_NS_24const_host_device_scalarIT4_EEPKT2_PKS4_PKS6_PS6_lPiSC_PS4_21rocsparse_index_base_20rocsparse_fill_mode_20rocsparse_diag_type_b.uses_flat_scratch, 0
	.set _ZN9rocsparseL5csrsmILj1024ELj64ELb0Eli21rocsparse_complex_numIdEEEv20rocsparse_operation_T3_S4_NS_24const_host_device_scalarIT4_EEPKT2_PKS4_PKS6_PS6_lPiSC_PS4_21rocsparse_index_base_20rocsparse_fill_mode_20rocsparse_diag_type_b.has_dyn_sized_stack, 0
	.set _ZN9rocsparseL5csrsmILj1024ELj64ELb0Eli21rocsparse_complex_numIdEEEv20rocsparse_operation_T3_S4_NS_24const_host_device_scalarIT4_EEPKT2_PKS4_PKS6_PS6_lPiSC_PS4_21rocsparse_index_base_20rocsparse_fill_mode_20rocsparse_diag_type_b.has_recursion, 0
	.set _ZN9rocsparseL5csrsmILj1024ELj64ELb0Eli21rocsparse_complex_numIdEEEv20rocsparse_operation_T3_S4_NS_24const_host_device_scalarIT4_EEPKT2_PKS4_PKS6_PS6_lPiSC_PS4_21rocsparse_index_base_20rocsparse_fill_mode_20rocsparse_diag_type_b.has_indirect_call, 0
	.section	.AMDGPU.csdata,"",@progbits
; Kernel info:
; codeLenInByte = 2192
; TotalNumSgprs: 30
; NumVgprs: 36
; ScratchSize: 16
; MemoryBound: 1
; FloatMode: 240
; IeeeMode: 1
; LDSByteSize: 20480 bytes/workgroup (compile time only)
; SGPRBlocks: 0
; VGPRBlocks: 2
; NumSGPRsForWavesPerEU: 30
; NumVGPRsForWavesPerEU: 36
; NamedBarCnt: 0
; Occupancy: 16
; WaveLimiterHint : 1
; COMPUTE_PGM_RSRC2:SCRATCH_EN: 1
; COMPUTE_PGM_RSRC2:USER_SGPR: 2
; COMPUTE_PGM_RSRC2:TRAP_HANDLER: 0
; COMPUTE_PGM_RSRC2:TGID_X_EN: 1
; COMPUTE_PGM_RSRC2:TGID_Y_EN: 0
; COMPUTE_PGM_RSRC2:TGID_Z_EN: 0
; COMPUTE_PGM_RSRC2:TIDIG_COMP_CNT: 0
	.section	.text._ZN9rocsparseL5csrsmILj64ELj64ELb1EllfEEv20rocsparse_operation_T3_S2_NS_24const_host_device_scalarIT4_EEPKT2_PKS2_PKS4_PS4_lPiSA_PS2_21rocsparse_index_base_20rocsparse_fill_mode_20rocsparse_diag_type_b,"axG",@progbits,_ZN9rocsparseL5csrsmILj64ELj64ELb1EllfEEv20rocsparse_operation_T3_S2_NS_24const_host_device_scalarIT4_EEPKT2_PKS2_PKS4_PS4_lPiSA_PS2_21rocsparse_index_base_20rocsparse_fill_mode_20rocsparse_diag_type_b,comdat
	.globl	_ZN9rocsparseL5csrsmILj64ELj64ELb1EllfEEv20rocsparse_operation_T3_S2_NS_24const_host_device_scalarIT4_EEPKT2_PKS2_PKS4_PS4_lPiSA_PS2_21rocsparse_index_base_20rocsparse_fill_mode_20rocsparse_diag_type_b ; -- Begin function _ZN9rocsparseL5csrsmILj64ELj64ELb1EllfEEv20rocsparse_operation_T3_S2_NS_24const_host_device_scalarIT4_EEPKT2_PKS2_PKS4_PS4_lPiSA_PS2_21rocsparse_index_base_20rocsparse_fill_mode_20rocsparse_diag_type_b
	.p2align	8
	.type	_ZN9rocsparseL5csrsmILj64ELj64ELb1EllfEEv20rocsparse_operation_T3_S2_NS_24const_host_device_scalarIT4_EEPKT2_PKS2_PKS4_PS4_lPiSA_PS2_21rocsparse_index_base_20rocsparse_fill_mode_20rocsparse_diag_type_b,@function
_ZN9rocsparseL5csrsmILj64ELj64ELb1EllfEEv20rocsparse_operation_T3_S2_NS_24const_host_device_scalarIT4_EEPKT2_PKS2_PKS4_PS4_lPiSA_PS2_21rocsparse_index_base_20rocsparse_fill_mode_20rocsparse_diag_type_b: ; @_ZN9rocsparseL5csrsmILj64ELj64ELb1EllfEEv20rocsparse_operation_T3_S2_NS_24const_host_device_scalarIT4_EEPKT2_PKS2_PKS4_PS4_lPiSA_PS2_21rocsparse_index_base_20rocsparse_fill_mode_20rocsparse_diag_type_b
; %bb.0:
	s_clause 0x2
	s_load_b128 s[4:7], s[0:1], 0x60
	s_load_b128 s[12:15], s[0:1], 0x8
	s_load_b64 s[24:25], s[0:1], 0x18
	s_wait_kmcnt 0x0
	s_bitcmp1_b32 s7, 0
	s_cselect_b32 s2, -1, 0
	s_delay_alu instid0(SALU_CYCLE_1)
	s_and_b32 vcc_lo, exec_lo, s2
	s_cbranch_vccnz .LBB84_2
; %bb.1:
	s_load_b32 s24, s[24:25], 0x0
.LBB84_2:
	s_bfe_u32 s2, ttmp6, 0x4000c
	s_and_b32 s3, ttmp6, 15
	s_add_co_i32 s2, s2, 1
	s_getreg_b32 s7, hwreg(HW_REG_IB_STS2, 6, 4)
	s_mul_i32 s2, ttmp9, s2
	s_delay_alu instid0(SALU_CYCLE_1)
	s_add_co_i32 s3, s3, s2
	s_cmp_eq_u32 s7, 0
	s_cselect_b32 s2, ttmp9, s3
	s_and_b64 s[8:9], s[12:13], 0xffffffff00000000
	s_mov_b32 s3, 0
	s_cmp_lg_u64 s[8:9], 0
	s_cbranch_scc0 .LBB84_52
; %bb.3:
	s_ashr_i32 s8, s13, 31
	s_mov_b32 s21, s3
	s_mov_b32 s9, s8
	;; [unrolled: 1-line block ×3, first 2 shown]
	s_add_nc_u64 s[10:11], s[12:13], s[8:9]
	s_delay_alu instid0(SALU_CYCLE_1) | instskip(NEXT) | instid1(SALU_CYCLE_1)
	s_xor_b64 s[10:11], s[10:11], s[8:9]
	s_cvt_f32_u32 s7, s10
	s_cvt_f32_u32 s16, s11
	s_sub_nc_u64 s[18:19], 0, s[10:11]
	s_delay_alu instid0(SALU_CYCLE_2) | instskip(NEXT) | instid1(SALU_CYCLE_3)
	s_fmamk_f32 s7, s16, 0x4f800000, s7
	v_s_rcp_f32 s7, s7
	s_delay_alu instid0(TRANS32_DEP_1) | instskip(NEXT) | instid1(SALU_CYCLE_3)
	s_mul_f32 s7, s7, 0x5f7ffffc
	s_mul_f32 s16, s7, 0x2f800000
	s_delay_alu instid0(SALU_CYCLE_3) | instskip(NEXT) | instid1(SALU_CYCLE_3)
	s_trunc_f32 s16, s16
	s_fmamk_f32 s7, s16, 0xcf800000, s7
	s_cvt_u32_f32 s17, s16
	s_delay_alu instid0(SALU_CYCLE_2) | instskip(NEXT) | instid1(SALU_CYCLE_3)
	s_cvt_u32_f32 s16, s7
	s_mul_u64 s[22:23], s[18:19], s[16:17]
	s_delay_alu instid0(SALU_CYCLE_1)
	s_mul_hi_u32 s29, s16, s23
	s_mul_i32 s28, s16, s23
	s_mul_hi_u32 s20, s16, s22
	s_wait_xcnt 0x0
	s_mul_i32 s25, s17, s22
	s_add_nc_u64 s[20:21], s[20:21], s[28:29]
	s_mul_hi_u32 s7, s17, s22
	s_mul_hi_u32 s30, s17, s23
	s_add_co_u32 s20, s20, s25
	s_add_co_ci_u32 s26, s21, s7
	s_mul_i32 s22, s17, s23
	s_add_co_ci_u32 s23, s30, 0
	s_delay_alu instid0(SALU_CYCLE_1) | instskip(SKIP_3) | instid1(SALU_CYCLE_1)
	s_add_nc_u64 s[20:21], s[26:27], s[22:23]
	s_mov_b32 s23, s3
	s_add_co_u32 s16, s16, s20
	s_cselect_b32 s7, -1, 0
	s_cmp_lg_u32 s7, 0
	s_add_co_ci_u32 s17, s17, s21
	s_mov_b32 s21, s3
	s_mul_u64 s[18:19], s[18:19], s[16:17]
	s_delay_alu instid0(SALU_CYCLE_1)
	s_mul_hi_u32 s27, s16, s19
	s_mul_i32 s26, s16, s19
	s_mul_hi_u32 s20, s16, s18
	s_mul_i32 s22, s17, s18
	s_add_nc_u64 s[20:21], s[20:21], s[26:27]
	s_mul_hi_u32 s7, s17, s18
	s_mul_hi_u32 s25, s17, s19
	s_mul_i32 s18, s17, s19
	s_add_co_u32 s19, s20, s22
	s_add_co_ci_u32 s22, s21, s7
	s_add_co_ci_u32 s19, s25, 0
	s_add_nc_u64 s[20:21], s[2:3], 0
	s_add_nc_u64 s[18:19], s[22:23], s[18:19]
	s_delay_alu instid0(SALU_CYCLE_1) | instskip(SKIP_1) | instid1(SALU_CYCLE_1)
	s_add_co_u32 s7, s16, s18
	s_cselect_b32 s16, -1, 0
	s_cmp_lg_u32 s16, 0
	s_add_co_ci_u32 s18, s17, s19
	s_xor_b64 s[16:17], s[20:21], 0
	s_mov_b32 s19, s3
	s_mul_hi_u32 s21, s16, s18
	s_mul_i32 s20, s16, s18
	s_mul_hi_u32 s22, s16, s7
	s_mul_hi_u32 s26, s17, s7
	s_mul_i32 s7, s17, s7
	s_add_nc_u64 s[20:21], s[22:23], s[20:21]
	s_mul_hi_u32 s25, s17, s18
	s_add_co_u32 s7, s20, s7
	s_mul_i32 s22, s17, s18
	s_add_co_ci_u32 s18, s21, s26
	s_add_co_ci_u32 s23, s25, 0
	s_delay_alu instid0(SALU_CYCLE_1) | instskip(NEXT) | instid1(SALU_CYCLE_1)
	s_add_nc_u64 s[18:19], s[18:19], s[22:23]
	s_and_b64 s[20:21], s[18:19], 0xffffffff00000000
	s_delay_alu instid0(SALU_CYCLE_1) | instskip(NEXT) | instid1(SALU_CYCLE_1)
	s_or_b32 s20, s20, s18
	s_mul_u64 s[18:19], s[10:11], s[20:21]
	s_delay_alu instid0(SALU_CYCLE_1)
	s_sub_co_u32 s7, s16, s18
	s_cselect_b32 s16, -1, 0
	s_sub_co_i32 s18, s17, s19
	s_cmp_lg_u32 s16, 0
	s_sub_co_ci_u32 s18, s18, s11
	s_sub_co_u32 s22, s7, s10
	s_cselect_b32 s23, -1, 0
	s_delay_alu instid0(SALU_CYCLE_1) | instskip(SKIP_1) | instid1(SALU_CYCLE_1)
	s_cmp_lg_u32 s23, 0
	s_sub_co_ci_u32 s18, s18, 0
	s_cmp_ge_u32 s18, s11
	s_cselect_b32 s25, -1, 0
	s_cmp_ge_u32 s22, s10
	s_add_nc_u64 s[22:23], s[20:21], 1
	s_cselect_b32 s26, -1, 0
	s_cmp_eq_u32 s18, s11
	s_cselect_b32 s18, s26, s25
	s_add_nc_u64 s[26:27], s[20:21], 2
	s_cmp_lg_u32 s18, 0
	s_cselect_b32 s18, s26, s22
	s_cselect_b32 s22, s27, s23
	s_cmp_lg_u32 s16, 0
	s_sub_co_ci_u32 s16, s17, s19
	s_delay_alu instid0(SALU_CYCLE_1)
	s_cmp_ge_u32 s16, s11
	s_cselect_b32 s17, -1, 0
	s_cmp_ge_u32 s7, s10
	s_cselect_b32 s7, -1, 0
	s_cmp_eq_u32 s16, s11
	s_cselect_b32 s7, s7, s17
	s_delay_alu instid0(SALU_CYCLE_1) | instskip(SKIP_4) | instid1(SALU_CYCLE_1)
	s_cmp_lg_u32 s7, 0
	s_mov_b32 s7, s3
	s_cselect_b32 s11, s22, s21
	s_cselect_b32 s10, s18, s20
	s_xor_b64 s[8:9], 0, s[8:9]
	s_xor_b64 s[10:11], s[10:11], s[8:9]
	s_delay_alu instid0(SALU_CYCLE_1)
	s_sub_nc_u64 s[22:23], s[10:11], s[8:9]
	s_clause 0x1
	s_load_b64 s[8:9], s[0:1], 0x50
	s_load_b64 s[16:17], s[0:1], 0x20
	s_and_not1_b32 vcc_lo, exec_lo, s7
	s_cbranch_vccnz .LBB84_5
.LBB84_4:
	v_cvt_f32_u32_e32 v1, s12
	s_sub_co_i32 s10, 0, s12
	s_mov_b32 s23, 0
	s_delay_alu instid0(VALU_DEP_1) | instskip(SKIP_1) | instid1(TRANS32_DEP_1)
	v_rcp_iflag_f32_e32 v1, v1
	v_nop
	v_mul_f32_e32 v1, 0x4f7ffffe, v1
	s_delay_alu instid0(VALU_DEP_1) | instskip(NEXT) | instid1(VALU_DEP_1)
	v_cvt_u32_f32_e32 v1, v1
	v_readfirstlane_b32 s7, v1
	s_mul_i32 s10, s10, s7
	s_delay_alu instid0(SALU_CYCLE_1) | instskip(NEXT) | instid1(SALU_CYCLE_1)
	s_mul_hi_u32 s10, s7, s10
	s_add_co_i32 s7, s7, s10
	s_delay_alu instid0(SALU_CYCLE_1) | instskip(NEXT) | instid1(SALU_CYCLE_1)
	s_mul_hi_u32 s7, s2, s7
	s_mul_i32 s10, s7, s12
	s_add_co_i32 s11, s7, 1
	s_sub_co_i32 s10, s2, s10
	s_delay_alu instid0(SALU_CYCLE_1)
	s_sub_co_i32 s18, s10, s12
	s_cmp_ge_u32 s10, s12
	s_cselect_b32 s7, s11, s7
	s_cselect_b32 s10, s18, s10
	s_add_co_i32 s11, s7, 1
	s_cmp_ge_u32 s10, s12
	s_cselect_b32 s22, s11, s7
.LBB84_5:
	s_delay_alu instid0(SALU_CYCLE_1) | instskip(SKIP_2) | instid1(SALU_CYCLE_1)
	s_mul_u64 s[12:13], s[22:23], s[12:13]
	v_mov_b32_e32 v1, 0
	s_sub_nc_u64 s[2:3], s[2:3], s[12:13]
	s_lshl_b64 s[2:3], s[2:3], 3
	s_delay_alu instid0(VALU_DEP_1)
	v_mov_b32_e32 v12, v1
	s_wait_kmcnt 0x0
	s_add_nc_u64 s[2:3], s[8:9], s[2:3]
	s_load_b128 s[8:11], s[0:1], 0x38
	s_load_b64 s[20:21], s[2:3], 0x0
	s_wait_kmcnt 0x0
	s_lshl_b64 s[2:3], s[20:21], 3
	s_delay_alu instid0(SALU_CYCLE_1)
	s_add_nc_u64 s[2:3], s[16:17], s[2:3]
	s_load_b128 s[16:19], s[2:3], 0x0
	s_wait_xcnt 0x0
	s_lshl_b64 s[2:3], s[22:23], 6
	s_mul_u64 s[22:23], s[20:21], s[10:11]
	v_dual_mov_b32 v3, s3 :: v_dual_bitop2_b32 v2, s2, v0 bitop3:0x54
	s_delay_alu instid0(VALU_DEP_1)
	v_cmp_gt_i64_e64 s2, s[14:15], v[2:3]
	s_and_saveexec_b32 s3, s2
	s_cbranch_execz .LBB84_7
; %bb.6:
	v_add_nc_u64_e32 v[4:5], s[22:23], v[2:3]
	s_delay_alu instid0(VALU_DEP_1)
	v_lshl_add_u64 v[4:5], v[4:5], 2, s[8:9]
	global_load_b32 v4, v[4:5], off
	s_wait_loadcnt 0x0
	v_mul_f32_e32 v12, s24, v4
.LBB84_7:
	s_or_b32 exec_lo, exec_lo, s3
	s_load_b64 s[14:15], s[0:1], 0x48
	s_wait_kmcnt 0x0
	v_cmp_ge_i64_e64 s3, s[16:17], s[18:19]
	v_lshl_add_u64 v[2:3], v[2:3], 2, s[8:9]
	v_mov_b32_e32 v11, 1.0
	s_and_b32 vcc_lo, exec_lo, s3
	v_cmp_eq_u32_e64 s3, 0, v0
	s_cbranch_vccnz .LBB84_46
; %bb.8:
	s_clause 0x1
	s_load_b128 s[28:31], s[0:1], 0x28
	s_load_b64 s[8:9], s[0:1], 0x58
	v_dual_mov_b32 v5, 0 :: v_dual_lshlrev_b32 v4, 3, v0
	v_lshlrev_b32_e32 v8, 2, v0
	s_wait_xcnt 0x0
	s_lshl_b64 s[0:1], s[12:13], 2
	s_mov_b32 s25, 0
	s_mov_b32 s24, s4
	v_mov_b32_e32 v9, v5
	v_or_b32_e32 v13, 0x200, v8
	s_cmp_lg_u32 s6, 0
	s_add_nc_u64 s[26:27], s[14:15], s[0:1]
	v_cmp_ne_u32_e64 s0, 0, v0
	v_mov_b32_e32 v14, 1.0
	s_sub_nc_u64 s[16:17], s[16:17], s[24:25]
	s_cselect_b32 s4, -1, 0
	s_cmp_eq_u32 s6, 0
	s_sub_nc_u64 s[18:19], s[18:19], s[24:25]
	s_cselect_b32 s1, -1, 0
	s_wait_kmcnt 0x0
	v_add_nc_u64_e32 v[6:7], s[28:29], v[4:5]
	v_add_nc_u64_e32 v[8:9], s[30:31], v[8:9]
	s_add_nc_u64 s[28:29], s[20:21], s[24:25]
	s_mov_b64 s[30:31], s[16:17]
	s_delay_alu instid0(SALU_CYCLE_1) | instskip(NEXT) | instid1(SALU_CYCLE_1)
	s_sub_co_i32 s7, s30, s16
	s_and_b32 s7, s7, 63
	s_delay_alu instid0(SALU_CYCLE_1)
	s_cmp_lg_u32 s7, 0
	s_cbranch_scc1 .LBB84_12
.LBB84_9:
	v_mov_b64_e32 v[10:11], -1
	v_mov_b32_e32 v15, -1.0
	s_sub_nc_u64 s[34:35], s[18:19], s[30:31]
	s_mov_b32 s17, exec_lo
	v_cmpx_gt_i64_e64 s[34:35], v[0:1]
	s_cbranch_execz .LBB84_11
; %bb.10:
	v_lshl_add_u64 v[10:11], s[30:31], 3, v[6:7]
	v_lshl_add_u64 v[16:17], s[30:31], 2, v[8:9]
	global_load_b64 v[10:11], v[10:11], off
	global_load_b32 v15, v[16:17], off
	s_wait_loadcnt 0x1
	s_wait_xcnt 0x1
	v_sub_nc_u64_e64 v[10:11], v[10:11], s[24:25]
.LBB84_11:
	s_wait_xcnt 0x0
	s_or_b32 exec_lo, exec_lo, s17
	ds_store_b64 v4, v[10:11]
	s_wait_loadcnt 0x0
	ds_store_b32 v13, v15
.LBB84_12:                              ; =>This Loop Header: Depth=1
                                        ;     Child Loop BB84_44 Depth 2
                                        ;       Child Loop BB84_45 Depth 3
	s_lshl_b32 s17, s7, 3
	s_lshl_b32 s7, s7, 2
	s_delay_alu instid0(SALU_CYCLE_1)
	v_dual_mov_b32 v10, s17 :: v_dual_mov_b32 v15, s7
	s_wait_dscnt 0x0
	s_barrier_signal -1
	s_barrier_wait -1
	ds_load_b64 v[10:11], v10
	ds_load_b32 v15, v15 offset:512
	s_wait_dscnt 0x1
	v_readfirstlane_b32 s34, v10
	v_readfirstlane_b32 s35, v11
	s_wait_dscnt 0x0
	v_cmp_neq_f32_e32 vcc_lo, 0, v15
	s_cmp_lg_u64 s[34:35], s[20:21]
	s_cselect_b32 s7, -1, 0
	s_delay_alu instid0(SALU_CYCLE_1) | instskip(NEXT) | instid1(SALU_CYCLE_1)
	s_or_b32 s7, s4, s7
	s_or_b32 vcc_lo, vcc_lo, s7
	v_cndmask_b32_e32 v10, 1.0, v15, vcc_lo
	s_nor_b32 s17, s0, vcc_lo
	s_delay_alu instid0(SALU_CYCLE_1)
	s_and_saveexec_b32 s7, s17
	s_cbranch_execz .LBB84_16
; %bb.13:                               ;   in Loop: Header=BB84_12 Depth=1
	v_mbcnt_lo_u32_b32 v10, exec_lo, 0
	s_mov_b32 s17, exec_lo
	s_delay_alu instid0(VALU_DEP_1)
	v_cmpx_eq_u32_e32 0, v10
	s_cbranch_execz .LBB84_15
; %bb.14:                               ;   in Loop: Header=BB84_12 Depth=1
	v_mov_b64_e32 v[10:11], s[28:29]
	global_atomic_min_u64 v5, v[10:11], s[8:9] scope:SCOPE_DEV
.LBB84_15:                              ;   in Loop: Header=BB84_12 Depth=1
	s_wait_xcnt 0x0
	s_or_b32 exec_lo, exec_lo, s17
	v_mov_b32_e32 v10, 1.0
.LBB84_16:                              ;   in Loop: Header=BB84_12 Depth=1
	s_or_b32 exec_lo, exec_lo, s7
	s_mov_b32 s33, -1
	s_mov_b32 s7, 0
	s_cmp_lt_i32 s5, 1
	s_mov_b32 s17, 0
                                        ; implicit-def: $vgpr11
	s_cbranch_scc0 .LBB84_23
; %bb.17:                               ;   in Loop: Header=BB84_12 Depth=1
	s_and_b32 vcc_lo, exec_lo, s33
	s_mov_b32 s33, 4
	s_cbranch_vccnz .LBB84_28
.LBB84_18:                              ;   in Loop: Header=BB84_12 Depth=1
	v_mov_b32_e32 v15, v12
	s_and_b32 vcc_lo, exec_lo, s17
	s_cbranch_vccnz .LBB84_33
.LBB84_19:                              ;   in Loop: Header=BB84_12 Depth=1
	s_and_b32 vcc_lo, exec_lo, s7
	s_cbranch_vccnz .LBB84_38
.LBB84_20:                              ;   in Loop: Header=BB84_12 Depth=1
	s_mov_b32 s7, -1
	s_cmp_gt_i32 s33, 3
	s_mov_b32 s17, -1
	s_cbranch_scc0 .LBB84_39
.LBB84_21:                              ;   in Loop: Header=BB84_12 Depth=1
	s_and_not1_b32 vcc_lo, exec_lo, s17
	s_cbranch_vccz .LBB84_40
.LBB84_22:                              ;   in Loop: Header=BB84_12 Depth=1
	s_and_not1_b32 vcc_lo, exec_lo, s7
	s_cbranch_vccnz .LBB84_41
	s_branch .LBB84_47
.LBB84_23:                              ;   in Loop: Header=BB84_12 Depth=1
	s_cmp_eq_u32 s5, 1
	s_mov_b32 s17, -1
                                        ; implicit-def: $vgpr11
	s_cbranch_scc0 .LBB84_27
; %bb.24:                               ;   in Loop: Header=BB84_12 Depth=1
	v_cmp_ge_i64_e64 s17, s[34:35], s[20:21]
	v_mov_b32_e32 v11, v14
	s_and_b32 vcc_lo, exec_lo, s17
	s_mov_b32 s17, 0
	s_cbranch_vccz .LBB84_27
; %bb.25:                               ;   in Loop: Header=BB84_12 Depth=1
	s_cmp_eq_u64 s[34:35], s[20:21]
	s_mov_b32 s17, -1
                                        ; implicit-def: $vgpr11
	s_cbranch_scc0 .LBB84_27
; %bb.26:                               ;   in Loop: Header=BB84_12 Depth=1
	v_div_scale_f32 v11, null, v10, v10, 1.0
	s_mov_b32 s17, 0
	v_rcp_f32_e32 v15, v11
	v_nop
	s_delay_alu instid0(TRANS32_DEP_1) | instskip(NEXT) | instid1(VALU_DEP_1)
	v_fma_f32 v16, -v11, v15, 1.0
	v_fmac_f32_e32 v15, v16, v15
	v_div_scale_f32 v16, vcc_lo, 1.0, v10, 1.0
	s_delay_alu instid0(VALU_DEP_1) | instskip(NEXT) | instid1(VALU_DEP_1)
	v_mul_f32_e32 v17, v16, v15
	v_fma_f32 v18, -v11, v17, v16
	s_delay_alu instid0(VALU_DEP_1) | instskip(NEXT) | instid1(VALU_DEP_1)
	v_fmac_f32_e32 v17, v18, v15
	v_fma_f32 v11, -v11, v17, v16
	s_delay_alu instid0(VALU_DEP_1) | instskip(NEXT) | instid1(VALU_DEP_1)
	v_div_fmas_f32 v11, v11, v15, v17
	v_div_fixup_f32 v11, v11, v10, 1.0
	s_delay_alu instid0(VALU_DEP_1)
	v_cndmask_b32_e64 v11, v14, v11, s1
.LBB84_27:                              ;   in Loop: Header=BB84_12 Depth=1
	s_mov_b32 s33, 4
	s_branch .LBB84_18
.LBB84_28:                              ;   in Loop: Header=BB84_12 Depth=1
	s_cmp_eq_u32 s5, 0
	s_cbranch_scc1 .LBB84_30
; %bb.29:                               ;   in Loop: Header=BB84_12 Depth=1
	s_mov_b32 s17, -1
	s_branch .LBB84_32
.LBB84_30:                              ;   in Loop: Header=BB84_12 Depth=1
	v_cmp_le_i64_e64 s17, s[34:35], s[20:21]
	s_and_b32 vcc_lo, exec_lo, s17
	s_mov_b32 s17, 0
	s_cbranch_vccz .LBB84_32
; %bb.31:                               ;   in Loop: Header=BB84_12 Depth=1
	s_cmp_lg_u64 s[34:35], s[20:21]
	s_mov_b32 s7, -1
	s_cselect_b32 s17, -1, 0
.LBB84_32:                              ;   in Loop: Header=BB84_12 Depth=1
	v_mov_b32_e32 v11, v14
	s_mov_b32 s33, 2
	v_mov_b32_e32 v15, v12
	s_and_b32 vcc_lo, exec_lo, s17
	s_cbranch_vccz .LBB84_19
.LBB84_33:                              ;   in Loop: Header=BB84_12 Depth=1
	s_and_saveexec_b32 s7, s3
	s_cbranch_execz .LBB84_35
; %bb.34:                               ;   in Loop: Header=BB84_12 Depth=1
	s_lshl_b64 s[36:37], s[34:35], 2
	s_delay_alu instid0(SALU_CYCLE_1)
	s_add_nc_u64 s[36:37], s[26:27], s[36:37]
	global_load_b32 v11, v5, s[36:37] scope:SCOPE_DEV
	s_wait_loadcnt 0x0
	v_cmp_ne_u32_e32 vcc_lo, 0, v11
	s_cbranch_vccz .LBB84_42
.LBB84_35:                              ;   in Loop: Header=BB84_12 Depth=1
	s_wait_xcnt 0x0
	s_or_b32 exec_lo, exec_lo, s7
	v_mov_b32_e32 v15, 0
	s_wait_storecnt 0x0
	s_barrier_signal -1
	s_barrier_wait -1
	global_inv scope:SCOPE_DEV
	s_and_saveexec_b32 s7, s2
	s_cbranch_execz .LBB84_37
; %bb.36:                               ;   in Loop: Header=BB84_12 Depth=1
	s_mul_u64 s[34:35], s[34:35], s[10:11]
	s_delay_alu instid0(SALU_CYCLE_1)
	v_lshl_add_u64 v[16:17], s[34:35], 2, v[2:3]
	global_load_b32 v11, v[16:17], off
	s_wait_loadcnt 0x0
	v_fma_f32 v15, -v10, v11, v12
.LBB84_37:                              ;   in Loop: Header=BB84_12 Depth=1
	s_or_b32 exec_lo, exec_lo, s7
	v_mov_b32_e32 v11, v14
	s_mov_b32 s33, 0
	s_branch .LBB84_20
.LBB84_38:                              ;   in Loop: Header=BB84_12 Depth=1
	v_div_scale_f32 v11, null, v10, v10, 1.0
	v_div_scale_f32 v17, vcc_lo, 1.0, v10, 1.0
	s_mov_b32 s33, 2
	v_rcp_f32_e32 v15, v11
	v_nop
	s_delay_alu instid0(TRANS32_DEP_1) | instskip(NEXT) | instid1(VALU_DEP_1)
	v_fma_f32 v16, -v11, v15, 1.0
	v_fmac_f32_e32 v15, v16, v15
	s_delay_alu instid0(VALU_DEP_1) | instskip(NEXT) | instid1(VALU_DEP_1)
	v_mul_f32_e32 v16, v17, v15
	v_fma_f32 v18, -v11, v16, v17
	s_delay_alu instid0(VALU_DEP_1) | instskip(NEXT) | instid1(VALU_DEP_1)
	v_fmac_f32_e32 v16, v18, v15
	v_fma_f32 v11, -v11, v16, v17
	s_delay_alu instid0(VALU_DEP_1) | instskip(SKIP_1) | instid1(VALU_DEP_2)
	v_div_fmas_f32 v11, v11, v15, v16
	v_mov_b32_e32 v15, v12
	v_div_fixup_f32 v10, v11, v10, 1.0
	s_delay_alu instid0(VALU_DEP_1)
	v_cndmask_b32_e64 v11, v14, v10, s1
	s_mov_b32 s7, -1
	s_cmp_gt_i32 s33, 3
	s_mov_b32 s17, -1
	s_cbranch_scc1 .LBB84_21
.LBB84_39:                              ;   in Loop: Header=BB84_12 Depth=1
	s_cmp_eq_u32 s33, 0
	s_cselect_b32 s17, -1, 0
	s_delay_alu instid0(SALU_CYCLE_1)
	s_and_not1_b32 vcc_lo, exec_lo, s17
	s_cbranch_vccnz .LBB84_22
.LBB84_40:                              ;   in Loop: Header=BB84_12 Depth=1
	s_add_nc_u64 s[30:31], s[30:31], 1
	s_delay_alu instid0(SALU_CYCLE_1)
	v_cmp_ge_i64_e64 s7, s[30:31], s[18:19]
	s_and_not1_b32 vcc_lo, exec_lo, s7
	s_cbranch_vccz .LBB84_47
.LBB84_41:                              ;   in Loop: Header=BB84_12 Depth=1
	v_dual_mov_b32 v12, v15 :: v_dual_mov_b32 v14, v11
	s_sub_co_i32 s7, s30, s16
	s_delay_alu instid0(SALU_CYCLE_1) | instskip(NEXT) | instid1(SALU_CYCLE_1)
	s_and_b32 s7, s7, 63
	s_cmp_lg_u32 s7, 0
	s_cbranch_scc1 .LBB84_12
	s_branch .LBB84_9
.LBB84_42:                              ;   in Loop: Header=BB84_12 Depth=1
	s_mov_b32 s17, 0
	s_branch .LBB84_44
.LBB84_43:                              ;   in Loop: Header=BB84_44 Depth=2
	global_load_b32 v11, v5, s[36:37] scope:SCOPE_DEV
	s_cmp_lt_u32 s17, 0xf43
	s_cselect_b32 s33, -1, 0
	s_delay_alu instid0(SALU_CYCLE_1)
	s_cmp_lg_u32 s33, 0
	s_add_co_ci_u32 s17, s17, 0
	s_wait_loadcnt 0x0
	v_cmp_ne_u32_e32 vcc_lo, 0, v11
	s_cbranch_vccnz .LBB84_35
.LBB84_44:                              ;   Parent Loop BB84_12 Depth=1
                                        ; =>  This Loop Header: Depth=2
                                        ;       Child Loop BB84_45 Depth 3
	s_cmp_eq_u32 s17, 0
	s_mov_b32 s33, s17
	s_cbranch_scc1 .LBB84_43
.LBB84_45:                              ;   Parent Loop BB84_12 Depth=1
                                        ;     Parent Loop BB84_44 Depth=2
                                        ; =>    This Inner Loop Header: Depth=3
	s_add_co_i32 s33, s33, -1
	s_sleep 1
	s_cmp_eq_u32 s33, 0
	s_cbranch_scc0 .LBB84_45
	s_branch .LBB84_43
.LBB84_46:
	v_mov_b32_e32 v15, v12
.LBB84_47:
	s_and_saveexec_b32 s0, s2
	s_cbranch_execz .LBB84_49
; %bb.48:
	s_delay_alu instid0(VALU_DEP_1) | instskip(SKIP_3) | instid1(VALU_DEP_2)
	v_mul_f32_e32 v1, v11, v15
	s_cmp_eq_u32 s6, 0
	v_lshl_add_u64 v[2:3], s[22:23], 2, v[2:3]
	s_cselect_b32 vcc_lo, -1, 0
	v_cndmask_b32_e32 v1, v15, v1, vcc_lo
	global_store_b32 v[2:3], v1, off
.LBB84_49:
	s_wait_xcnt 0x0
	s_or_b32 exec_lo, exec_lo, s0
	global_wb scope:SCOPE_DEV
	s_wait_loadcnt 0x0
	s_wait_storecnt 0x0
	global_inv scope:SCOPE_DEV
	s_wait_loadcnt 0x0
	s_barrier_signal -1
	s_barrier_wait -1
	s_mov_b32 s0, exec_lo
	v_cmpx_eq_u32_e32 0, v0
	s_cbranch_execz .LBB84_51
; %bb.50:
	s_lshl_b64 s[0:1], s[20:21], 2
	v_dual_mov_b32 v0, 0 :: v_dual_mov_b32 v1, 1
	s_add_nc_u64 s[0:1], s[14:15], s[0:1]
	s_lshl_b64 s[2:3], s[12:13], 2
	s_delay_alu instid0(SALU_CYCLE_1)
	s_add_nc_u64 s[0:1], s[0:1], s[2:3]
	global_store_b32 v0, v1, s[0:1] scope:SCOPE_DEV
.LBB84_51:
	s_endpgm
.LBB84_52:
                                        ; implicit-def: $sgpr22_sgpr23
	s_clause 0x1
	s_load_b64 s[8:9], s[0:1], 0x50
	s_load_b64 s[16:17], s[0:1], 0x20
	s_branch .LBB84_4
	.section	.rodata,"a",@progbits
	.p2align	6, 0x0
	.amdhsa_kernel _ZN9rocsparseL5csrsmILj64ELj64ELb1EllfEEv20rocsparse_operation_T3_S2_NS_24const_host_device_scalarIT4_EEPKT2_PKS2_PKS4_PS4_lPiSA_PS2_21rocsparse_index_base_20rocsparse_fill_mode_20rocsparse_diag_type_b
		.amdhsa_group_segment_fixed_size 768
		.amdhsa_private_segment_fixed_size 0
		.amdhsa_kernarg_size 112
		.amdhsa_user_sgpr_count 2
		.amdhsa_user_sgpr_dispatch_ptr 0
		.amdhsa_user_sgpr_queue_ptr 0
		.amdhsa_user_sgpr_kernarg_segment_ptr 1
		.amdhsa_user_sgpr_dispatch_id 0
		.amdhsa_user_sgpr_kernarg_preload_length 0
		.amdhsa_user_sgpr_kernarg_preload_offset 0
		.amdhsa_user_sgpr_private_segment_size 0
		.amdhsa_wavefront_size32 1
		.amdhsa_uses_dynamic_stack 0
		.amdhsa_enable_private_segment 0
		.amdhsa_system_sgpr_workgroup_id_x 1
		.amdhsa_system_sgpr_workgroup_id_y 0
		.amdhsa_system_sgpr_workgroup_id_z 0
		.amdhsa_system_sgpr_workgroup_info 0
		.amdhsa_system_vgpr_workitem_id 0
		.amdhsa_next_free_vgpr 19
		.amdhsa_next_free_sgpr 38
		.amdhsa_named_barrier_count 0
		.amdhsa_reserve_vcc 1
		.amdhsa_float_round_mode_32 0
		.amdhsa_float_round_mode_16_64 0
		.amdhsa_float_denorm_mode_32 3
		.amdhsa_float_denorm_mode_16_64 3
		.amdhsa_fp16_overflow 0
		.amdhsa_memory_ordered 1
		.amdhsa_forward_progress 1
		.amdhsa_inst_pref_size 19
		.amdhsa_round_robin_scheduling 0
		.amdhsa_exception_fp_ieee_invalid_op 0
		.amdhsa_exception_fp_denorm_src 0
		.amdhsa_exception_fp_ieee_div_zero 0
		.amdhsa_exception_fp_ieee_overflow 0
		.amdhsa_exception_fp_ieee_underflow 0
		.amdhsa_exception_fp_ieee_inexact 0
		.amdhsa_exception_int_div_zero 0
	.end_amdhsa_kernel
	.section	.text._ZN9rocsparseL5csrsmILj64ELj64ELb1EllfEEv20rocsparse_operation_T3_S2_NS_24const_host_device_scalarIT4_EEPKT2_PKS2_PKS4_PS4_lPiSA_PS2_21rocsparse_index_base_20rocsparse_fill_mode_20rocsparse_diag_type_b,"axG",@progbits,_ZN9rocsparseL5csrsmILj64ELj64ELb1EllfEEv20rocsparse_operation_T3_S2_NS_24const_host_device_scalarIT4_EEPKT2_PKS2_PKS4_PS4_lPiSA_PS2_21rocsparse_index_base_20rocsparse_fill_mode_20rocsparse_diag_type_b,comdat
.Lfunc_end84:
	.size	_ZN9rocsparseL5csrsmILj64ELj64ELb1EllfEEv20rocsparse_operation_T3_S2_NS_24const_host_device_scalarIT4_EEPKT2_PKS2_PKS4_PS4_lPiSA_PS2_21rocsparse_index_base_20rocsparse_fill_mode_20rocsparse_diag_type_b, .Lfunc_end84-_ZN9rocsparseL5csrsmILj64ELj64ELb1EllfEEv20rocsparse_operation_T3_S2_NS_24const_host_device_scalarIT4_EEPKT2_PKS2_PKS4_PS4_lPiSA_PS2_21rocsparse_index_base_20rocsparse_fill_mode_20rocsparse_diag_type_b
                                        ; -- End function
	.set _ZN9rocsparseL5csrsmILj64ELj64ELb1EllfEEv20rocsparse_operation_T3_S2_NS_24const_host_device_scalarIT4_EEPKT2_PKS2_PKS4_PS4_lPiSA_PS2_21rocsparse_index_base_20rocsparse_fill_mode_20rocsparse_diag_type_b.num_vgpr, 19
	.set _ZN9rocsparseL5csrsmILj64ELj64ELb1EllfEEv20rocsparse_operation_T3_S2_NS_24const_host_device_scalarIT4_EEPKT2_PKS2_PKS4_PS4_lPiSA_PS2_21rocsparse_index_base_20rocsparse_fill_mode_20rocsparse_diag_type_b.num_agpr, 0
	.set _ZN9rocsparseL5csrsmILj64ELj64ELb1EllfEEv20rocsparse_operation_T3_S2_NS_24const_host_device_scalarIT4_EEPKT2_PKS2_PKS4_PS4_lPiSA_PS2_21rocsparse_index_base_20rocsparse_fill_mode_20rocsparse_diag_type_b.numbered_sgpr, 38
	.set _ZN9rocsparseL5csrsmILj64ELj64ELb1EllfEEv20rocsparse_operation_T3_S2_NS_24const_host_device_scalarIT4_EEPKT2_PKS2_PKS4_PS4_lPiSA_PS2_21rocsparse_index_base_20rocsparse_fill_mode_20rocsparse_diag_type_b.num_named_barrier, 0
	.set _ZN9rocsparseL5csrsmILj64ELj64ELb1EllfEEv20rocsparse_operation_T3_S2_NS_24const_host_device_scalarIT4_EEPKT2_PKS2_PKS4_PS4_lPiSA_PS2_21rocsparse_index_base_20rocsparse_fill_mode_20rocsparse_diag_type_b.private_seg_size, 0
	.set _ZN9rocsparseL5csrsmILj64ELj64ELb1EllfEEv20rocsparse_operation_T3_S2_NS_24const_host_device_scalarIT4_EEPKT2_PKS2_PKS4_PS4_lPiSA_PS2_21rocsparse_index_base_20rocsparse_fill_mode_20rocsparse_diag_type_b.uses_vcc, 1
	.set _ZN9rocsparseL5csrsmILj64ELj64ELb1EllfEEv20rocsparse_operation_T3_S2_NS_24const_host_device_scalarIT4_EEPKT2_PKS2_PKS4_PS4_lPiSA_PS2_21rocsparse_index_base_20rocsparse_fill_mode_20rocsparse_diag_type_b.uses_flat_scratch, 0
	.set _ZN9rocsparseL5csrsmILj64ELj64ELb1EllfEEv20rocsparse_operation_T3_S2_NS_24const_host_device_scalarIT4_EEPKT2_PKS2_PKS4_PS4_lPiSA_PS2_21rocsparse_index_base_20rocsparse_fill_mode_20rocsparse_diag_type_b.has_dyn_sized_stack, 0
	.set _ZN9rocsparseL5csrsmILj64ELj64ELb1EllfEEv20rocsparse_operation_T3_S2_NS_24const_host_device_scalarIT4_EEPKT2_PKS2_PKS4_PS4_lPiSA_PS2_21rocsparse_index_base_20rocsparse_fill_mode_20rocsparse_diag_type_b.has_recursion, 0
	.set _ZN9rocsparseL5csrsmILj64ELj64ELb1EllfEEv20rocsparse_operation_T3_S2_NS_24const_host_device_scalarIT4_EEPKT2_PKS2_PKS4_PS4_lPiSA_PS2_21rocsparse_index_base_20rocsparse_fill_mode_20rocsparse_diag_type_b.has_indirect_call, 0
	.section	.AMDGPU.csdata,"",@progbits
; Kernel info:
; codeLenInByte = 2356
; TotalNumSgprs: 40
; NumVgprs: 19
; ScratchSize: 0
; MemoryBound: 0
; FloatMode: 240
; IeeeMode: 1
; LDSByteSize: 768 bytes/workgroup (compile time only)
; SGPRBlocks: 0
; VGPRBlocks: 1
; NumSGPRsForWavesPerEU: 40
; NumVGPRsForWavesPerEU: 19
; NamedBarCnt: 0
; Occupancy: 16
; WaveLimiterHint : 1
; COMPUTE_PGM_RSRC2:SCRATCH_EN: 0
; COMPUTE_PGM_RSRC2:USER_SGPR: 2
; COMPUTE_PGM_RSRC2:TRAP_HANDLER: 0
; COMPUTE_PGM_RSRC2:TGID_X_EN: 1
; COMPUTE_PGM_RSRC2:TGID_Y_EN: 0
; COMPUTE_PGM_RSRC2:TGID_Z_EN: 0
; COMPUTE_PGM_RSRC2:TIDIG_COMP_CNT: 0
	.section	.text._ZN9rocsparseL5csrsmILj64ELj64ELb0EllfEEv20rocsparse_operation_T3_S2_NS_24const_host_device_scalarIT4_EEPKT2_PKS2_PKS4_PS4_lPiSA_PS2_21rocsparse_index_base_20rocsparse_fill_mode_20rocsparse_diag_type_b,"axG",@progbits,_ZN9rocsparseL5csrsmILj64ELj64ELb0EllfEEv20rocsparse_operation_T3_S2_NS_24const_host_device_scalarIT4_EEPKT2_PKS2_PKS4_PS4_lPiSA_PS2_21rocsparse_index_base_20rocsparse_fill_mode_20rocsparse_diag_type_b,comdat
	.globl	_ZN9rocsparseL5csrsmILj64ELj64ELb0EllfEEv20rocsparse_operation_T3_S2_NS_24const_host_device_scalarIT4_EEPKT2_PKS2_PKS4_PS4_lPiSA_PS2_21rocsparse_index_base_20rocsparse_fill_mode_20rocsparse_diag_type_b ; -- Begin function _ZN9rocsparseL5csrsmILj64ELj64ELb0EllfEEv20rocsparse_operation_T3_S2_NS_24const_host_device_scalarIT4_EEPKT2_PKS2_PKS4_PS4_lPiSA_PS2_21rocsparse_index_base_20rocsparse_fill_mode_20rocsparse_diag_type_b
	.p2align	8
	.type	_ZN9rocsparseL5csrsmILj64ELj64ELb0EllfEEv20rocsparse_operation_T3_S2_NS_24const_host_device_scalarIT4_EEPKT2_PKS2_PKS4_PS4_lPiSA_PS2_21rocsparse_index_base_20rocsparse_fill_mode_20rocsparse_diag_type_b,@function
_ZN9rocsparseL5csrsmILj64ELj64ELb0EllfEEv20rocsparse_operation_T3_S2_NS_24const_host_device_scalarIT4_EEPKT2_PKS2_PKS4_PS4_lPiSA_PS2_21rocsparse_index_base_20rocsparse_fill_mode_20rocsparse_diag_type_b: ; @_ZN9rocsparseL5csrsmILj64ELj64ELb0EllfEEv20rocsparse_operation_T3_S2_NS_24const_host_device_scalarIT4_EEPKT2_PKS2_PKS4_PS4_lPiSA_PS2_21rocsparse_index_base_20rocsparse_fill_mode_20rocsparse_diag_type_b
; %bb.0:
	s_clause 0x2
	s_load_b128 s[4:7], s[0:1], 0x60
	s_load_b128 s[12:15], s[0:1], 0x8
	s_load_b64 s[24:25], s[0:1], 0x18
	s_wait_kmcnt 0x0
	s_bitcmp1_b32 s7, 0
	s_cselect_b32 s2, -1, 0
	s_delay_alu instid0(SALU_CYCLE_1)
	s_and_b32 vcc_lo, exec_lo, s2
	s_cbranch_vccnz .LBB85_2
; %bb.1:
	s_load_b32 s24, s[24:25], 0x0
.LBB85_2:
	s_bfe_u32 s2, ttmp6, 0x4000c
	s_and_b32 s3, ttmp6, 15
	s_add_co_i32 s2, s2, 1
	s_getreg_b32 s7, hwreg(HW_REG_IB_STS2, 6, 4)
	s_mul_i32 s2, ttmp9, s2
	s_delay_alu instid0(SALU_CYCLE_1)
	s_add_co_i32 s3, s3, s2
	s_cmp_eq_u32 s7, 0
	s_cselect_b32 s2, ttmp9, s3
	s_and_b64 s[8:9], s[12:13], 0xffffffff00000000
	s_mov_b32 s3, 0
	s_cmp_lg_u64 s[8:9], 0
	s_cbranch_scc0 .LBB85_49
; %bb.3:
	s_ashr_i32 s8, s13, 31
	s_mov_b32 s21, s3
	s_mov_b32 s9, s8
	;; [unrolled: 1-line block ×3, first 2 shown]
	s_add_nc_u64 s[10:11], s[12:13], s[8:9]
	s_delay_alu instid0(SALU_CYCLE_1) | instskip(NEXT) | instid1(SALU_CYCLE_1)
	s_xor_b64 s[10:11], s[10:11], s[8:9]
	s_cvt_f32_u32 s7, s10
	s_cvt_f32_u32 s16, s11
	s_sub_nc_u64 s[18:19], 0, s[10:11]
	s_delay_alu instid0(SALU_CYCLE_2) | instskip(NEXT) | instid1(SALU_CYCLE_3)
	s_fmamk_f32 s7, s16, 0x4f800000, s7
	v_s_rcp_f32 s7, s7
	s_delay_alu instid0(TRANS32_DEP_1) | instskip(NEXT) | instid1(SALU_CYCLE_3)
	s_mul_f32 s7, s7, 0x5f7ffffc
	s_mul_f32 s16, s7, 0x2f800000
	s_delay_alu instid0(SALU_CYCLE_3) | instskip(NEXT) | instid1(SALU_CYCLE_3)
	s_trunc_f32 s16, s16
	s_fmamk_f32 s7, s16, 0xcf800000, s7
	s_cvt_u32_f32 s17, s16
	s_delay_alu instid0(SALU_CYCLE_2) | instskip(NEXT) | instid1(SALU_CYCLE_3)
	s_cvt_u32_f32 s16, s7
	s_mul_u64 s[22:23], s[18:19], s[16:17]
	s_delay_alu instid0(SALU_CYCLE_1)
	s_mul_hi_u32 s29, s16, s23
	s_mul_i32 s28, s16, s23
	s_mul_hi_u32 s20, s16, s22
	s_wait_xcnt 0x0
	s_mul_i32 s25, s17, s22
	s_add_nc_u64 s[20:21], s[20:21], s[28:29]
	s_mul_hi_u32 s7, s17, s22
	s_mul_hi_u32 s30, s17, s23
	s_add_co_u32 s20, s20, s25
	s_add_co_ci_u32 s26, s21, s7
	s_mul_i32 s22, s17, s23
	s_add_co_ci_u32 s23, s30, 0
	s_delay_alu instid0(SALU_CYCLE_1) | instskip(SKIP_3) | instid1(SALU_CYCLE_1)
	s_add_nc_u64 s[20:21], s[26:27], s[22:23]
	s_mov_b32 s23, s3
	s_add_co_u32 s16, s16, s20
	s_cselect_b32 s7, -1, 0
	s_cmp_lg_u32 s7, 0
	s_add_co_ci_u32 s17, s17, s21
	s_mov_b32 s21, s3
	s_mul_u64 s[18:19], s[18:19], s[16:17]
	s_delay_alu instid0(SALU_CYCLE_1)
	s_mul_hi_u32 s27, s16, s19
	s_mul_i32 s26, s16, s19
	s_mul_hi_u32 s20, s16, s18
	s_mul_i32 s22, s17, s18
	s_add_nc_u64 s[20:21], s[20:21], s[26:27]
	s_mul_hi_u32 s7, s17, s18
	s_mul_hi_u32 s25, s17, s19
	s_mul_i32 s18, s17, s19
	s_add_co_u32 s19, s20, s22
	s_add_co_ci_u32 s22, s21, s7
	s_add_co_ci_u32 s19, s25, 0
	s_add_nc_u64 s[20:21], s[2:3], 0
	s_add_nc_u64 s[18:19], s[22:23], s[18:19]
	s_delay_alu instid0(SALU_CYCLE_1) | instskip(SKIP_1) | instid1(SALU_CYCLE_1)
	s_add_co_u32 s7, s16, s18
	s_cselect_b32 s16, -1, 0
	s_cmp_lg_u32 s16, 0
	s_add_co_ci_u32 s18, s17, s19
	s_xor_b64 s[16:17], s[20:21], 0
	s_mov_b32 s19, s3
	s_mul_hi_u32 s21, s16, s18
	s_mul_i32 s20, s16, s18
	s_mul_hi_u32 s22, s16, s7
	s_mul_hi_u32 s26, s17, s7
	s_mul_i32 s7, s17, s7
	s_add_nc_u64 s[20:21], s[22:23], s[20:21]
	s_mul_hi_u32 s25, s17, s18
	s_add_co_u32 s7, s20, s7
	s_mul_i32 s22, s17, s18
	s_add_co_ci_u32 s18, s21, s26
	s_add_co_ci_u32 s23, s25, 0
	s_delay_alu instid0(SALU_CYCLE_1) | instskip(NEXT) | instid1(SALU_CYCLE_1)
	s_add_nc_u64 s[18:19], s[18:19], s[22:23]
	s_and_b64 s[20:21], s[18:19], 0xffffffff00000000
	s_delay_alu instid0(SALU_CYCLE_1) | instskip(NEXT) | instid1(SALU_CYCLE_1)
	s_or_b32 s20, s20, s18
	s_mul_u64 s[18:19], s[10:11], s[20:21]
	s_delay_alu instid0(SALU_CYCLE_1)
	s_sub_co_u32 s7, s16, s18
	s_cselect_b32 s16, -1, 0
	s_sub_co_i32 s18, s17, s19
	s_cmp_lg_u32 s16, 0
	s_sub_co_ci_u32 s18, s18, s11
	s_sub_co_u32 s22, s7, s10
	s_cselect_b32 s23, -1, 0
	s_delay_alu instid0(SALU_CYCLE_1) | instskip(SKIP_1) | instid1(SALU_CYCLE_1)
	s_cmp_lg_u32 s23, 0
	s_sub_co_ci_u32 s18, s18, 0
	s_cmp_ge_u32 s18, s11
	s_cselect_b32 s25, -1, 0
	s_cmp_ge_u32 s22, s10
	s_add_nc_u64 s[22:23], s[20:21], 1
	s_cselect_b32 s26, -1, 0
	s_cmp_eq_u32 s18, s11
	s_cselect_b32 s18, s26, s25
	s_add_nc_u64 s[26:27], s[20:21], 2
	s_cmp_lg_u32 s18, 0
	s_cselect_b32 s18, s26, s22
	s_cselect_b32 s22, s27, s23
	s_cmp_lg_u32 s16, 0
	s_sub_co_ci_u32 s16, s17, s19
	s_delay_alu instid0(SALU_CYCLE_1)
	s_cmp_ge_u32 s16, s11
	s_cselect_b32 s17, -1, 0
	s_cmp_ge_u32 s7, s10
	s_cselect_b32 s7, -1, 0
	s_cmp_eq_u32 s16, s11
	s_cselect_b32 s7, s7, s17
	s_delay_alu instid0(SALU_CYCLE_1) | instskip(SKIP_4) | instid1(SALU_CYCLE_1)
	s_cmp_lg_u32 s7, 0
	s_mov_b32 s7, s3
	s_cselect_b32 s11, s22, s21
	s_cselect_b32 s10, s18, s20
	s_xor_b64 s[8:9], 0, s[8:9]
	s_xor_b64 s[10:11], s[10:11], s[8:9]
	s_delay_alu instid0(SALU_CYCLE_1)
	s_sub_nc_u64 s[22:23], s[10:11], s[8:9]
	s_clause 0x1
	s_load_b64 s[8:9], s[0:1], 0x50
	s_load_b64 s[16:17], s[0:1], 0x20
	s_and_not1_b32 vcc_lo, exec_lo, s7
	s_cbranch_vccnz .LBB85_5
.LBB85_4:
	v_cvt_f32_u32_e32 v1, s12
	s_sub_co_i32 s10, 0, s12
	s_mov_b32 s23, 0
	s_delay_alu instid0(VALU_DEP_1) | instskip(SKIP_1) | instid1(TRANS32_DEP_1)
	v_rcp_iflag_f32_e32 v1, v1
	v_nop
	v_mul_f32_e32 v1, 0x4f7ffffe, v1
	s_delay_alu instid0(VALU_DEP_1) | instskip(NEXT) | instid1(VALU_DEP_1)
	v_cvt_u32_f32_e32 v1, v1
	v_readfirstlane_b32 s7, v1
	s_mul_i32 s10, s10, s7
	s_delay_alu instid0(SALU_CYCLE_1) | instskip(NEXT) | instid1(SALU_CYCLE_1)
	s_mul_hi_u32 s10, s7, s10
	s_add_co_i32 s7, s7, s10
	s_delay_alu instid0(SALU_CYCLE_1) | instskip(NEXT) | instid1(SALU_CYCLE_1)
	s_mul_hi_u32 s7, s2, s7
	s_mul_i32 s10, s7, s12
	s_add_co_i32 s11, s7, 1
	s_sub_co_i32 s10, s2, s10
	s_delay_alu instid0(SALU_CYCLE_1)
	s_sub_co_i32 s18, s10, s12
	s_cmp_ge_u32 s10, s12
	s_cselect_b32 s7, s11, s7
	s_cselect_b32 s10, s18, s10
	s_add_co_i32 s11, s7, 1
	s_cmp_ge_u32 s10, s12
	s_cselect_b32 s22, s11, s7
.LBB85_5:
	s_delay_alu instid0(SALU_CYCLE_1) | instskip(SKIP_2) | instid1(SALU_CYCLE_1)
	s_mul_u64 s[12:13], s[22:23], s[12:13]
	v_mov_b32_e32 v1, 0
	s_sub_nc_u64 s[2:3], s[2:3], s[12:13]
	s_lshl_b64 s[2:3], s[2:3], 3
	s_delay_alu instid0(VALU_DEP_1)
	v_mov_b32_e32 v12, v1
	s_wait_kmcnt 0x0
	s_add_nc_u64 s[2:3], s[8:9], s[2:3]
	s_load_b128 s[8:11], s[0:1], 0x38
	s_load_b64 s[20:21], s[2:3], 0x0
	s_wait_kmcnt 0x0
	s_lshl_b64 s[2:3], s[20:21], 3
	s_delay_alu instid0(SALU_CYCLE_1)
	s_add_nc_u64 s[2:3], s[16:17], s[2:3]
	s_load_b128 s[16:19], s[2:3], 0x0
	s_wait_xcnt 0x0
	s_lshl_b64 s[2:3], s[22:23], 6
	s_mul_u64 s[22:23], s[20:21], s[10:11]
	v_dual_mov_b32 v3, s3 :: v_dual_bitop2_b32 v2, s2, v0 bitop3:0x54
	s_delay_alu instid0(VALU_DEP_1)
	v_cmp_gt_i64_e64 s2, s[14:15], v[2:3]
	s_and_saveexec_b32 s3, s2
	s_cbranch_execz .LBB85_7
; %bb.6:
	v_add_nc_u64_e32 v[4:5], s[22:23], v[2:3]
	s_delay_alu instid0(VALU_DEP_1)
	v_lshl_add_u64 v[4:5], v[4:5], 2, s[8:9]
	global_load_b32 v4, v[4:5], off
	s_wait_loadcnt 0x0
	v_mul_f32_e32 v12, s24, v4
.LBB85_7:
	s_or_b32 exec_lo, exec_lo, s3
	s_load_b64 s[14:15], s[0:1], 0x48
	s_wait_kmcnt 0x0
	v_cmp_ge_i64_e64 s3, s[16:17], s[18:19]
	v_lshl_add_u64 v[2:3], v[2:3], 2, s[8:9]
	v_mov_b32_e32 v11, 1.0
	s_and_b32 vcc_lo, exec_lo, s3
	v_cmp_eq_u32_e64 s3, 0, v0
	s_cbranch_vccnz .LBB85_43
; %bb.8:
	s_clause 0x1
	s_load_b128 s[28:31], s[0:1], 0x28
	s_load_b64 s[8:9], s[0:1], 0x58
	v_dual_mov_b32 v5, 0 :: v_dual_lshlrev_b32 v4, 3, v0
	v_lshlrev_b32_e32 v8, 2, v0
	s_wait_xcnt 0x0
	s_lshl_b64 s[0:1], s[12:13], 2
	s_mov_b32 s25, 0
	s_mov_b32 s24, s4
	v_mov_b32_e32 v9, v5
	v_or_b32_e32 v13, 0x200, v8
	s_cmp_lg_u32 s6, 0
	s_add_nc_u64 s[26:27], s[14:15], s[0:1]
	v_cmp_ne_u32_e64 s0, 0, v0
	v_mov_b32_e32 v14, 1.0
	s_sub_nc_u64 s[16:17], s[16:17], s[24:25]
	s_cselect_b32 s4, -1, 0
	s_cmp_eq_u32 s6, 0
	s_sub_nc_u64 s[18:19], s[18:19], s[24:25]
	s_cselect_b32 s1, -1, 0
	s_wait_kmcnt 0x0
	v_add_nc_u64_e32 v[6:7], s[28:29], v[4:5]
	v_add_nc_u64_e32 v[8:9], s[30:31], v[8:9]
	s_add_nc_u64 s[28:29], s[20:21], s[24:25]
	s_mov_b64 s[30:31], s[16:17]
	s_delay_alu instid0(SALU_CYCLE_1) | instskip(NEXT) | instid1(SALU_CYCLE_1)
	s_sub_co_i32 s7, s30, s16
	s_and_b32 s7, s7, 63
	s_delay_alu instid0(SALU_CYCLE_1)
	s_cmp_lg_u32 s7, 0
	s_cbranch_scc1 .LBB85_12
.LBB85_9:
	v_mov_b64_e32 v[10:11], -1
	v_mov_b32_e32 v15, -1.0
	s_sub_nc_u64 s[34:35], s[18:19], s[30:31]
	s_mov_b32 s17, exec_lo
	v_cmpx_gt_i64_e64 s[34:35], v[0:1]
	s_cbranch_execz .LBB85_11
; %bb.10:
	v_lshl_add_u64 v[10:11], s[30:31], 3, v[6:7]
	v_lshl_add_u64 v[16:17], s[30:31], 2, v[8:9]
	global_load_b64 v[10:11], v[10:11], off
	global_load_b32 v15, v[16:17], off
	s_wait_loadcnt 0x1
	s_wait_xcnt 0x1
	v_sub_nc_u64_e64 v[10:11], v[10:11], s[24:25]
.LBB85_11:
	s_wait_xcnt 0x0
	s_or_b32 exec_lo, exec_lo, s17
	ds_store_b64 v4, v[10:11]
	s_wait_loadcnt 0x0
	ds_store_b32 v13, v15
.LBB85_12:                              ; =>This Loop Header: Depth=1
                                        ;     Child Loop BB85_35 Depth 2
	s_lshl_b32 s17, s7, 3
	s_lshl_b32 s7, s7, 2
	s_delay_alu instid0(SALU_CYCLE_1)
	v_dual_mov_b32 v10, s17 :: v_dual_mov_b32 v15, s7
	s_wait_dscnt 0x0
	s_barrier_signal -1
	s_barrier_wait -1
	ds_load_b64 v[10:11], v10
	ds_load_b32 v15, v15 offset:512
	s_wait_dscnt 0x1
	v_readfirstlane_b32 s34, v10
	v_readfirstlane_b32 s35, v11
	s_wait_dscnt 0x0
	v_cmp_neq_f32_e32 vcc_lo, 0, v15
	s_cmp_lg_u64 s[34:35], s[20:21]
	s_cselect_b32 s7, -1, 0
	s_delay_alu instid0(SALU_CYCLE_1) | instskip(NEXT) | instid1(SALU_CYCLE_1)
	s_or_b32 s7, s4, s7
	s_or_b32 vcc_lo, vcc_lo, s7
	v_cndmask_b32_e32 v10, 1.0, v15, vcc_lo
	s_nor_b32 s17, s0, vcc_lo
	s_delay_alu instid0(SALU_CYCLE_1)
	s_and_saveexec_b32 s7, s17
	s_cbranch_execz .LBB85_16
; %bb.13:                               ;   in Loop: Header=BB85_12 Depth=1
	v_mbcnt_lo_u32_b32 v10, exec_lo, 0
	s_mov_b32 s17, exec_lo
	s_delay_alu instid0(VALU_DEP_1)
	v_cmpx_eq_u32_e32 0, v10
	s_cbranch_execz .LBB85_15
; %bb.14:                               ;   in Loop: Header=BB85_12 Depth=1
	v_mov_b64_e32 v[10:11], s[28:29]
	global_atomic_min_u64 v5, v[10:11], s[8:9] scope:SCOPE_DEV
.LBB85_15:                              ;   in Loop: Header=BB85_12 Depth=1
	s_wait_xcnt 0x0
	s_or_b32 exec_lo, exec_lo, s17
	v_mov_b32_e32 v10, 1.0
.LBB85_16:                              ;   in Loop: Header=BB85_12 Depth=1
	s_or_b32 exec_lo, exec_lo, s7
	s_mov_b32 s33, -1
	s_mov_b32 s7, 0
	s_cmp_lt_i32 s5, 1
	s_mov_b32 s17, 0
                                        ; implicit-def: $vgpr11
	s_cbranch_scc0 .LBB85_23
; %bb.17:                               ;   in Loop: Header=BB85_12 Depth=1
	s_and_b32 vcc_lo, exec_lo, s33
	s_mov_b32 s33, 4
	s_cbranch_vccnz .LBB85_28
.LBB85_18:                              ;   in Loop: Header=BB85_12 Depth=1
	v_mov_b32_e32 v15, v12
	s_and_b32 vcc_lo, exec_lo, s17
	s_cbranch_vccnz .LBB85_33
.LBB85_19:                              ;   in Loop: Header=BB85_12 Depth=1
	s_and_b32 vcc_lo, exec_lo, s7
	s_cbranch_vccnz .LBB85_39
.LBB85_20:                              ;   in Loop: Header=BB85_12 Depth=1
	s_mov_b32 s7, -1
	s_cmp_gt_i32 s33, 3
	s_mov_b32 s17, -1
	s_cbranch_scc0 .LBB85_40
.LBB85_21:                              ;   in Loop: Header=BB85_12 Depth=1
	s_and_not1_b32 vcc_lo, exec_lo, s17
	s_cbranch_vccz .LBB85_41
.LBB85_22:                              ;   in Loop: Header=BB85_12 Depth=1
	s_and_not1_b32 vcc_lo, exec_lo, s7
	s_cbranch_vccnz .LBB85_42
	s_branch .LBB85_44
.LBB85_23:                              ;   in Loop: Header=BB85_12 Depth=1
	s_cmp_eq_u32 s5, 1
	s_mov_b32 s17, -1
                                        ; implicit-def: $vgpr11
	s_cbranch_scc0 .LBB85_27
; %bb.24:                               ;   in Loop: Header=BB85_12 Depth=1
	v_cmp_ge_i64_e64 s17, s[34:35], s[20:21]
	v_mov_b32_e32 v11, v14
	s_and_b32 vcc_lo, exec_lo, s17
	s_mov_b32 s17, 0
	s_cbranch_vccz .LBB85_27
; %bb.25:                               ;   in Loop: Header=BB85_12 Depth=1
	s_cmp_eq_u64 s[34:35], s[20:21]
	s_mov_b32 s17, -1
                                        ; implicit-def: $vgpr11
	s_cbranch_scc0 .LBB85_27
; %bb.26:                               ;   in Loop: Header=BB85_12 Depth=1
	v_div_scale_f32 v11, null, v10, v10, 1.0
	s_mov_b32 s17, 0
	v_rcp_f32_e32 v15, v11
	v_nop
	s_delay_alu instid0(TRANS32_DEP_1) | instskip(NEXT) | instid1(VALU_DEP_1)
	v_fma_f32 v16, -v11, v15, 1.0
	v_fmac_f32_e32 v15, v16, v15
	v_div_scale_f32 v16, vcc_lo, 1.0, v10, 1.0
	s_delay_alu instid0(VALU_DEP_1) | instskip(NEXT) | instid1(VALU_DEP_1)
	v_mul_f32_e32 v17, v16, v15
	v_fma_f32 v18, -v11, v17, v16
	s_delay_alu instid0(VALU_DEP_1) | instskip(NEXT) | instid1(VALU_DEP_1)
	v_fmac_f32_e32 v17, v18, v15
	v_fma_f32 v11, -v11, v17, v16
	s_delay_alu instid0(VALU_DEP_1) | instskip(NEXT) | instid1(VALU_DEP_1)
	v_div_fmas_f32 v11, v11, v15, v17
	v_div_fixup_f32 v11, v11, v10, 1.0
	s_delay_alu instid0(VALU_DEP_1)
	v_cndmask_b32_e64 v11, v14, v11, s1
.LBB85_27:                              ;   in Loop: Header=BB85_12 Depth=1
	s_mov_b32 s33, 4
	s_branch .LBB85_18
.LBB85_28:                              ;   in Loop: Header=BB85_12 Depth=1
	s_cmp_eq_u32 s5, 0
	s_cbranch_scc1 .LBB85_30
; %bb.29:                               ;   in Loop: Header=BB85_12 Depth=1
	s_mov_b32 s17, -1
	s_branch .LBB85_32
.LBB85_30:                              ;   in Loop: Header=BB85_12 Depth=1
	v_cmp_le_i64_e64 s17, s[34:35], s[20:21]
	s_and_b32 vcc_lo, exec_lo, s17
	s_mov_b32 s17, 0
	s_cbranch_vccz .LBB85_32
; %bb.31:                               ;   in Loop: Header=BB85_12 Depth=1
	s_cmp_lg_u64 s[34:35], s[20:21]
	s_mov_b32 s7, -1
	s_cselect_b32 s17, -1, 0
.LBB85_32:                              ;   in Loop: Header=BB85_12 Depth=1
	v_mov_b32_e32 v11, v14
	s_mov_b32 s33, 2
	v_mov_b32_e32 v15, v12
	s_and_b32 vcc_lo, exec_lo, s17
	s_cbranch_vccz .LBB85_19
.LBB85_33:                              ;   in Loop: Header=BB85_12 Depth=1
	s_and_saveexec_b32 s7, s3
	s_cbranch_execz .LBB85_36
; %bb.34:                               ;   in Loop: Header=BB85_12 Depth=1
	s_lshl_b64 s[36:37], s[34:35], 2
	s_delay_alu instid0(SALU_CYCLE_1)
	s_add_nc_u64 s[36:37], s[26:27], s[36:37]
	global_load_b32 v11, v5, s[36:37] scope:SCOPE_DEV
	s_wait_loadcnt 0x0
	v_cmp_ne_u32_e32 vcc_lo, 0, v11
	s_cbranch_vccnz .LBB85_36
.LBB85_35:                              ;   Parent Loop BB85_12 Depth=1
                                        ; =>  This Inner Loop Header: Depth=2
	global_load_b32 v11, v5, s[36:37] scope:SCOPE_DEV
	s_wait_loadcnt 0x0
	v_cmp_eq_u32_e32 vcc_lo, 0, v11
	s_cbranch_vccnz .LBB85_35
.LBB85_36:                              ;   in Loop: Header=BB85_12 Depth=1
	s_wait_xcnt 0x0
	s_or_b32 exec_lo, exec_lo, s7
	v_mov_b32_e32 v15, 0
	s_wait_storecnt 0x0
	s_barrier_signal -1
	s_barrier_wait -1
	global_inv scope:SCOPE_DEV
	s_and_saveexec_b32 s7, s2
	s_cbranch_execz .LBB85_38
; %bb.37:                               ;   in Loop: Header=BB85_12 Depth=1
	s_mul_u64 s[34:35], s[34:35], s[10:11]
	s_delay_alu instid0(SALU_CYCLE_1)
	v_lshl_add_u64 v[16:17], s[34:35], 2, v[2:3]
	global_load_b32 v11, v[16:17], off
	s_wait_loadcnt 0x0
	v_fma_f32 v15, -v10, v11, v12
.LBB85_38:                              ;   in Loop: Header=BB85_12 Depth=1
	s_or_b32 exec_lo, exec_lo, s7
	v_mov_b32_e32 v11, v14
	s_mov_b32 s33, 0
	s_branch .LBB85_20
.LBB85_39:                              ;   in Loop: Header=BB85_12 Depth=1
	v_div_scale_f32 v11, null, v10, v10, 1.0
	v_div_scale_f32 v17, vcc_lo, 1.0, v10, 1.0
	s_mov_b32 s33, 2
	v_rcp_f32_e32 v15, v11
	v_nop
	s_delay_alu instid0(TRANS32_DEP_1) | instskip(NEXT) | instid1(VALU_DEP_1)
	v_fma_f32 v16, -v11, v15, 1.0
	v_fmac_f32_e32 v15, v16, v15
	s_delay_alu instid0(VALU_DEP_1) | instskip(NEXT) | instid1(VALU_DEP_1)
	v_mul_f32_e32 v16, v17, v15
	v_fma_f32 v18, -v11, v16, v17
	s_delay_alu instid0(VALU_DEP_1) | instskip(NEXT) | instid1(VALU_DEP_1)
	v_fmac_f32_e32 v16, v18, v15
	v_fma_f32 v11, -v11, v16, v17
	s_delay_alu instid0(VALU_DEP_1) | instskip(SKIP_1) | instid1(VALU_DEP_2)
	v_div_fmas_f32 v11, v11, v15, v16
	v_mov_b32_e32 v15, v12
	v_div_fixup_f32 v10, v11, v10, 1.0
	s_delay_alu instid0(VALU_DEP_1)
	v_cndmask_b32_e64 v11, v14, v10, s1
	s_mov_b32 s7, -1
	s_cmp_gt_i32 s33, 3
	s_mov_b32 s17, -1
	s_cbranch_scc1 .LBB85_21
.LBB85_40:                              ;   in Loop: Header=BB85_12 Depth=1
	s_cmp_eq_u32 s33, 0
	s_cselect_b32 s17, -1, 0
	s_delay_alu instid0(SALU_CYCLE_1)
	s_and_not1_b32 vcc_lo, exec_lo, s17
	s_cbranch_vccnz .LBB85_22
.LBB85_41:                              ;   in Loop: Header=BB85_12 Depth=1
	s_add_nc_u64 s[30:31], s[30:31], 1
	s_delay_alu instid0(SALU_CYCLE_1)
	v_cmp_ge_i64_e64 s7, s[30:31], s[18:19]
	s_and_not1_b32 vcc_lo, exec_lo, s7
	s_cbranch_vccz .LBB85_44
.LBB85_42:                              ;   in Loop: Header=BB85_12 Depth=1
	v_dual_mov_b32 v12, v15 :: v_dual_mov_b32 v14, v11
	s_sub_co_i32 s7, s30, s16
	s_delay_alu instid0(SALU_CYCLE_1) | instskip(NEXT) | instid1(SALU_CYCLE_1)
	s_and_b32 s7, s7, 63
	s_cmp_lg_u32 s7, 0
	s_cbranch_scc1 .LBB85_12
	s_branch .LBB85_9
.LBB85_43:
	v_mov_b32_e32 v15, v12
.LBB85_44:
	s_and_saveexec_b32 s0, s2
	s_cbranch_execz .LBB85_46
; %bb.45:
	s_delay_alu instid0(VALU_DEP_1) | instskip(SKIP_3) | instid1(VALU_DEP_2)
	v_mul_f32_e32 v1, v11, v15
	s_cmp_eq_u32 s6, 0
	v_lshl_add_u64 v[2:3], s[22:23], 2, v[2:3]
	s_cselect_b32 vcc_lo, -1, 0
	v_cndmask_b32_e32 v1, v15, v1, vcc_lo
	global_store_b32 v[2:3], v1, off
.LBB85_46:
	s_wait_xcnt 0x0
	s_or_b32 exec_lo, exec_lo, s0
	global_wb scope:SCOPE_DEV
	s_wait_loadcnt 0x0
	s_wait_storecnt 0x0
	global_inv scope:SCOPE_DEV
	s_wait_loadcnt 0x0
	s_barrier_signal -1
	s_barrier_wait -1
	s_mov_b32 s0, exec_lo
	v_cmpx_eq_u32_e32 0, v0
	s_cbranch_execz .LBB85_48
; %bb.47:
	s_lshl_b64 s[0:1], s[20:21], 2
	v_dual_mov_b32 v0, 0 :: v_dual_mov_b32 v1, 1
	s_add_nc_u64 s[0:1], s[14:15], s[0:1]
	s_lshl_b64 s[2:3], s[12:13], 2
	s_delay_alu instid0(SALU_CYCLE_1)
	s_add_nc_u64 s[0:1], s[0:1], s[2:3]
	global_store_b32 v0, v1, s[0:1] scope:SCOPE_DEV
.LBB85_48:
	s_endpgm
.LBB85_49:
                                        ; implicit-def: $sgpr22_sgpr23
	s_clause 0x1
	s_load_b64 s[8:9], s[0:1], 0x50
	s_load_b64 s[16:17], s[0:1], 0x20
	s_branch .LBB85_4
	.section	.rodata,"a",@progbits
	.p2align	6, 0x0
	.amdhsa_kernel _ZN9rocsparseL5csrsmILj64ELj64ELb0EllfEEv20rocsparse_operation_T3_S2_NS_24const_host_device_scalarIT4_EEPKT2_PKS2_PKS4_PS4_lPiSA_PS2_21rocsparse_index_base_20rocsparse_fill_mode_20rocsparse_diag_type_b
		.amdhsa_group_segment_fixed_size 768
		.amdhsa_private_segment_fixed_size 0
		.amdhsa_kernarg_size 112
		.amdhsa_user_sgpr_count 2
		.amdhsa_user_sgpr_dispatch_ptr 0
		.amdhsa_user_sgpr_queue_ptr 0
		.amdhsa_user_sgpr_kernarg_segment_ptr 1
		.amdhsa_user_sgpr_dispatch_id 0
		.amdhsa_user_sgpr_kernarg_preload_length 0
		.amdhsa_user_sgpr_kernarg_preload_offset 0
		.amdhsa_user_sgpr_private_segment_size 0
		.amdhsa_wavefront_size32 1
		.amdhsa_uses_dynamic_stack 0
		.amdhsa_enable_private_segment 0
		.amdhsa_system_sgpr_workgroup_id_x 1
		.amdhsa_system_sgpr_workgroup_id_y 0
		.amdhsa_system_sgpr_workgroup_id_z 0
		.amdhsa_system_sgpr_workgroup_info 0
		.amdhsa_system_vgpr_workitem_id 0
		.amdhsa_next_free_vgpr 19
		.amdhsa_next_free_sgpr 38
		.amdhsa_named_barrier_count 0
		.amdhsa_reserve_vcc 1
		.amdhsa_float_round_mode_32 0
		.amdhsa_float_round_mode_16_64 0
		.amdhsa_float_denorm_mode_32 3
		.amdhsa_float_denorm_mode_16_64 3
		.amdhsa_fp16_overflow 0
		.amdhsa_memory_ordered 1
		.amdhsa_forward_progress 1
		.amdhsa_inst_pref_size 18
		.amdhsa_round_robin_scheduling 0
		.amdhsa_exception_fp_ieee_invalid_op 0
		.amdhsa_exception_fp_denorm_src 0
		.amdhsa_exception_fp_ieee_div_zero 0
		.amdhsa_exception_fp_ieee_overflow 0
		.amdhsa_exception_fp_ieee_underflow 0
		.amdhsa_exception_fp_ieee_inexact 0
		.amdhsa_exception_int_div_zero 0
	.end_amdhsa_kernel
	.section	.text._ZN9rocsparseL5csrsmILj64ELj64ELb0EllfEEv20rocsparse_operation_T3_S2_NS_24const_host_device_scalarIT4_EEPKT2_PKS2_PKS4_PS4_lPiSA_PS2_21rocsparse_index_base_20rocsparse_fill_mode_20rocsparse_diag_type_b,"axG",@progbits,_ZN9rocsparseL5csrsmILj64ELj64ELb0EllfEEv20rocsparse_operation_T3_S2_NS_24const_host_device_scalarIT4_EEPKT2_PKS2_PKS4_PS4_lPiSA_PS2_21rocsparse_index_base_20rocsparse_fill_mode_20rocsparse_diag_type_b,comdat
.Lfunc_end85:
	.size	_ZN9rocsparseL5csrsmILj64ELj64ELb0EllfEEv20rocsparse_operation_T3_S2_NS_24const_host_device_scalarIT4_EEPKT2_PKS2_PKS4_PS4_lPiSA_PS2_21rocsparse_index_base_20rocsparse_fill_mode_20rocsparse_diag_type_b, .Lfunc_end85-_ZN9rocsparseL5csrsmILj64ELj64ELb0EllfEEv20rocsparse_operation_T3_S2_NS_24const_host_device_scalarIT4_EEPKT2_PKS2_PKS4_PS4_lPiSA_PS2_21rocsparse_index_base_20rocsparse_fill_mode_20rocsparse_diag_type_b
                                        ; -- End function
	.set _ZN9rocsparseL5csrsmILj64ELj64ELb0EllfEEv20rocsparse_operation_T3_S2_NS_24const_host_device_scalarIT4_EEPKT2_PKS2_PKS4_PS4_lPiSA_PS2_21rocsparse_index_base_20rocsparse_fill_mode_20rocsparse_diag_type_b.num_vgpr, 19
	.set _ZN9rocsparseL5csrsmILj64ELj64ELb0EllfEEv20rocsparse_operation_T3_S2_NS_24const_host_device_scalarIT4_EEPKT2_PKS2_PKS4_PS4_lPiSA_PS2_21rocsparse_index_base_20rocsparse_fill_mode_20rocsparse_diag_type_b.num_agpr, 0
	.set _ZN9rocsparseL5csrsmILj64ELj64ELb0EllfEEv20rocsparse_operation_T3_S2_NS_24const_host_device_scalarIT4_EEPKT2_PKS2_PKS4_PS4_lPiSA_PS2_21rocsparse_index_base_20rocsparse_fill_mode_20rocsparse_diag_type_b.numbered_sgpr, 38
	.set _ZN9rocsparseL5csrsmILj64ELj64ELb0EllfEEv20rocsparse_operation_T3_S2_NS_24const_host_device_scalarIT4_EEPKT2_PKS2_PKS4_PS4_lPiSA_PS2_21rocsparse_index_base_20rocsparse_fill_mode_20rocsparse_diag_type_b.num_named_barrier, 0
	.set _ZN9rocsparseL5csrsmILj64ELj64ELb0EllfEEv20rocsparse_operation_T3_S2_NS_24const_host_device_scalarIT4_EEPKT2_PKS2_PKS4_PS4_lPiSA_PS2_21rocsparse_index_base_20rocsparse_fill_mode_20rocsparse_diag_type_b.private_seg_size, 0
	.set _ZN9rocsparseL5csrsmILj64ELj64ELb0EllfEEv20rocsparse_operation_T3_S2_NS_24const_host_device_scalarIT4_EEPKT2_PKS2_PKS4_PS4_lPiSA_PS2_21rocsparse_index_base_20rocsparse_fill_mode_20rocsparse_diag_type_b.uses_vcc, 1
	.set _ZN9rocsparseL5csrsmILj64ELj64ELb0EllfEEv20rocsparse_operation_T3_S2_NS_24const_host_device_scalarIT4_EEPKT2_PKS2_PKS4_PS4_lPiSA_PS2_21rocsparse_index_base_20rocsparse_fill_mode_20rocsparse_diag_type_b.uses_flat_scratch, 0
	.set _ZN9rocsparseL5csrsmILj64ELj64ELb0EllfEEv20rocsparse_operation_T3_S2_NS_24const_host_device_scalarIT4_EEPKT2_PKS2_PKS4_PS4_lPiSA_PS2_21rocsparse_index_base_20rocsparse_fill_mode_20rocsparse_diag_type_b.has_dyn_sized_stack, 0
	.set _ZN9rocsparseL5csrsmILj64ELj64ELb0EllfEEv20rocsparse_operation_T3_S2_NS_24const_host_device_scalarIT4_EEPKT2_PKS2_PKS4_PS4_lPiSA_PS2_21rocsparse_index_base_20rocsparse_fill_mode_20rocsparse_diag_type_b.has_recursion, 0
	.set _ZN9rocsparseL5csrsmILj64ELj64ELb0EllfEEv20rocsparse_operation_T3_S2_NS_24const_host_device_scalarIT4_EEPKT2_PKS2_PKS4_PS4_lPiSA_PS2_21rocsparse_index_base_20rocsparse_fill_mode_20rocsparse_diag_type_b.has_indirect_call, 0
	.section	.AMDGPU.csdata,"",@progbits
; Kernel info:
; codeLenInByte = 2292
; TotalNumSgprs: 40
; NumVgprs: 19
; ScratchSize: 0
; MemoryBound: 0
; FloatMode: 240
; IeeeMode: 1
; LDSByteSize: 768 bytes/workgroup (compile time only)
; SGPRBlocks: 0
; VGPRBlocks: 1
; NumSGPRsForWavesPerEU: 40
; NumVGPRsForWavesPerEU: 19
; NamedBarCnt: 0
; Occupancy: 16
; WaveLimiterHint : 1
; COMPUTE_PGM_RSRC2:SCRATCH_EN: 0
; COMPUTE_PGM_RSRC2:USER_SGPR: 2
; COMPUTE_PGM_RSRC2:TRAP_HANDLER: 0
; COMPUTE_PGM_RSRC2:TGID_X_EN: 1
; COMPUTE_PGM_RSRC2:TGID_Y_EN: 0
; COMPUTE_PGM_RSRC2:TGID_Z_EN: 0
; COMPUTE_PGM_RSRC2:TIDIG_COMP_CNT: 0
	.section	.text._ZN9rocsparseL5csrsmILj128ELj64ELb1EllfEEv20rocsparse_operation_T3_S2_NS_24const_host_device_scalarIT4_EEPKT2_PKS2_PKS4_PS4_lPiSA_PS2_21rocsparse_index_base_20rocsparse_fill_mode_20rocsparse_diag_type_b,"axG",@progbits,_ZN9rocsparseL5csrsmILj128ELj64ELb1EllfEEv20rocsparse_operation_T3_S2_NS_24const_host_device_scalarIT4_EEPKT2_PKS2_PKS4_PS4_lPiSA_PS2_21rocsparse_index_base_20rocsparse_fill_mode_20rocsparse_diag_type_b,comdat
	.globl	_ZN9rocsparseL5csrsmILj128ELj64ELb1EllfEEv20rocsparse_operation_T3_S2_NS_24const_host_device_scalarIT4_EEPKT2_PKS2_PKS4_PS4_lPiSA_PS2_21rocsparse_index_base_20rocsparse_fill_mode_20rocsparse_diag_type_b ; -- Begin function _ZN9rocsparseL5csrsmILj128ELj64ELb1EllfEEv20rocsparse_operation_T3_S2_NS_24const_host_device_scalarIT4_EEPKT2_PKS2_PKS4_PS4_lPiSA_PS2_21rocsparse_index_base_20rocsparse_fill_mode_20rocsparse_diag_type_b
	.p2align	8
	.type	_ZN9rocsparseL5csrsmILj128ELj64ELb1EllfEEv20rocsparse_operation_T3_S2_NS_24const_host_device_scalarIT4_EEPKT2_PKS2_PKS4_PS4_lPiSA_PS2_21rocsparse_index_base_20rocsparse_fill_mode_20rocsparse_diag_type_b,@function
_ZN9rocsparseL5csrsmILj128ELj64ELb1EllfEEv20rocsparse_operation_T3_S2_NS_24const_host_device_scalarIT4_EEPKT2_PKS2_PKS4_PS4_lPiSA_PS2_21rocsparse_index_base_20rocsparse_fill_mode_20rocsparse_diag_type_b: ; @_ZN9rocsparseL5csrsmILj128ELj64ELb1EllfEEv20rocsparse_operation_T3_S2_NS_24const_host_device_scalarIT4_EEPKT2_PKS2_PKS4_PS4_lPiSA_PS2_21rocsparse_index_base_20rocsparse_fill_mode_20rocsparse_diag_type_b
; %bb.0:
	s_clause 0x2
	s_load_b128 s[4:7], s[0:1], 0x60
	s_load_b128 s[12:15], s[0:1], 0x8
	s_load_b64 s[24:25], s[0:1], 0x18
	s_wait_kmcnt 0x0
	s_bitcmp1_b32 s7, 0
	s_cselect_b32 s2, -1, 0
	s_delay_alu instid0(SALU_CYCLE_1)
	s_and_b32 vcc_lo, exec_lo, s2
	s_cbranch_vccnz .LBB86_2
; %bb.1:
	s_load_b32 s24, s[24:25], 0x0
.LBB86_2:
	s_bfe_u32 s2, ttmp6, 0x4000c
	s_and_b32 s3, ttmp6, 15
	s_add_co_i32 s2, s2, 1
	s_getreg_b32 s7, hwreg(HW_REG_IB_STS2, 6, 4)
	s_mul_i32 s2, ttmp9, s2
	s_delay_alu instid0(SALU_CYCLE_1)
	s_add_co_i32 s3, s3, s2
	s_cmp_eq_u32 s7, 0
	s_cselect_b32 s2, ttmp9, s3
	s_and_b64 s[8:9], s[12:13], 0xffffffff00000000
	s_mov_b32 s3, 0
	s_cmp_lg_u64 s[8:9], 0
	s_cbranch_scc0 .LBB86_52
; %bb.3:
	s_ashr_i32 s8, s13, 31
	s_mov_b32 s21, s3
	s_mov_b32 s9, s8
	;; [unrolled: 1-line block ×3, first 2 shown]
	s_add_nc_u64 s[10:11], s[12:13], s[8:9]
	s_delay_alu instid0(SALU_CYCLE_1) | instskip(NEXT) | instid1(SALU_CYCLE_1)
	s_xor_b64 s[10:11], s[10:11], s[8:9]
	s_cvt_f32_u32 s7, s10
	s_cvt_f32_u32 s16, s11
	s_sub_nc_u64 s[18:19], 0, s[10:11]
	s_delay_alu instid0(SALU_CYCLE_2) | instskip(NEXT) | instid1(SALU_CYCLE_3)
	s_fmamk_f32 s7, s16, 0x4f800000, s7
	v_s_rcp_f32 s7, s7
	s_delay_alu instid0(TRANS32_DEP_1) | instskip(NEXT) | instid1(SALU_CYCLE_3)
	s_mul_f32 s7, s7, 0x5f7ffffc
	s_mul_f32 s16, s7, 0x2f800000
	s_delay_alu instid0(SALU_CYCLE_3) | instskip(NEXT) | instid1(SALU_CYCLE_3)
	s_trunc_f32 s16, s16
	s_fmamk_f32 s7, s16, 0xcf800000, s7
	s_cvt_u32_f32 s17, s16
	s_delay_alu instid0(SALU_CYCLE_2) | instskip(NEXT) | instid1(SALU_CYCLE_3)
	s_cvt_u32_f32 s16, s7
	s_mul_u64 s[22:23], s[18:19], s[16:17]
	s_delay_alu instid0(SALU_CYCLE_1)
	s_mul_hi_u32 s29, s16, s23
	s_mul_i32 s28, s16, s23
	s_mul_hi_u32 s20, s16, s22
	s_wait_xcnt 0x0
	s_mul_i32 s25, s17, s22
	s_add_nc_u64 s[20:21], s[20:21], s[28:29]
	s_mul_hi_u32 s7, s17, s22
	s_mul_hi_u32 s30, s17, s23
	s_add_co_u32 s20, s20, s25
	s_add_co_ci_u32 s26, s21, s7
	s_mul_i32 s22, s17, s23
	s_add_co_ci_u32 s23, s30, 0
	s_delay_alu instid0(SALU_CYCLE_1) | instskip(SKIP_3) | instid1(SALU_CYCLE_1)
	s_add_nc_u64 s[20:21], s[26:27], s[22:23]
	s_mov_b32 s23, s3
	s_add_co_u32 s16, s16, s20
	s_cselect_b32 s7, -1, 0
	s_cmp_lg_u32 s7, 0
	s_add_co_ci_u32 s17, s17, s21
	s_mov_b32 s21, s3
	s_mul_u64 s[18:19], s[18:19], s[16:17]
	s_delay_alu instid0(SALU_CYCLE_1)
	s_mul_hi_u32 s27, s16, s19
	s_mul_i32 s26, s16, s19
	s_mul_hi_u32 s20, s16, s18
	s_mul_i32 s22, s17, s18
	s_add_nc_u64 s[20:21], s[20:21], s[26:27]
	s_mul_hi_u32 s7, s17, s18
	s_mul_hi_u32 s25, s17, s19
	s_mul_i32 s18, s17, s19
	s_add_co_u32 s19, s20, s22
	s_add_co_ci_u32 s22, s21, s7
	s_add_co_ci_u32 s19, s25, 0
	s_add_nc_u64 s[20:21], s[2:3], 0
	s_add_nc_u64 s[18:19], s[22:23], s[18:19]
	s_delay_alu instid0(SALU_CYCLE_1) | instskip(SKIP_1) | instid1(SALU_CYCLE_1)
	s_add_co_u32 s7, s16, s18
	s_cselect_b32 s16, -1, 0
	s_cmp_lg_u32 s16, 0
	s_add_co_ci_u32 s18, s17, s19
	s_xor_b64 s[16:17], s[20:21], 0
	s_mov_b32 s19, s3
	s_mul_hi_u32 s21, s16, s18
	s_mul_i32 s20, s16, s18
	s_mul_hi_u32 s22, s16, s7
	s_mul_hi_u32 s26, s17, s7
	s_mul_i32 s7, s17, s7
	s_add_nc_u64 s[20:21], s[22:23], s[20:21]
	s_mul_hi_u32 s25, s17, s18
	s_add_co_u32 s7, s20, s7
	s_mul_i32 s22, s17, s18
	s_add_co_ci_u32 s18, s21, s26
	s_add_co_ci_u32 s23, s25, 0
	s_delay_alu instid0(SALU_CYCLE_1) | instskip(NEXT) | instid1(SALU_CYCLE_1)
	s_add_nc_u64 s[18:19], s[18:19], s[22:23]
	s_and_b64 s[20:21], s[18:19], 0xffffffff00000000
	s_delay_alu instid0(SALU_CYCLE_1) | instskip(NEXT) | instid1(SALU_CYCLE_1)
	s_or_b32 s20, s20, s18
	s_mul_u64 s[18:19], s[10:11], s[20:21]
	s_delay_alu instid0(SALU_CYCLE_1)
	s_sub_co_u32 s7, s16, s18
	s_cselect_b32 s16, -1, 0
	s_sub_co_i32 s18, s17, s19
	s_cmp_lg_u32 s16, 0
	s_sub_co_ci_u32 s18, s18, s11
	s_sub_co_u32 s22, s7, s10
	s_cselect_b32 s23, -1, 0
	s_delay_alu instid0(SALU_CYCLE_1) | instskip(SKIP_1) | instid1(SALU_CYCLE_1)
	s_cmp_lg_u32 s23, 0
	s_sub_co_ci_u32 s18, s18, 0
	s_cmp_ge_u32 s18, s11
	s_cselect_b32 s25, -1, 0
	s_cmp_ge_u32 s22, s10
	s_add_nc_u64 s[22:23], s[20:21], 1
	s_cselect_b32 s26, -1, 0
	s_cmp_eq_u32 s18, s11
	s_cselect_b32 s18, s26, s25
	s_add_nc_u64 s[26:27], s[20:21], 2
	s_cmp_lg_u32 s18, 0
	s_cselect_b32 s18, s26, s22
	s_cselect_b32 s22, s27, s23
	s_cmp_lg_u32 s16, 0
	s_sub_co_ci_u32 s16, s17, s19
	s_delay_alu instid0(SALU_CYCLE_1)
	s_cmp_ge_u32 s16, s11
	s_cselect_b32 s17, -1, 0
	s_cmp_ge_u32 s7, s10
	s_cselect_b32 s7, -1, 0
	s_cmp_eq_u32 s16, s11
	s_cselect_b32 s7, s7, s17
	s_delay_alu instid0(SALU_CYCLE_1) | instskip(SKIP_4) | instid1(SALU_CYCLE_1)
	s_cmp_lg_u32 s7, 0
	s_mov_b32 s7, s3
	s_cselect_b32 s11, s22, s21
	s_cselect_b32 s10, s18, s20
	s_xor_b64 s[8:9], 0, s[8:9]
	s_xor_b64 s[10:11], s[10:11], s[8:9]
	s_delay_alu instid0(SALU_CYCLE_1)
	s_sub_nc_u64 s[22:23], s[10:11], s[8:9]
	s_clause 0x1
	s_load_b64 s[8:9], s[0:1], 0x50
	s_load_b64 s[16:17], s[0:1], 0x20
	s_and_not1_b32 vcc_lo, exec_lo, s7
	s_cbranch_vccnz .LBB86_5
.LBB86_4:
	v_cvt_f32_u32_e32 v1, s12
	s_sub_co_i32 s10, 0, s12
	s_mov_b32 s23, 0
	s_delay_alu instid0(VALU_DEP_1) | instskip(SKIP_1) | instid1(TRANS32_DEP_1)
	v_rcp_iflag_f32_e32 v1, v1
	v_nop
	v_mul_f32_e32 v1, 0x4f7ffffe, v1
	s_delay_alu instid0(VALU_DEP_1) | instskip(NEXT) | instid1(VALU_DEP_1)
	v_cvt_u32_f32_e32 v1, v1
	v_readfirstlane_b32 s7, v1
	s_mul_i32 s10, s10, s7
	s_delay_alu instid0(SALU_CYCLE_1) | instskip(NEXT) | instid1(SALU_CYCLE_1)
	s_mul_hi_u32 s10, s7, s10
	s_add_co_i32 s7, s7, s10
	s_delay_alu instid0(SALU_CYCLE_1) | instskip(NEXT) | instid1(SALU_CYCLE_1)
	s_mul_hi_u32 s7, s2, s7
	s_mul_i32 s10, s7, s12
	s_add_co_i32 s11, s7, 1
	s_sub_co_i32 s10, s2, s10
	s_delay_alu instid0(SALU_CYCLE_1)
	s_sub_co_i32 s18, s10, s12
	s_cmp_ge_u32 s10, s12
	s_cselect_b32 s7, s11, s7
	s_cselect_b32 s10, s18, s10
	s_add_co_i32 s11, s7, 1
	s_cmp_ge_u32 s10, s12
	s_cselect_b32 s22, s11, s7
.LBB86_5:
	s_delay_alu instid0(SALU_CYCLE_1) | instskip(SKIP_2) | instid1(SALU_CYCLE_1)
	s_mul_u64 s[12:13], s[22:23], s[12:13]
	v_mov_b32_e32 v1, 0
	s_sub_nc_u64 s[2:3], s[2:3], s[12:13]
	s_lshl_b64 s[2:3], s[2:3], 3
	s_delay_alu instid0(VALU_DEP_1)
	v_mov_b32_e32 v12, v1
	s_wait_kmcnt 0x0
	s_add_nc_u64 s[2:3], s[8:9], s[2:3]
	s_load_b128 s[8:11], s[0:1], 0x38
	s_load_b64 s[20:21], s[2:3], 0x0
	s_wait_kmcnt 0x0
	s_lshl_b64 s[2:3], s[20:21], 3
	s_delay_alu instid0(SALU_CYCLE_1)
	s_add_nc_u64 s[2:3], s[16:17], s[2:3]
	s_load_b128 s[16:19], s[2:3], 0x0
	s_wait_xcnt 0x0
	s_lshl_b64 s[2:3], s[22:23], 7
	s_mul_u64 s[22:23], s[20:21], s[10:11]
	v_dual_mov_b32 v3, s3 :: v_dual_bitop2_b32 v2, s2, v0 bitop3:0x54
	s_delay_alu instid0(VALU_DEP_1)
	v_cmp_gt_i64_e64 s2, s[14:15], v[2:3]
	s_and_saveexec_b32 s3, s2
	s_cbranch_execz .LBB86_7
; %bb.6:
	v_add_nc_u64_e32 v[4:5], s[22:23], v[2:3]
	s_delay_alu instid0(VALU_DEP_1)
	v_lshl_add_u64 v[4:5], v[4:5], 2, s[8:9]
	global_load_b32 v4, v[4:5], off
	s_wait_loadcnt 0x0
	v_mul_f32_e32 v12, s24, v4
.LBB86_7:
	s_or_b32 exec_lo, exec_lo, s3
	s_load_b64 s[14:15], s[0:1], 0x48
	s_wait_kmcnt 0x0
	v_cmp_ge_i64_e64 s3, s[16:17], s[18:19]
	v_lshl_add_u64 v[2:3], v[2:3], 2, s[8:9]
	v_mov_b32_e32 v11, 1.0
	s_and_b32 vcc_lo, exec_lo, s3
	v_cmp_eq_u32_e64 s3, 0, v0
	s_cbranch_vccnz .LBB86_46
; %bb.8:
	s_clause 0x1
	s_load_b128 s[28:31], s[0:1], 0x28
	s_load_b64 s[8:9], s[0:1], 0x58
	v_dual_mov_b32 v5, 0 :: v_dual_lshlrev_b32 v4, 3, v0
	v_lshlrev_b32_e32 v8, 2, v0
	s_wait_xcnt 0x0
	s_lshl_b64 s[0:1], s[12:13], 2
	s_mov_b32 s25, 0
	s_mov_b32 s24, s4
	v_mov_b32_e32 v9, v5
	v_or_b32_e32 v13, 0x400, v8
	s_cmp_lg_u32 s6, 0
	s_add_nc_u64 s[26:27], s[14:15], s[0:1]
	v_cmp_ne_u32_e64 s0, 0, v0
	v_mov_b32_e32 v14, 1.0
	s_sub_nc_u64 s[16:17], s[16:17], s[24:25]
	s_cselect_b32 s4, -1, 0
	s_cmp_eq_u32 s6, 0
	s_sub_nc_u64 s[18:19], s[18:19], s[24:25]
	s_cselect_b32 s1, -1, 0
	s_wait_kmcnt 0x0
	v_add_nc_u64_e32 v[6:7], s[28:29], v[4:5]
	v_add_nc_u64_e32 v[8:9], s[30:31], v[8:9]
	s_add_nc_u64 s[28:29], s[20:21], s[24:25]
	s_mov_b64 s[30:31], s[16:17]
	s_delay_alu instid0(SALU_CYCLE_1) | instskip(NEXT) | instid1(SALU_CYCLE_1)
	s_sub_co_i32 s7, s30, s16
	s_and_b32 s7, s7, 0x7f
	s_delay_alu instid0(SALU_CYCLE_1)
	s_cmp_lg_u32 s7, 0
	s_cbranch_scc1 .LBB86_12
.LBB86_9:
	v_mov_b64_e32 v[10:11], -1
	v_mov_b32_e32 v15, -1.0
	s_sub_nc_u64 s[34:35], s[18:19], s[30:31]
	s_mov_b32 s17, exec_lo
	v_cmpx_gt_i64_e64 s[34:35], v[0:1]
	s_cbranch_execz .LBB86_11
; %bb.10:
	v_lshl_add_u64 v[10:11], s[30:31], 3, v[6:7]
	v_lshl_add_u64 v[16:17], s[30:31], 2, v[8:9]
	global_load_b64 v[10:11], v[10:11], off
	global_load_b32 v15, v[16:17], off
	s_wait_loadcnt 0x1
	s_wait_xcnt 0x1
	v_sub_nc_u64_e64 v[10:11], v[10:11], s[24:25]
.LBB86_11:
	s_wait_xcnt 0x0
	s_or_b32 exec_lo, exec_lo, s17
	ds_store_b64 v4, v[10:11]
	s_wait_loadcnt 0x0
	ds_store_b32 v13, v15
.LBB86_12:                              ; =>This Loop Header: Depth=1
                                        ;     Child Loop BB86_44 Depth 2
                                        ;       Child Loop BB86_45 Depth 3
	s_lshl_b32 s17, s7, 3
	s_lshl_b32 s7, s7, 2
	s_delay_alu instid0(SALU_CYCLE_1)
	v_dual_mov_b32 v10, s17 :: v_dual_mov_b32 v15, s7
	s_wait_dscnt 0x0
	s_barrier_signal -1
	s_barrier_wait -1
	ds_load_b64 v[10:11], v10
	ds_load_b32 v15, v15 offset:1024
	s_wait_dscnt 0x1
	v_readfirstlane_b32 s34, v10
	v_readfirstlane_b32 s35, v11
	s_wait_dscnt 0x0
	v_cmp_neq_f32_e32 vcc_lo, 0, v15
	s_cmp_lg_u64 s[34:35], s[20:21]
	s_cselect_b32 s7, -1, 0
	s_delay_alu instid0(SALU_CYCLE_1) | instskip(NEXT) | instid1(SALU_CYCLE_1)
	s_or_b32 s7, s4, s7
	s_or_b32 vcc_lo, vcc_lo, s7
	v_cndmask_b32_e32 v10, 1.0, v15, vcc_lo
	s_nor_b32 s17, s0, vcc_lo
	s_delay_alu instid0(SALU_CYCLE_1)
	s_and_saveexec_b32 s7, s17
	s_cbranch_execz .LBB86_16
; %bb.13:                               ;   in Loop: Header=BB86_12 Depth=1
	v_mbcnt_lo_u32_b32 v10, exec_lo, 0
	s_mov_b32 s17, exec_lo
	s_delay_alu instid0(VALU_DEP_1)
	v_cmpx_eq_u32_e32 0, v10
	s_cbranch_execz .LBB86_15
; %bb.14:                               ;   in Loop: Header=BB86_12 Depth=1
	v_mov_b64_e32 v[10:11], s[28:29]
	global_atomic_min_u64 v5, v[10:11], s[8:9] scope:SCOPE_DEV
.LBB86_15:                              ;   in Loop: Header=BB86_12 Depth=1
	s_wait_xcnt 0x0
	s_or_b32 exec_lo, exec_lo, s17
	v_mov_b32_e32 v10, 1.0
.LBB86_16:                              ;   in Loop: Header=BB86_12 Depth=1
	s_or_b32 exec_lo, exec_lo, s7
	s_mov_b32 s33, -1
	s_mov_b32 s7, 0
	s_cmp_lt_i32 s5, 1
	s_mov_b32 s17, 0
                                        ; implicit-def: $vgpr11
	s_cbranch_scc0 .LBB86_23
; %bb.17:                               ;   in Loop: Header=BB86_12 Depth=1
	s_and_b32 vcc_lo, exec_lo, s33
	s_mov_b32 s33, 4
	s_cbranch_vccnz .LBB86_28
.LBB86_18:                              ;   in Loop: Header=BB86_12 Depth=1
	v_mov_b32_e32 v15, v12
	s_and_b32 vcc_lo, exec_lo, s17
	s_cbranch_vccnz .LBB86_33
.LBB86_19:                              ;   in Loop: Header=BB86_12 Depth=1
	s_and_b32 vcc_lo, exec_lo, s7
	s_cbranch_vccnz .LBB86_38
.LBB86_20:                              ;   in Loop: Header=BB86_12 Depth=1
	s_mov_b32 s7, -1
	s_cmp_gt_i32 s33, 3
	s_mov_b32 s17, -1
	s_cbranch_scc0 .LBB86_39
.LBB86_21:                              ;   in Loop: Header=BB86_12 Depth=1
	s_and_not1_b32 vcc_lo, exec_lo, s17
	s_cbranch_vccz .LBB86_40
.LBB86_22:                              ;   in Loop: Header=BB86_12 Depth=1
	s_and_not1_b32 vcc_lo, exec_lo, s7
	s_cbranch_vccnz .LBB86_41
	s_branch .LBB86_47
.LBB86_23:                              ;   in Loop: Header=BB86_12 Depth=1
	s_cmp_eq_u32 s5, 1
	s_mov_b32 s17, -1
                                        ; implicit-def: $vgpr11
	s_cbranch_scc0 .LBB86_27
; %bb.24:                               ;   in Loop: Header=BB86_12 Depth=1
	v_cmp_ge_i64_e64 s17, s[34:35], s[20:21]
	v_mov_b32_e32 v11, v14
	s_and_b32 vcc_lo, exec_lo, s17
	s_mov_b32 s17, 0
	s_cbranch_vccz .LBB86_27
; %bb.25:                               ;   in Loop: Header=BB86_12 Depth=1
	s_cmp_eq_u64 s[34:35], s[20:21]
	s_mov_b32 s17, -1
                                        ; implicit-def: $vgpr11
	s_cbranch_scc0 .LBB86_27
; %bb.26:                               ;   in Loop: Header=BB86_12 Depth=1
	v_div_scale_f32 v11, null, v10, v10, 1.0
	s_mov_b32 s17, 0
	v_rcp_f32_e32 v15, v11
	v_nop
	s_delay_alu instid0(TRANS32_DEP_1) | instskip(NEXT) | instid1(VALU_DEP_1)
	v_fma_f32 v16, -v11, v15, 1.0
	v_fmac_f32_e32 v15, v16, v15
	v_div_scale_f32 v16, vcc_lo, 1.0, v10, 1.0
	s_delay_alu instid0(VALU_DEP_1) | instskip(NEXT) | instid1(VALU_DEP_1)
	v_mul_f32_e32 v17, v16, v15
	v_fma_f32 v18, -v11, v17, v16
	s_delay_alu instid0(VALU_DEP_1) | instskip(NEXT) | instid1(VALU_DEP_1)
	v_fmac_f32_e32 v17, v18, v15
	v_fma_f32 v11, -v11, v17, v16
	s_delay_alu instid0(VALU_DEP_1) | instskip(NEXT) | instid1(VALU_DEP_1)
	v_div_fmas_f32 v11, v11, v15, v17
	v_div_fixup_f32 v11, v11, v10, 1.0
	s_delay_alu instid0(VALU_DEP_1)
	v_cndmask_b32_e64 v11, v14, v11, s1
.LBB86_27:                              ;   in Loop: Header=BB86_12 Depth=1
	s_mov_b32 s33, 4
	s_branch .LBB86_18
.LBB86_28:                              ;   in Loop: Header=BB86_12 Depth=1
	s_cmp_eq_u32 s5, 0
	s_cbranch_scc1 .LBB86_30
; %bb.29:                               ;   in Loop: Header=BB86_12 Depth=1
	s_mov_b32 s17, -1
	s_branch .LBB86_32
.LBB86_30:                              ;   in Loop: Header=BB86_12 Depth=1
	v_cmp_le_i64_e64 s17, s[34:35], s[20:21]
	s_and_b32 vcc_lo, exec_lo, s17
	s_mov_b32 s17, 0
	s_cbranch_vccz .LBB86_32
; %bb.31:                               ;   in Loop: Header=BB86_12 Depth=1
	s_cmp_lg_u64 s[34:35], s[20:21]
	s_mov_b32 s7, -1
	s_cselect_b32 s17, -1, 0
.LBB86_32:                              ;   in Loop: Header=BB86_12 Depth=1
	v_mov_b32_e32 v11, v14
	s_mov_b32 s33, 2
	v_mov_b32_e32 v15, v12
	s_and_b32 vcc_lo, exec_lo, s17
	s_cbranch_vccz .LBB86_19
.LBB86_33:                              ;   in Loop: Header=BB86_12 Depth=1
	s_and_saveexec_b32 s7, s3
	s_cbranch_execz .LBB86_35
; %bb.34:                               ;   in Loop: Header=BB86_12 Depth=1
	s_lshl_b64 s[36:37], s[34:35], 2
	s_delay_alu instid0(SALU_CYCLE_1)
	s_add_nc_u64 s[36:37], s[26:27], s[36:37]
	global_load_b32 v11, v5, s[36:37] scope:SCOPE_DEV
	s_wait_loadcnt 0x0
	v_cmp_ne_u32_e32 vcc_lo, 0, v11
	s_cbranch_vccz .LBB86_42
.LBB86_35:                              ;   in Loop: Header=BB86_12 Depth=1
	s_wait_xcnt 0x0
	s_or_b32 exec_lo, exec_lo, s7
	v_mov_b32_e32 v15, 0
	s_wait_storecnt 0x0
	s_barrier_signal -1
	s_barrier_wait -1
	global_inv scope:SCOPE_DEV
	s_and_saveexec_b32 s7, s2
	s_cbranch_execz .LBB86_37
; %bb.36:                               ;   in Loop: Header=BB86_12 Depth=1
	s_mul_u64 s[34:35], s[34:35], s[10:11]
	s_delay_alu instid0(SALU_CYCLE_1)
	v_lshl_add_u64 v[16:17], s[34:35], 2, v[2:3]
	global_load_b32 v11, v[16:17], off
	s_wait_loadcnt 0x0
	v_fma_f32 v15, -v10, v11, v12
.LBB86_37:                              ;   in Loop: Header=BB86_12 Depth=1
	s_or_b32 exec_lo, exec_lo, s7
	v_mov_b32_e32 v11, v14
	s_mov_b32 s33, 0
	s_branch .LBB86_20
.LBB86_38:                              ;   in Loop: Header=BB86_12 Depth=1
	v_div_scale_f32 v11, null, v10, v10, 1.0
	v_div_scale_f32 v17, vcc_lo, 1.0, v10, 1.0
	s_mov_b32 s33, 2
	v_rcp_f32_e32 v15, v11
	v_nop
	s_delay_alu instid0(TRANS32_DEP_1) | instskip(NEXT) | instid1(VALU_DEP_1)
	v_fma_f32 v16, -v11, v15, 1.0
	v_fmac_f32_e32 v15, v16, v15
	s_delay_alu instid0(VALU_DEP_1) | instskip(NEXT) | instid1(VALU_DEP_1)
	v_mul_f32_e32 v16, v17, v15
	v_fma_f32 v18, -v11, v16, v17
	s_delay_alu instid0(VALU_DEP_1) | instskip(NEXT) | instid1(VALU_DEP_1)
	v_fmac_f32_e32 v16, v18, v15
	v_fma_f32 v11, -v11, v16, v17
	s_delay_alu instid0(VALU_DEP_1) | instskip(SKIP_1) | instid1(VALU_DEP_2)
	v_div_fmas_f32 v11, v11, v15, v16
	v_mov_b32_e32 v15, v12
	v_div_fixup_f32 v10, v11, v10, 1.0
	s_delay_alu instid0(VALU_DEP_1)
	v_cndmask_b32_e64 v11, v14, v10, s1
	s_mov_b32 s7, -1
	s_cmp_gt_i32 s33, 3
	s_mov_b32 s17, -1
	s_cbranch_scc1 .LBB86_21
.LBB86_39:                              ;   in Loop: Header=BB86_12 Depth=1
	s_cmp_eq_u32 s33, 0
	s_cselect_b32 s17, -1, 0
	s_delay_alu instid0(SALU_CYCLE_1)
	s_and_not1_b32 vcc_lo, exec_lo, s17
	s_cbranch_vccnz .LBB86_22
.LBB86_40:                              ;   in Loop: Header=BB86_12 Depth=1
	s_add_nc_u64 s[30:31], s[30:31], 1
	s_delay_alu instid0(SALU_CYCLE_1)
	v_cmp_ge_i64_e64 s7, s[30:31], s[18:19]
	s_and_not1_b32 vcc_lo, exec_lo, s7
	s_cbranch_vccz .LBB86_47
.LBB86_41:                              ;   in Loop: Header=BB86_12 Depth=1
	v_dual_mov_b32 v12, v15 :: v_dual_mov_b32 v14, v11
	s_sub_co_i32 s7, s30, s16
	s_delay_alu instid0(SALU_CYCLE_1) | instskip(NEXT) | instid1(SALU_CYCLE_1)
	s_and_b32 s7, s7, 0x7f
	s_cmp_lg_u32 s7, 0
	s_cbranch_scc1 .LBB86_12
	s_branch .LBB86_9
.LBB86_42:                              ;   in Loop: Header=BB86_12 Depth=1
	s_mov_b32 s17, 0
	s_branch .LBB86_44
.LBB86_43:                              ;   in Loop: Header=BB86_44 Depth=2
	global_load_b32 v11, v5, s[36:37] scope:SCOPE_DEV
	s_cmp_lt_u32 s17, 0xf43
	s_cselect_b32 s33, -1, 0
	s_delay_alu instid0(SALU_CYCLE_1)
	s_cmp_lg_u32 s33, 0
	s_add_co_ci_u32 s17, s17, 0
	s_wait_loadcnt 0x0
	v_cmp_ne_u32_e32 vcc_lo, 0, v11
	s_cbranch_vccnz .LBB86_35
.LBB86_44:                              ;   Parent Loop BB86_12 Depth=1
                                        ; =>  This Loop Header: Depth=2
                                        ;       Child Loop BB86_45 Depth 3
	s_cmp_eq_u32 s17, 0
	s_mov_b32 s33, s17
	s_cbranch_scc1 .LBB86_43
.LBB86_45:                              ;   Parent Loop BB86_12 Depth=1
                                        ;     Parent Loop BB86_44 Depth=2
                                        ; =>    This Inner Loop Header: Depth=3
	s_add_co_i32 s33, s33, -1
	s_sleep 1
	s_cmp_eq_u32 s33, 0
	s_cbranch_scc0 .LBB86_45
	s_branch .LBB86_43
.LBB86_46:
	v_mov_b32_e32 v15, v12
.LBB86_47:
	s_and_saveexec_b32 s0, s2
	s_cbranch_execz .LBB86_49
; %bb.48:
	s_delay_alu instid0(VALU_DEP_1) | instskip(SKIP_3) | instid1(VALU_DEP_2)
	v_mul_f32_e32 v1, v11, v15
	s_cmp_eq_u32 s6, 0
	v_lshl_add_u64 v[2:3], s[22:23], 2, v[2:3]
	s_cselect_b32 vcc_lo, -1, 0
	v_cndmask_b32_e32 v1, v15, v1, vcc_lo
	global_store_b32 v[2:3], v1, off
.LBB86_49:
	s_wait_xcnt 0x0
	s_or_b32 exec_lo, exec_lo, s0
	global_wb scope:SCOPE_DEV
	s_wait_loadcnt 0x0
	s_wait_storecnt 0x0
	global_inv scope:SCOPE_DEV
	s_wait_loadcnt 0x0
	s_barrier_signal -1
	s_barrier_wait -1
	s_mov_b32 s0, exec_lo
	v_cmpx_eq_u32_e32 0, v0
	s_cbranch_execz .LBB86_51
; %bb.50:
	s_lshl_b64 s[0:1], s[20:21], 2
	v_dual_mov_b32 v0, 0 :: v_dual_mov_b32 v1, 1
	s_add_nc_u64 s[0:1], s[14:15], s[0:1]
	s_lshl_b64 s[2:3], s[12:13], 2
	s_delay_alu instid0(SALU_CYCLE_1)
	s_add_nc_u64 s[0:1], s[0:1], s[2:3]
	global_store_b32 v0, v1, s[0:1] scope:SCOPE_DEV
.LBB86_51:
	s_endpgm
.LBB86_52:
                                        ; implicit-def: $sgpr22_sgpr23
	s_clause 0x1
	s_load_b64 s[8:9], s[0:1], 0x50
	s_load_b64 s[16:17], s[0:1], 0x20
	s_branch .LBB86_4
	.section	.rodata,"a",@progbits
	.p2align	6, 0x0
	.amdhsa_kernel _ZN9rocsparseL5csrsmILj128ELj64ELb1EllfEEv20rocsparse_operation_T3_S2_NS_24const_host_device_scalarIT4_EEPKT2_PKS2_PKS4_PS4_lPiSA_PS2_21rocsparse_index_base_20rocsparse_fill_mode_20rocsparse_diag_type_b
		.amdhsa_group_segment_fixed_size 1536
		.amdhsa_private_segment_fixed_size 0
		.amdhsa_kernarg_size 112
		.amdhsa_user_sgpr_count 2
		.amdhsa_user_sgpr_dispatch_ptr 0
		.amdhsa_user_sgpr_queue_ptr 0
		.amdhsa_user_sgpr_kernarg_segment_ptr 1
		.amdhsa_user_sgpr_dispatch_id 0
		.amdhsa_user_sgpr_kernarg_preload_length 0
		.amdhsa_user_sgpr_kernarg_preload_offset 0
		.amdhsa_user_sgpr_private_segment_size 0
		.amdhsa_wavefront_size32 1
		.amdhsa_uses_dynamic_stack 0
		.amdhsa_enable_private_segment 0
		.amdhsa_system_sgpr_workgroup_id_x 1
		.amdhsa_system_sgpr_workgroup_id_y 0
		.amdhsa_system_sgpr_workgroup_id_z 0
		.amdhsa_system_sgpr_workgroup_info 0
		.amdhsa_system_vgpr_workitem_id 0
		.amdhsa_next_free_vgpr 19
		.amdhsa_next_free_sgpr 38
		.amdhsa_named_barrier_count 0
		.amdhsa_reserve_vcc 1
		.amdhsa_float_round_mode_32 0
		.amdhsa_float_round_mode_16_64 0
		.amdhsa_float_denorm_mode_32 3
		.amdhsa_float_denorm_mode_16_64 3
		.amdhsa_fp16_overflow 0
		.amdhsa_memory_ordered 1
		.amdhsa_forward_progress 1
		.amdhsa_inst_pref_size 19
		.amdhsa_round_robin_scheduling 0
		.amdhsa_exception_fp_ieee_invalid_op 0
		.amdhsa_exception_fp_denorm_src 0
		.amdhsa_exception_fp_ieee_div_zero 0
		.amdhsa_exception_fp_ieee_overflow 0
		.amdhsa_exception_fp_ieee_underflow 0
		.amdhsa_exception_fp_ieee_inexact 0
		.amdhsa_exception_int_div_zero 0
	.end_amdhsa_kernel
	.section	.text._ZN9rocsparseL5csrsmILj128ELj64ELb1EllfEEv20rocsparse_operation_T3_S2_NS_24const_host_device_scalarIT4_EEPKT2_PKS2_PKS4_PS4_lPiSA_PS2_21rocsparse_index_base_20rocsparse_fill_mode_20rocsparse_diag_type_b,"axG",@progbits,_ZN9rocsparseL5csrsmILj128ELj64ELb1EllfEEv20rocsparse_operation_T3_S2_NS_24const_host_device_scalarIT4_EEPKT2_PKS2_PKS4_PS4_lPiSA_PS2_21rocsparse_index_base_20rocsparse_fill_mode_20rocsparse_diag_type_b,comdat
.Lfunc_end86:
	.size	_ZN9rocsparseL5csrsmILj128ELj64ELb1EllfEEv20rocsparse_operation_T3_S2_NS_24const_host_device_scalarIT4_EEPKT2_PKS2_PKS4_PS4_lPiSA_PS2_21rocsparse_index_base_20rocsparse_fill_mode_20rocsparse_diag_type_b, .Lfunc_end86-_ZN9rocsparseL5csrsmILj128ELj64ELb1EllfEEv20rocsparse_operation_T3_S2_NS_24const_host_device_scalarIT4_EEPKT2_PKS2_PKS4_PS4_lPiSA_PS2_21rocsparse_index_base_20rocsparse_fill_mode_20rocsparse_diag_type_b
                                        ; -- End function
	.set _ZN9rocsparseL5csrsmILj128ELj64ELb1EllfEEv20rocsparse_operation_T3_S2_NS_24const_host_device_scalarIT4_EEPKT2_PKS2_PKS4_PS4_lPiSA_PS2_21rocsparse_index_base_20rocsparse_fill_mode_20rocsparse_diag_type_b.num_vgpr, 19
	.set _ZN9rocsparseL5csrsmILj128ELj64ELb1EllfEEv20rocsparse_operation_T3_S2_NS_24const_host_device_scalarIT4_EEPKT2_PKS2_PKS4_PS4_lPiSA_PS2_21rocsparse_index_base_20rocsparse_fill_mode_20rocsparse_diag_type_b.num_agpr, 0
	.set _ZN9rocsparseL5csrsmILj128ELj64ELb1EllfEEv20rocsparse_operation_T3_S2_NS_24const_host_device_scalarIT4_EEPKT2_PKS2_PKS4_PS4_lPiSA_PS2_21rocsparse_index_base_20rocsparse_fill_mode_20rocsparse_diag_type_b.numbered_sgpr, 38
	.set _ZN9rocsparseL5csrsmILj128ELj64ELb1EllfEEv20rocsparse_operation_T3_S2_NS_24const_host_device_scalarIT4_EEPKT2_PKS2_PKS4_PS4_lPiSA_PS2_21rocsparse_index_base_20rocsparse_fill_mode_20rocsparse_diag_type_b.num_named_barrier, 0
	.set _ZN9rocsparseL5csrsmILj128ELj64ELb1EllfEEv20rocsparse_operation_T3_S2_NS_24const_host_device_scalarIT4_EEPKT2_PKS2_PKS4_PS4_lPiSA_PS2_21rocsparse_index_base_20rocsparse_fill_mode_20rocsparse_diag_type_b.private_seg_size, 0
	.set _ZN9rocsparseL5csrsmILj128ELj64ELb1EllfEEv20rocsparse_operation_T3_S2_NS_24const_host_device_scalarIT4_EEPKT2_PKS2_PKS4_PS4_lPiSA_PS2_21rocsparse_index_base_20rocsparse_fill_mode_20rocsparse_diag_type_b.uses_vcc, 1
	.set _ZN9rocsparseL5csrsmILj128ELj64ELb1EllfEEv20rocsparse_operation_T3_S2_NS_24const_host_device_scalarIT4_EEPKT2_PKS2_PKS4_PS4_lPiSA_PS2_21rocsparse_index_base_20rocsparse_fill_mode_20rocsparse_diag_type_b.uses_flat_scratch, 0
	.set _ZN9rocsparseL5csrsmILj128ELj64ELb1EllfEEv20rocsparse_operation_T3_S2_NS_24const_host_device_scalarIT4_EEPKT2_PKS2_PKS4_PS4_lPiSA_PS2_21rocsparse_index_base_20rocsparse_fill_mode_20rocsparse_diag_type_b.has_dyn_sized_stack, 0
	.set _ZN9rocsparseL5csrsmILj128ELj64ELb1EllfEEv20rocsparse_operation_T3_S2_NS_24const_host_device_scalarIT4_EEPKT2_PKS2_PKS4_PS4_lPiSA_PS2_21rocsparse_index_base_20rocsparse_fill_mode_20rocsparse_diag_type_b.has_recursion, 0
	.set _ZN9rocsparseL5csrsmILj128ELj64ELb1EllfEEv20rocsparse_operation_T3_S2_NS_24const_host_device_scalarIT4_EEPKT2_PKS2_PKS4_PS4_lPiSA_PS2_21rocsparse_index_base_20rocsparse_fill_mode_20rocsparse_diag_type_b.has_indirect_call, 0
	.section	.AMDGPU.csdata,"",@progbits
; Kernel info:
; codeLenInByte = 2364
; TotalNumSgprs: 40
; NumVgprs: 19
; ScratchSize: 0
; MemoryBound: 0
; FloatMode: 240
; IeeeMode: 1
; LDSByteSize: 1536 bytes/workgroup (compile time only)
; SGPRBlocks: 0
; VGPRBlocks: 1
; NumSGPRsForWavesPerEU: 40
; NumVGPRsForWavesPerEU: 19
; NamedBarCnt: 0
; Occupancy: 16
; WaveLimiterHint : 1
; COMPUTE_PGM_RSRC2:SCRATCH_EN: 0
; COMPUTE_PGM_RSRC2:USER_SGPR: 2
; COMPUTE_PGM_RSRC2:TRAP_HANDLER: 0
; COMPUTE_PGM_RSRC2:TGID_X_EN: 1
; COMPUTE_PGM_RSRC2:TGID_Y_EN: 0
; COMPUTE_PGM_RSRC2:TGID_Z_EN: 0
; COMPUTE_PGM_RSRC2:TIDIG_COMP_CNT: 0
	.section	.text._ZN9rocsparseL5csrsmILj128ELj64ELb0EllfEEv20rocsparse_operation_T3_S2_NS_24const_host_device_scalarIT4_EEPKT2_PKS2_PKS4_PS4_lPiSA_PS2_21rocsparse_index_base_20rocsparse_fill_mode_20rocsparse_diag_type_b,"axG",@progbits,_ZN9rocsparseL5csrsmILj128ELj64ELb0EllfEEv20rocsparse_operation_T3_S2_NS_24const_host_device_scalarIT4_EEPKT2_PKS2_PKS4_PS4_lPiSA_PS2_21rocsparse_index_base_20rocsparse_fill_mode_20rocsparse_diag_type_b,comdat
	.globl	_ZN9rocsparseL5csrsmILj128ELj64ELb0EllfEEv20rocsparse_operation_T3_S2_NS_24const_host_device_scalarIT4_EEPKT2_PKS2_PKS4_PS4_lPiSA_PS2_21rocsparse_index_base_20rocsparse_fill_mode_20rocsparse_diag_type_b ; -- Begin function _ZN9rocsparseL5csrsmILj128ELj64ELb0EllfEEv20rocsparse_operation_T3_S2_NS_24const_host_device_scalarIT4_EEPKT2_PKS2_PKS4_PS4_lPiSA_PS2_21rocsparse_index_base_20rocsparse_fill_mode_20rocsparse_diag_type_b
	.p2align	8
	.type	_ZN9rocsparseL5csrsmILj128ELj64ELb0EllfEEv20rocsparse_operation_T3_S2_NS_24const_host_device_scalarIT4_EEPKT2_PKS2_PKS4_PS4_lPiSA_PS2_21rocsparse_index_base_20rocsparse_fill_mode_20rocsparse_diag_type_b,@function
_ZN9rocsparseL5csrsmILj128ELj64ELb0EllfEEv20rocsparse_operation_T3_S2_NS_24const_host_device_scalarIT4_EEPKT2_PKS2_PKS4_PS4_lPiSA_PS2_21rocsparse_index_base_20rocsparse_fill_mode_20rocsparse_diag_type_b: ; @_ZN9rocsparseL5csrsmILj128ELj64ELb0EllfEEv20rocsparse_operation_T3_S2_NS_24const_host_device_scalarIT4_EEPKT2_PKS2_PKS4_PS4_lPiSA_PS2_21rocsparse_index_base_20rocsparse_fill_mode_20rocsparse_diag_type_b
; %bb.0:
	s_clause 0x2
	s_load_b128 s[4:7], s[0:1], 0x60
	s_load_b128 s[12:15], s[0:1], 0x8
	s_load_b64 s[24:25], s[0:1], 0x18
	s_wait_kmcnt 0x0
	s_bitcmp1_b32 s7, 0
	s_cselect_b32 s2, -1, 0
	s_delay_alu instid0(SALU_CYCLE_1)
	s_and_b32 vcc_lo, exec_lo, s2
	s_cbranch_vccnz .LBB87_2
; %bb.1:
	s_load_b32 s24, s[24:25], 0x0
.LBB87_2:
	s_bfe_u32 s2, ttmp6, 0x4000c
	s_and_b32 s3, ttmp6, 15
	s_add_co_i32 s2, s2, 1
	s_getreg_b32 s7, hwreg(HW_REG_IB_STS2, 6, 4)
	s_mul_i32 s2, ttmp9, s2
	s_delay_alu instid0(SALU_CYCLE_1)
	s_add_co_i32 s3, s3, s2
	s_cmp_eq_u32 s7, 0
	s_cselect_b32 s2, ttmp9, s3
	s_and_b64 s[8:9], s[12:13], 0xffffffff00000000
	s_mov_b32 s3, 0
	s_cmp_lg_u64 s[8:9], 0
	s_cbranch_scc0 .LBB87_49
; %bb.3:
	s_ashr_i32 s8, s13, 31
	s_mov_b32 s21, s3
	s_mov_b32 s9, s8
	;; [unrolled: 1-line block ×3, first 2 shown]
	s_add_nc_u64 s[10:11], s[12:13], s[8:9]
	s_delay_alu instid0(SALU_CYCLE_1) | instskip(NEXT) | instid1(SALU_CYCLE_1)
	s_xor_b64 s[10:11], s[10:11], s[8:9]
	s_cvt_f32_u32 s7, s10
	s_cvt_f32_u32 s16, s11
	s_sub_nc_u64 s[18:19], 0, s[10:11]
	s_delay_alu instid0(SALU_CYCLE_2) | instskip(NEXT) | instid1(SALU_CYCLE_3)
	s_fmamk_f32 s7, s16, 0x4f800000, s7
	v_s_rcp_f32 s7, s7
	s_delay_alu instid0(TRANS32_DEP_1) | instskip(NEXT) | instid1(SALU_CYCLE_3)
	s_mul_f32 s7, s7, 0x5f7ffffc
	s_mul_f32 s16, s7, 0x2f800000
	s_delay_alu instid0(SALU_CYCLE_3) | instskip(NEXT) | instid1(SALU_CYCLE_3)
	s_trunc_f32 s16, s16
	s_fmamk_f32 s7, s16, 0xcf800000, s7
	s_cvt_u32_f32 s17, s16
	s_delay_alu instid0(SALU_CYCLE_2) | instskip(NEXT) | instid1(SALU_CYCLE_3)
	s_cvt_u32_f32 s16, s7
	s_mul_u64 s[22:23], s[18:19], s[16:17]
	s_delay_alu instid0(SALU_CYCLE_1)
	s_mul_hi_u32 s29, s16, s23
	s_mul_i32 s28, s16, s23
	s_mul_hi_u32 s20, s16, s22
	s_wait_xcnt 0x0
	s_mul_i32 s25, s17, s22
	s_add_nc_u64 s[20:21], s[20:21], s[28:29]
	s_mul_hi_u32 s7, s17, s22
	s_mul_hi_u32 s30, s17, s23
	s_add_co_u32 s20, s20, s25
	s_add_co_ci_u32 s26, s21, s7
	s_mul_i32 s22, s17, s23
	s_add_co_ci_u32 s23, s30, 0
	s_delay_alu instid0(SALU_CYCLE_1) | instskip(SKIP_3) | instid1(SALU_CYCLE_1)
	s_add_nc_u64 s[20:21], s[26:27], s[22:23]
	s_mov_b32 s23, s3
	s_add_co_u32 s16, s16, s20
	s_cselect_b32 s7, -1, 0
	s_cmp_lg_u32 s7, 0
	s_add_co_ci_u32 s17, s17, s21
	s_mov_b32 s21, s3
	s_mul_u64 s[18:19], s[18:19], s[16:17]
	s_delay_alu instid0(SALU_CYCLE_1)
	s_mul_hi_u32 s27, s16, s19
	s_mul_i32 s26, s16, s19
	s_mul_hi_u32 s20, s16, s18
	s_mul_i32 s22, s17, s18
	s_add_nc_u64 s[20:21], s[20:21], s[26:27]
	s_mul_hi_u32 s7, s17, s18
	s_mul_hi_u32 s25, s17, s19
	s_mul_i32 s18, s17, s19
	s_add_co_u32 s19, s20, s22
	s_add_co_ci_u32 s22, s21, s7
	s_add_co_ci_u32 s19, s25, 0
	s_add_nc_u64 s[20:21], s[2:3], 0
	s_add_nc_u64 s[18:19], s[22:23], s[18:19]
	s_delay_alu instid0(SALU_CYCLE_1) | instskip(SKIP_1) | instid1(SALU_CYCLE_1)
	s_add_co_u32 s7, s16, s18
	s_cselect_b32 s16, -1, 0
	s_cmp_lg_u32 s16, 0
	s_add_co_ci_u32 s18, s17, s19
	s_xor_b64 s[16:17], s[20:21], 0
	s_mov_b32 s19, s3
	s_mul_hi_u32 s21, s16, s18
	s_mul_i32 s20, s16, s18
	s_mul_hi_u32 s22, s16, s7
	s_mul_hi_u32 s26, s17, s7
	s_mul_i32 s7, s17, s7
	s_add_nc_u64 s[20:21], s[22:23], s[20:21]
	s_mul_hi_u32 s25, s17, s18
	s_add_co_u32 s7, s20, s7
	s_mul_i32 s22, s17, s18
	s_add_co_ci_u32 s18, s21, s26
	s_add_co_ci_u32 s23, s25, 0
	s_delay_alu instid0(SALU_CYCLE_1) | instskip(NEXT) | instid1(SALU_CYCLE_1)
	s_add_nc_u64 s[18:19], s[18:19], s[22:23]
	s_and_b64 s[20:21], s[18:19], 0xffffffff00000000
	s_delay_alu instid0(SALU_CYCLE_1) | instskip(NEXT) | instid1(SALU_CYCLE_1)
	s_or_b32 s20, s20, s18
	s_mul_u64 s[18:19], s[10:11], s[20:21]
	s_delay_alu instid0(SALU_CYCLE_1)
	s_sub_co_u32 s7, s16, s18
	s_cselect_b32 s16, -1, 0
	s_sub_co_i32 s18, s17, s19
	s_cmp_lg_u32 s16, 0
	s_sub_co_ci_u32 s18, s18, s11
	s_sub_co_u32 s22, s7, s10
	s_cselect_b32 s23, -1, 0
	s_delay_alu instid0(SALU_CYCLE_1) | instskip(SKIP_1) | instid1(SALU_CYCLE_1)
	s_cmp_lg_u32 s23, 0
	s_sub_co_ci_u32 s18, s18, 0
	s_cmp_ge_u32 s18, s11
	s_cselect_b32 s25, -1, 0
	s_cmp_ge_u32 s22, s10
	s_add_nc_u64 s[22:23], s[20:21], 1
	s_cselect_b32 s26, -1, 0
	s_cmp_eq_u32 s18, s11
	s_cselect_b32 s18, s26, s25
	s_add_nc_u64 s[26:27], s[20:21], 2
	s_cmp_lg_u32 s18, 0
	s_cselect_b32 s18, s26, s22
	s_cselect_b32 s22, s27, s23
	s_cmp_lg_u32 s16, 0
	s_sub_co_ci_u32 s16, s17, s19
	s_delay_alu instid0(SALU_CYCLE_1)
	s_cmp_ge_u32 s16, s11
	s_cselect_b32 s17, -1, 0
	s_cmp_ge_u32 s7, s10
	s_cselect_b32 s7, -1, 0
	s_cmp_eq_u32 s16, s11
	s_cselect_b32 s7, s7, s17
	s_delay_alu instid0(SALU_CYCLE_1) | instskip(SKIP_4) | instid1(SALU_CYCLE_1)
	s_cmp_lg_u32 s7, 0
	s_mov_b32 s7, s3
	s_cselect_b32 s11, s22, s21
	s_cselect_b32 s10, s18, s20
	s_xor_b64 s[8:9], 0, s[8:9]
	s_xor_b64 s[10:11], s[10:11], s[8:9]
	s_delay_alu instid0(SALU_CYCLE_1)
	s_sub_nc_u64 s[22:23], s[10:11], s[8:9]
	s_clause 0x1
	s_load_b64 s[8:9], s[0:1], 0x50
	s_load_b64 s[16:17], s[0:1], 0x20
	s_and_not1_b32 vcc_lo, exec_lo, s7
	s_cbranch_vccnz .LBB87_5
.LBB87_4:
	v_cvt_f32_u32_e32 v1, s12
	s_sub_co_i32 s10, 0, s12
	s_mov_b32 s23, 0
	s_delay_alu instid0(VALU_DEP_1) | instskip(SKIP_1) | instid1(TRANS32_DEP_1)
	v_rcp_iflag_f32_e32 v1, v1
	v_nop
	v_mul_f32_e32 v1, 0x4f7ffffe, v1
	s_delay_alu instid0(VALU_DEP_1) | instskip(NEXT) | instid1(VALU_DEP_1)
	v_cvt_u32_f32_e32 v1, v1
	v_readfirstlane_b32 s7, v1
	s_mul_i32 s10, s10, s7
	s_delay_alu instid0(SALU_CYCLE_1) | instskip(NEXT) | instid1(SALU_CYCLE_1)
	s_mul_hi_u32 s10, s7, s10
	s_add_co_i32 s7, s7, s10
	s_delay_alu instid0(SALU_CYCLE_1) | instskip(NEXT) | instid1(SALU_CYCLE_1)
	s_mul_hi_u32 s7, s2, s7
	s_mul_i32 s10, s7, s12
	s_add_co_i32 s11, s7, 1
	s_sub_co_i32 s10, s2, s10
	s_delay_alu instid0(SALU_CYCLE_1)
	s_sub_co_i32 s18, s10, s12
	s_cmp_ge_u32 s10, s12
	s_cselect_b32 s7, s11, s7
	s_cselect_b32 s10, s18, s10
	s_add_co_i32 s11, s7, 1
	s_cmp_ge_u32 s10, s12
	s_cselect_b32 s22, s11, s7
.LBB87_5:
	s_delay_alu instid0(SALU_CYCLE_1) | instskip(SKIP_2) | instid1(SALU_CYCLE_1)
	s_mul_u64 s[12:13], s[22:23], s[12:13]
	v_mov_b32_e32 v1, 0
	s_sub_nc_u64 s[2:3], s[2:3], s[12:13]
	s_lshl_b64 s[2:3], s[2:3], 3
	s_delay_alu instid0(VALU_DEP_1)
	v_mov_b32_e32 v12, v1
	s_wait_kmcnt 0x0
	s_add_nc_u64 s[2:3], s[8:9], s[2:3]
	s_load_b128 s[8:11], s[0:1], 0x38
	s_load_b64 s[20:21], s[2:3], 0x0
	s_wait_kmcnt 0x0
	s_lshl_b64 s[2:3], s[20:21], 3
	s_delay_alu instid0(SALU_CYCLE_1)
	s_add_nc_u64 s[2:3], s[16:17], s[2:3]
	s_load_b128 s[16:19], s[2:3], 0x0
	s_wait_xcnt 0x0
	s_lshl_b64 s[2:3], s[22:23], 7
	s_mul_u64 s[22:23], s[20:21], s[10:11]
	v_dual_mov_b32 v3, s3 :: v_dual_bitop2_b32 v2, s2, v0 bitop3:0x54
	s_delay_alu instid0(VALU_DEP_1)
	v_cmp_gt_i64_e64 s2, s[14:15], v[2:3]
	s_and_saveexec_b32 s3, s2
	s_cbranch_execz .LBB87_7
; %bb.6:
	v_add_nc_u64_e32 v[4:5], s[22:23], v[2:3]
	s_delay_alu instid0(VALU_DEP_1)
	v_lshl_add_u64 v[4:5], v[4:5], 2, s[8:9]
	global_load_b32 v4, v[4:5], off
	s_wait_loadcnt 0x0
	v_mul_f32_e32 v12, s24, v4
.LBB87_7:
	s_or_b32 exec_lo, exec_lo, s3
	s_load_b64 s[14:15], s[0:1], 0x48
	s_wait_kmcnt 0x0
	v_cmp_ge_i64_e64 s3, s[16:17], s[18:19]
	v_lshl_add_u64 v[2:3], v[2:3], 2, s[8:9]
	v_mov_b32_e32 v11, 1.0
	s_and_b32 vcc_lo, exec_lo, s3
	v_cmp_eq_u32_e64 s3, 0, v0
	s_cbranch_vccnz .LBB87_43
; %bb.8:
	s_clause 0x1
	s_load_b128 s[28:31], s[0:1], 0x28
	s_load_b64 s[8:9], s[0:1], 0x58
	v_dual_mov_b32 v5, 0 :: v_dual_lshlrev_b32 v4, 3, v0
	v_lshlrev_b32_e32 v8, 2, v0
	s_wait_xcnt 0x0
	s_lshl_b64 s[0:1], s[12:13], 2
	s_mov_b32 s25, 0
	s_mov_b32 s24, s4
	v_mov_b32_e32 v9, v5
	v_or_b32_e32 v13, 0x400, v8
	s_cmp_lg_u32 s6, 0
	s_add_nc_u64 s[26:27], s[14:15], s[0:1]
	v_cmp_ne_u32_e64 s0, 0, v0
	v_mov_b32_e32 v14, 1.0
	s_sub_nc_u64 s[16:17], s[16:17], s[24:25]
	s_cselect_b32 s4, -1, 0
	s_cmp_eq_u32 s6, 0
	s_sub_nc_u64 s[18:19], s[18:19], s[24:25]
	s_cselect_b32 s1, -1, 0
	s_wait_kmcnt 0x0
	v_add_nc_u64_e32 v[6:7], s[28:29], v[4:5]
	v_add_nc_u64_e32 v[8:9], s[30:31], v[8:9]
	s_add_nc_u64 s[28:29], s[20:21], s[24:25]
	s_mov_b64 s[30:31], s[16:17]
	s_delay_alu instid0(SALU_CYCLE_1) | instskip(NEXT) | instid1(SALU_CYCLE_1)
	s_sub_co_i32 s7, s30, s16
	s_and_b32 s7, s7, 0x7f
	s_delay_alu instid0(SALU_CYCLE_1)
	s_cmp_lg_u32 s7, 0
	s_cbranch_scc1 .LBB87_12
.LBB87_9:
	v_mov_b64_e32 v[10:11], -1
	v_mov_b32_e32 v15, -1.0
	s_sub_nc_u64 s[34:35], s[18:19], s[30:31]
	s_mov_b32 s17, exec_lo
	v_cmpx_gt_i64_e64 s[34:35], v[0:1]
	s_cbranch_execz .LBB87_11
; %bb.10:
	v_lshl_add_u64 v[10:11], s[30:31], 3, v[6:7]
	v_lshl_add_u64 v[16:17], s[30:31], 2, v[8:9]
	global_load_b64 v[10:11], v[10:11], off
	global_load_b32 v15, v[16:17], off
	s_wait_loadcnt 0x1
	s_wait_xcnt 0x1
	v_sub_nc_u64_e64 v[10:11], v[10:11], s[24:25]
.LBB87_11:
	s_wait_xcnt 0x0
	s_or_b32 exec_lo, exec_lo, s17
	ds_store_b64 v4, v[10:11]
	s_wait_loadcnt 0x0
	ds_store_b32 v13, v15
.LBB87_12:                              ; =>This Loop Header: Depth=1
                                        ;     Child Loop BB87_35 Depth 2
	s_lshl_b32 s17, s7, 3
	s_lshl_b32 s7, s7, 2
	s_delay_alu instid0(SALU_CYCLE_1)
	v_dual_mov_b32 v10, s17 :: v_dual_mov_b32 v15, s7
	s_wait_dscnt 0x0
	s_barrier_signal -1
	s_barrier_wait -1
	ds_load_b64 v[10:11], v10
	ds_load_b32 v15, v15 offset:1024
	s_wait_dscnt 0x1
	v_readfirstlane_b32 s34, v10
	v_readfirstlane_b32 s35, v11
	s_wait_dscnt 0x0
	v_cmp_neq_f32_e32 vcc_lo, 0, v15
	s_cmp_lg_u64 s[34:35], s[20:21]
	s_cselect_b32 s7, -1, 0
	s_delay_alu instid0(SALU_CYCLE_1) | instskip(NEXT) | instid1(SALU_CYCLE_1)
	s_or_b32 s7, s4, s7
	s_or_b32 vcc_lo, vcc_lo, s7
	v_cndmask_b32_e32 v10, 1.0, v15, vcc_lo
	s_nor_b32 s17, s0, vcc_lo
	s_delay_alu instid0(SALU_CYCLE_1)
	s_and_saveexec_b32 s7, s17
	s_cbranch_execz .LBB87_16
; %bb.13:                               ;   in Loop: Header=BB87_12 Depth=1
	v_mbcnt_lo_u32_b32 v10, exec_lo, 0
	s_mov_b32 s17, exec_lo
	s_delay_alu instid0(VALU_DEP_1)
	v_cmpx_eq_u32_e32 0, v10
	s_cbranch_execz .LBB87_15
; %bb.14:                               ;   in Loop: Header=BB87_12 Depth=1
	v_mov_b64_e32 v[10:11], s[28:29]
	global_atomic_min_u64 v5, v[10:11], s[8:9] scope:SCOPE_DEV
.LBB87_15:                              ;   in Loop: Header=BB87_12 Depth=1
	s_wait_xcnt 0x0
	s_or_b32 exec_lo, exec_lo, s17
	v_mov_b32_e32 v10, 1.0
.LBB87_16:                              ;   in Loop: Header=BB87_12 Depth=1
	s_or_b32 exec_lo, exec_lo, s7
	s_mov_b32 s33, -1
	s_mov_b32 s7, 0
	s_cmp_lt_i32 s5, 1
	s_mov_b32 s17, 0
                                        ; implicit-def: $vgpr11
	s_cbranch_scc0 .LBB87_23
; %bb.17:                               ;   in Loop: Header=BB87_12 Depth=1
	s_and_b32 vcc_lo, exec_lo, s33
	s_mov_b32 s33, 4
	s_cbranch_vccnz .LBB87_28
.LBB87_18:                              ;   in Loop: Header=BB87_12 Depth=1
	v_mov_b32_e32 v15, v12
	s_and_b32 vcc_lo, exec_lo, s17
	s_cbranch_vccnz .LBB87_33
.LBB87_19:                              ;   in Loop: Header=BB87_12 Depth=1
	s_and_b32 vcc_lo, exec_lo, s7
	s_cbranch_vccnz .LBB87_39
.LBB87_20:                              ;   in Loop: Header=BB87_12 Depth=1
	s_mov_b32 s7, -1
	s_cmp_gt_i32 s33, 3
	s_mov_b32 s17, -1
	s_cbranch_scc0 .LBB87_40
.LBB87_21:                              ;   in Loop: Header=BB87_12 Depth=1
	s_and_not1_b32 vcc_lo, exec_lo, s17
	s_cbranch_vccz .LBB87_41
.LBB87_22:                              ;   in Loop: Header=BB87_12 Depth=1
	s_and_not1_b32 vcc_lo, exec_lo, s7
	s_cbranch_vccnz .LBB87_42
	s_branch .LBB87_44
.LBB87_23:                              ;   in Loop: Header=BB87_12 Depth=1
	s_cmp_eq_u32 s5, 1
	s_mov_b32 s17, -1
                                        ; implicit-def: $vgpr11
	s_cbranch_scc0 .LBB87_27
; %bb.24:                               ;   in Loop: Header=BB87_12 Depth=1
	v_cmp_ge_i64_e64 s17, s[34:35], s[20:21]
	v_mov_b32_e32 v11, v14
	s_and_b32 vcc_lo, exec_lo, s17
	s_mov_b32 s17, 0
	s_cbranch_vccz .LBB87_27
; %bb.25:                               ;   in Loop: Header=BB87_12 Depth=1
	s_cmp_eq_u64 s[34:35], s[20:21]
	s_mov_b32 s17, -1
                                        ; implicit-def: $vgpr11
	s_cbranch_scc0 .LBB87_27
; %bb.26:                               ;   in Loop: Header=BB87_12 Depth=1
	v_div_scale_f32 v11, null, v10, v10, 1.0
	s_mov_b32 s17, 0
	v_rcp_f32_e32 v15, v11
	v_nop
	s_delay_alu instid0(TRANS32_DEP_1) | instskip(NEXT) | instid1(VALU_DEP_1)
	v_fma_f32 v16, -v11, v15, 1.0
	v_fmac_f32_e32 v15, v16, v15
	v_div_scale_f32 v16, vcc_lo, 1.0, v10, 1.0
	s_delay_alu instid0(VALU_DEP_1) | instskip(NEXT) | instid1(VALU_DEP_1)
	v_mul_f32_e32 v17, v16, v15
	v_fma_f32 v18, -v11, v17, v16
	s_delay_alu instid0(VALU_DEP_1) | instskip(NEXT) | instid1(VALU_DEP_1)
	v_fmac_f32_e32 v17, v18, v15
	v_fma_f32 v11, -v11, v17, v16
	s_delay_alu instid0(VALU_DEP_1) | instskip(NEXT) | instid1(VALU_DEP_1)
	v_div_fmas_f32 v11, v11, v15, v17
	v_div_fixup_f32 v11, v11, v10, 1.0
	s_delay_alu instid0(VALU_DEP_1)
	v_cndmask_b32_e64 v11, v14, v11, s1
.LBB87_27:                              ;   in Loop: Header=BB87_12 Depth=1
	s_mov_b32 s33, 4
	s_branch .LBB87_18
.LBB87_28:                              ;   in Loop: Header=BB87_12 Depth=1
	s_cmp_eq_u32 s5, 0
	s_cbranch_scc1 .LBB87_30
; %bb.29:                               ;   in Loop: Header=BB87_12 Depth=1
	s_mov_b32 s17, -1
	s_branch .LBB87_32
.LBB87_30:                              ;   in Loop: Header=BB87_12 Depth=1
	v_cmp_le_i64_e64 s17, s[34:35], s[20:21]
	s_and_b32 vcc_lo, exec_lo, s17
	s_mov_b32 s17, 0
	s_cbranch_vccz .LBB87_32
; %bb.31:                               ;   in Loop: Header=BB87_12 Depth=1
	s_cmp_lg_u64 s[34:35], s[20:21]
	s_mov_b32 s7, -1
	s_cselect_b32 s17, -1, 0
.LBB87_32:                              ;   in Loop: Header=BB87_12 Depth=1
	v_mov_b32_e32 v11, v14
	s_mov_b32 s33, 2
	v_mov_b32_e32 v15, v12
	s_and_b32 vcc_lo, exec_lo, s17
	s_cbranch_vccz .LBB87_19
.LBB87_33:                              ;   in Loop: Header=BB87_12 Depth=1
	s_and_saveexec_b32 s7, s3
	s_cbranch_execz .LBB87_36
; %bb.34:                               ;   in Loop: Header=BB87_12 Depth=1
	s_lshl_b64 s[36:37], s[34:35], 2
	s_delay_alu instid0(SALU_CYCLE_1)
	s_add_nc_u64 s[36:37], s[26:27], s[36:37]
	global_load_b32 v11, v5, s[36:37] scope:SCOPE_DEV
	s_wait_loadcnt 0x0
	v_cmp_ne_u32_e32 vcc_lo, 0, v11
	s_cbranch_vccnz .LBB87_36
.LBB87_35:                              ;   Parent Loop BB87_12 Depth=1
                                        ; =>  This Inner Loop Header: Depth=2
	global_load_b32 v11, v5, s[36:37] scope:SCOPE_DEV
	s_wait_loadcnt 0x0
	v_cmp_eq_u32_e32 vcc_lo, 0, v11
	s_cbranch_vccnz .LBB87_35
.LBB87_36:                              ;   in Loop: Header=BB87_12 Depth=1
	s_wait_xcnt 0x0
	s_or_b32 exec_lo, exec_lo, s7
	v_mov_b32_e32 v15, 0
	s_wait_storecnt 0x0
	s_barrier_signal -1
	s_barrier_wait -1
	global_inv scope:SCOPE_DEV
	s_and_saveexec_b32 s7, s2
	s_cbranch_execz .LBB87_38
; %bb.37:                               ;   in Loop: Header=BB87_12 Depth=1
	s_mul_u64 s[34:35], s[34:35], s[10:11]
	s_delay_alu instid0(SALU_CYCLE_1)
	v_lshl_add_u64 v[16:17], s[34:35], 2, v[2:3]
	global_load_b32 v11, v[16:17], off
	s_wait_loadcnt 0x0
	v_fma_f32 v15, -v10, v11, v12
.LBB87_38:                              ;   in Loop: Header=BB87_12 Depth=1
	s_or_b32 exec_lo, exec_lo, s7
	v_mov_b32_e32 v11, v14
	s_mov_b32 s33, 0
	s_branch .LBB87_20
.LBB87_39:                              ;   in Loop: Header=BB87_12 Depth=1
	v_div_scale_f32 v11, null, v10, v10, 1.0
	v_div_scale_f32 v17, vcc_lo, 1.0, v10, 1.0
	s_mov_b32 s33, 2
	v_rcp_f32_e32 v15, v11
	v_nop
	s_delay_alu instid0(TRANS32_DEP_1) | instskip(NEXT) | instid1(VALU_DEP_1)
	v_fma_f32 v16, -v11, v15, 1.0
	v_fmac_f32_e32 v15, v16, v15
	s_delay_alu instid0(VALU_DEP_1) | instskip(NEXT) | instid1(VALU_DEP_1)
	v_mul_f32_e32 v16, v17, v15
	v_fma_f32 v18, -v11, v16, v17
	s_delay_alu instid0(VALU_DEP_1) | instskip(NEXT) | instid1(VALU_DEP_1)
	v_fmac_f32_e32 v16, v18, v15
	v_fma_f32 v11, -v11, v16, v17
	s_delay_alu instid0(VALU_DEP_1) | instskip(SKIP_1) | instid1(VALU_DEP_2)
	v_div_fmas_f32 v11, v11, v15, v16
	v_mov_b32_e32 v15, v12
	v_div_fixup_f32 v10, v11, v10, 1.0
	s_delay_alu instid0(VALU_DEP_1)
	v_cndmask_b32_e64 v11, v14, v10, s1
	s_mov_b32 s7, -1
	s_cmp_gt_i32 s33, 3
	s_mov_b32 s17, -1
	s_cbranch_scc1 .LBB87_21
.LBB87_40:                              ;   in Loop: Header=BB87_12 Depth=1
	s_cmp_eq_u32 s33, 0
	s_cselect_b32 s17, -1, 0
	s_delay_alu instid0(SALU_CYCLE_1)
	s_and_not1_b32 vcc_lo, exec_lo, s17
	s_cbranch_vccnz .LBB87_22
.LBB87_41:                              ;   in Loop: Header=BB87_12 Depth=1
	s_add_nc_u64 s[30:31], s[30:31], 1
	s_delay_alu instid0(SALU_CYCLE_1)
	v_cmp_ge_i64_e64 s7, s[30:31], s[18:19]
	s_and_not1_b32 vcc_lo, exec_lo, s7
	s_cbranch_vccz .LBB87_44
.LBB87_42:                              ;   in Loop: Header=BB87_12 Depth=1
	v_dual_mov_b32 v12, v15 :: v_dual_mov_b32 v14, v11
	s_sub_co_i32 s7, s30, s16
	s_delay_alu instid0(SALU_CYCLE_1) | instskip(NEXT) | instid1(SALU_CYCLE_1)
	s_and_b32 s7, s7, 0x7f
	s_cmp_lg_u32 s7, 0
	s_cbranch_scc1 .LBB87_12
	s_branch .LBB87_9
.LBB87_43:
	v_mov_b32_e32 v15, v12
.LBB87_44:
	s_and_saveexec_b32 s0, s2
	s_cbranch_execz .LBB87_46
; %bb.45:
	s_delay_alu instid0(VALU_DEP_1) | instskip(SKIP_3) | instid1(VALU_DEP_2)
	v_mul_f32_e32 v1, v11, v15
	s_cmp_eq_u32 s6, 0
	v_lshl_add_u64 v[2:3], s[22:23], 2, v[2:3]
	s_cselect_b32 vcc_lo, -1, 0
	v_cndmask_b32_e32 v1, v15, v1, vcc_lo
	global_store_b32 v[2:3], v1, off
.LBB87_46:
	s_wait_xcnt 0x0
	s_or_b32 exec_lo, exec_lo, s0
	global_wb scope:SCOPE_DEV
	s_wait_loadcnt 0x0
	s_wait_storecnt 0x0
	global_inv scope:SCOPE_DEV
	s_wait_loadcnt 0x0
	s_barrier_signal -1
	s_barrier_wait -1
	s_mov_b32 s0, exec_lo
	v_cmpx_eq_u32_e32 0, v0
	s_cbranch_execz .LBB87_48
; %bb.47:
	s_lshl_b64 s[0:1], s[20:21], 2
	v_dual_mov_b32 v0, 0 :: v_dual_mov_b32 v1, 1
	s_add_nc_u64 s[0:1], s[14:15], s[0:1]
	s_lshl_b64 s[2:3], s[12:13], 2
	s_delay_alu instid0(SALU_CYCLE_1)
	s_add_nc_u64 s[0:1], s[0:1], s[2:3]
	global_store_b32 v0, v1, s[0:1] scope:SCOPE_DEV
.LBB87_48:
	s_endpgm
.LBB87_49:
                                        ; implicit-def: $sgpr22_sgpr23
	s_clause 0x1
	s_load_b64 s[8:9], s[0:1], 0x50
	s_load_b64 s[16:17], s[0:1], 0x20
	s_branch .LBB87_4
	.section	.rodata,"a",@progbits
	.p2align	6, 0x0
	.amdhsa_kernel _ZN9rocsparseL5csrsmILj128ELj64ELb0EllfEEv20rocsparse_operation_T3_S2_NS_24const_host_device_scalarIT4_EEPKT2_PKS2_PKS4_PS4_lPiSA_PS2_21rocsparse_index_base_20rocsparse_fill_mode_20rocsparse_diag_type_b
		.amdhsa_group_segment_fixed_size 1536
		.amdhsa_private_segment_fixed_size 0
		.amdhsa_kernarg_size 112
		.amdhsa_user_sgpr_count 2
		.amdhsa_user_sgpr_dispatch_ptr 0
		.amdhsa_user_sgpr_queue_ptr 0
		.amdhsa_user_sgpr_kernarg_segment_ptr 1
		.amdhsa_user_sgpr_dispatch_id 0
		.amdhsa_user_sgpr_kernarg_preload_length 0
		.amdhsa_user_sgpr_kernarg_preload_offset 0
		.amdhsa_user_sgpr_private_segment_size 0
		.amdhsa_wavefront_size32 1
		.amdhsa_uses_dynamic_stack 0
		.amdhsa_enable_private_segment 0
		.amdhsa_system_sgpr_workgroup_id_x 1
		.amdhsa_system_sgpr_workgroup_id_y 0
		.amdhsa_system_sgpr_workgroup_id_z 0
		.amdhsa_system_sgpr_workgroup_info 0
		.amdhsa_system_vgpr_workitem_id 0
		.amdhsa_next_free_vgpr 19
		.amdhsa_next_free_sgpr 38
		.amdhsa_named_barrier_count 0
		.amdhsa_reserve_vcc 1
		.amdhsa_float_round_mode_32 0
		.amdhsa_float_round_mode_16_64 0
		.amdhsa_float_denorm_mode_32 3
		.amdhsa_float_denorm_mode_16_64 3
		.amdhsa_fp16_overflow 0
		.amdhsa_memory_ordered 1
		.amdhsa_forward_progress 1
		.amdhsa_inst_pref_size 18
		.amdhsa_round_robin_scheduling 0
		.amdhsa_exception_fp_ieee_invalid_op 0
		.amdhsa_exception_fp_denorm_src 0
		.amdhsa_exception_fp_ieee_div_zero 0
		.amdhsa_exception_fp_ieee_overflow 0
		.amdhsa_exception_fp_ieee_underflow 0
		.amdhsa_exception_fp_ieee_inexact 0
		.amdhsa_exception_int_div_zero 0
	.end_amdhsa_kernel
	.section	.text._ZN9rocsparseL5csrsmILj128ELj64ELb0EllfEEv20rocsparse_operation_T3_S2_NS_24const_host_device_scalarIT4_EEPKT2_PKS2_PKS4_PS4_lPiSA_PS2_21rocsparse_index_base_20rocsparse_fill_mode_20rocsparse_diag_type_b,"axG",@progbits,_ZN9rocsparseL5csrsmILj128ELj64ELb0EllfEEv20rocsparse_operation_T3_S2_NS_24const_host_device_scalarIT4_EEPKT2_PKS2_PKS4_PS4_lPiSA_PS2_21rocsparse_index_base_20rocsparse_fill_mode_20rocsparse_diag_type_b,comdat
.Lfunc_end87:
	.size	_ZN9rocsparseL5csrsmILj128ELj64ELb0EllfEEv20rocsparse_operation_T3_S2_NS_24const_host_device_scalarIT4_EEPKT2_PKS2_PKS4_PS4_lPiSA_PS2_21rocsparse_index_base_20rocsparse_fill_mode_20rocsparse_diag_type_b, .Lfunc_end87-_ZN9rocsparseL5csrsmILj128ELj64ELb0EllfEEv20rocsparse_operation_T3_S2_NS_24const_host_device_scalarIT4_EEPKT2_PKS2_PKS4_PS4_lPiSA_PS2_21rocsparse_index_base_20rocsparse_fill_mode_20rocsparse_diag_type_b
                                        ; -- End function
	.set _ZN9rocsparseL5csrsmILj128ELj64ELb0EllfEEv20rocsparse_operation_T3_S2_NS_24const_host_device_scalarIT4_EEPKT2_PKS2_PKS4_PS4_lPiSA_PS2_21rocsparse_index_base_20rocsparse_fill_mode_20rocsparse_diag_type_b.num_vgpr, 19
	.set _ZN9rocsparseL5csrsmILj128ELj64ELb0EllfEEv20rocsparse_operation_T3_S2_NS_24const_host_device_scalarIT4_EEPKT2_PKS2_PKS4_PS4_lPiSA_PS2_21rocsparse_index_base_20rocsparse_fill_mode_20rocsparse_diag_type_b.num_agpr, 0
	.set _ZN9rocsparseL5csrsmILj128ELj64ELb0EllfEEv20rocsparse_operation_T3_S2_NS_24const_host_device_scalarIT4_EEPKT2_PKS2_PKS4_PS4_lPiSA_PS2_21rocsparse_index_base_20rocsparse_fill_mode_20rocsparse_diag_type_b.numbered_sgpr, 38
	.set _ZN9rocsparseL5csrsmILj128ELj64ELb0EllfEEv20rocsparse_operation_T3_S2_NS_24const_host_device_scalarIT4_EEPKT2_PKS2_PKS4_PS4_lPiSA_PS2_21rocsparse_index_base_20rocsparse_fill_mode_20rocsparse_diag_type_b.num_named_barrier, 0
	.set _ZN9rocsparseL5csrsmILj128ELj64ELb0EllfEEv20rocsparse_operation_T3_S2_NS_24const_host_device_scalarIT4_EEPKT2_PKS2_PKS4_PS4_lPiSA_PS2_21rocsparse_index_base_20rocsparse_fill_mode_20rocsparse_diag_type_b.private_seg_size, 0
	.set _ZN9rocsparseL5csrsmILj128ELj64ELb0EllfEEv20rocsparse_operation_T3_S2_NS_24const_host_device_scalarIT4_EEPKT2_PKS2_PKS4_PS4_lPiSA_PS2_21rocsparse_index_base_20rocsparse_fill_mode_20rocsparse_diag_type_b.uses_vcc, 1
	.set _ZN9rocsparseL5csrsmILj128ELj64ELb0EllfEEv20rocsparse_operation_T3_S2_NS_24const_host_device_scalarIT4_EEPKT2_PKS2_PKS4_PS4_lPiSA_PS2_21rocsparse_index_base_20rocsparse_fill_mode_20rocsparse_diag_type_b.uses_flat_scratch, 0
	.set _ZN9rocsparseL5csrsmILj128ELj64ELb0EllfEEv20rocsparse_operation_T3_S2_NS_24const_host_device_scalarIT4_EEPKT2_PKS2_PKS4_PS4_lPiSA_PS2_21rocsparse_index_base_20rocsparse_fill_mode_20rocsparse_diag_type_b.has_dyn_sized_stack, 0
	.set _ZN9rocsparseL5csrsmILj128ELj64ELb0EllfEEv20rocsparse_operation_T3_S2_NS_24const_host_device_scalarIT4_EEPKT2_PKS2_PKS4_PS4_lPiSA_PS2_21rocsparse_index_base_20rocsparse_fill_mode_20rocsparse_diag_type_b.has_recursion, 0
	.set _ZN9rocsparseL5csrsmILj128ELj64ELb0EllfEEv20rocsparse_operation_T3_S2_NS_24const_host_device_scalarIT4_EEPKT2_PKS2_PKS4_PS4_lPiSA_PS2_21rocsparse_index_base_20rocsparse_fill_mode_20rocsparse_diag_type_b.has_indirect_call, 0
	.section	.AMDGPU.csdata,"",@progbits
; Kernel info:
; codeLenInByte = 2300
; TotalNumSgprs: 40
; NumVgprs: 19
; ScratchSize: 0
; MemoryBound: 0
; FloatMode: 240
; IeeeMode: 1
; LDSByteSize: 1536 bytes/workgroup (compile time only)
; SGPRBlocks: 0
; VGPRBlocks: 1
; NumSGPRsForWavesPerEU: 40
; NumVGPRsForWavesPerEU: 19
; NamedBarCnt: 0
; Occupancy: 16
; WaveLimiterHint : 1
; COMPUTE_PGM_RSRC2:SCRATCH_EN: 0
; COMPUTE_PGM_RSRC2:USER_SGPR: 2
; COMPUTE_PGM_RSRC2:TRAP_HANDLER: 0
; COMPUTE_PGM_RSRC2:TGID_X_EN: 1
; COMPUTE_PGM_RSRC2:TGID_Y_EN: 0
; COMPUTE_PGM_RSRC2:TGID_Z_EN: 0
; COMPUTE_PGM_RSRC2:TIDIG_COMP_CNT: 0
	.section	.text._ZN9rocsparseL5csrsmILj256ELj64ELb1EllfEEv20rocsparse_operation_T3_S2_NS_24const_host_device_scalarIT4_EEPKT2_PKS2_PKS4_PS4_lPiSA_PS2_21rocsparse_index_base_20rocsparse_fill_mode_20rocsparse_diag_type_b,"axG",@progbits,_ZN9rocsparseL5csrsmILj256ELj64ELb1EllfEEv20rocsparse_operation_T3_S2_NS_24const_host_device_scalarIT4_EEPKT2_PKS2_PKS4_PS4_lPiSA_PS2_21rocsparse_index_base_20rocsparse_fill_mode_20rocsparse_diag_type_b,comdat
	.globl	_ZN9rocsparseL5csrsmILj256ELj64ELb1EllfEEv20rocsparse_operation_T3_S2_NS_24const_host_device_scalarIT4_EEPKT2_PKS2_PKS4_PS4_lPiSA_PS2_21rocsparse_index_base_20rocsparse_fill_mode_20rocsparse_diag_type_b ; -- Begin function _ZN9rocsparseL5csrsmILj256ELj64ELb1EllfEEv20rocsparse_operation_T3_S2_NS_24const_host_device_scalarIT4_EEPKT2_PKS2_PKS4_PS4_lPiSA_PS2_21rocsparse_index_base_20rocsparse_fill_mode_20rocsparse_diag_type_b
	.p2align	8
	.type	_ZN9rocsparseL5csrsmILj256ELj64ELb1EllfEEv20rocsparse_operation_T3_S2_NS_24const_host_device_scalarIT4_EEPKT2_PKS2_PKS4_PS4_lPiSA_PS2_21rocsparse_index_base_20rocsparse_fill_mode_20rocsparse_diag_type_b,@function
_ZN9rocsparseL5csrsmILj256ELj64ELb1EllfEEv20rocsparse_operation_T3_S2_NS_24const_host_device_scalarIT4_EEPKT2_PKS2_PKS4_PS4_lPiSA_PS2_21rocsparse_index_base_20rocsparse_fill_mode_20rocsparse_diag_type_b: ; @_ZN9rocsparseL5csrsmILj256ELj64ELb1EllfEEv20rocsparse_operation_T3_S2_NS_24const_host_device_scalarIT4_EEPKT2_PKS2_PKS4_PS4_lPiSA_PS2_21rocsparse_index_base_20rocsparse_fill_mode_20rocsparse_diag_type_b
; %bb.0:
	s_clause 0x2
	s_load_b128 s[4:7], s[0:1], 0x60
	s_load_b128 s[12:15], s[0:1], 0x8
	s_load_b64 s[24:25], s[0:1], 0x18
	s_wait_kmcnt 0x0
	s_bitcmp1_b32 s7, 0
	s_cselect_b32 s2, -1, 0
	s_delay_alu instid0(SALU_CYCLE_1)
	s_and_b32 vcc_lo, exec_lo, s2
	s_cbranch_vccnz .LBB88_2
; %bb.1:
	s_load_b32 s24, s[24:25], 0x0
.LBB88_2:
	s_bfe_u32 s2, ttmp6, 0x4000c
	s_and_b32 s3, ttmp6, 15
	s_add_co_i32 s2, s2, 1
	s_getreg_b32 s7, hwreg(HW_REG_IB_STS2, 6, 4)
	s_mul_i32 s2, ttmp9, s2
	s_delay_alu instid0(SALU_CYCLE_1)
	s_add_co_i32 s3, s3, s2
	s_cmp_eq_u32 s7, 0
	s_cselect_b32 s2, ttmp9, s3
	s_and_b64 s[8:9], s[12:13], 0xffffffff00000000
	s_mov_b32 s3, 0
	s_cmp_lg_u64 s[8:9], 0
	s_cbranch_scc0 .LBB88_52
; %bb.3:
	s_ashr_i32 s8, s13, 31
	s_mov_b32 s21, s3
	s_mov_b32 s9, s8
	s_mov_b32 s27, s3
	s_add_nc_u64 s[10:11], s[12:13], s[8:9]
	s_delay_alu instid0(SALU_CYCLE_1) | instskip(NEXT) | instid1(SALU_CYCLE_1)
	s_xor_b64 s[10:11], s[10:11], s[8:9]
	s_cvt_f32_u32 s7, s10
	s_cvt_f32_u32 s16, s11
	s_sub_nc_u64 s[18:19], 0, s[10:11]
	s_delay_alu instid0(SALU_CYCLE_2) | instskip(NEXT) | instid1(SALU_CYCLE_3)
	s_fmamk_f32 s7, s16, 0x4f800000, s7
	v_s_rcp_f32 s7, s7
	s_delay_alu instid0(TRANS32_DEP_1) | instskip(NEXT) | instid1(SALU_CYCLE_3)
	s_mul_f32 s7, s7, 0x5f7ffffc
	s_mul_f32 s16, s7, 0x2f800000
	s_delay_alu instid0(SALU_CYCLE_3) | instskip(NEXT) | instid1(SALU_CYCLE_3)
	s_trunc_f32 s16, s16
	s_fmamk_f32 s7, s16, 0xcf800000, s7
	s_cvt_u32_f32 s17, s16
	s_delay_alu instid0(SALU_CYCLE_2) | instskip(NEXT) | instid1(SALU_CYCLE_3)
	s_cvt_u32_f32 s16, s7
	s_mul_u64 s[22:23], s[18:19], s[16:17]
	s_delay_alu instid0(SALU_CYCLE_1)
	s_mul_hi_u32 s29, s16, s23
	s_mul_i32 s28, s16, s23
	s_mul_hi_u32 s20, s16, s22
	s_wait_xcnt 0x0
	s_mul_i32 s25, s17, s22
	s_add_nc_u64 s[20:21], s[20:21], s[28:29]
	s_mul_hi_u32 s7, s17, s22
	s_mul_hi_u32 s30, s17, s23
	s_add_co_u32 s20, s20, s25
	s_add_co_ci_u32 s26, s21, s7
	s_mul_i32 s22, s17, s23
	s_add_co_ci_u32 s23, s30, 0
	s_delay_alu instid0(SALU_CYCLE_1) | instskip(SKIP_3) | instid1(SALU_CYCLE_1)
	s_add_nc_u64 s[20:21], s[26:27], s[22:23]
	s_mov_b32 s23, s3
	s_add_co_u32 s16, s16, s20
	s_cselect_b32 s7, -1, 0
	s_cmp_lg_u32 s7, 0
	s_add_co_ci_u32 s17, s17, s21
	s_mov_b32 s21, s3
	s_mul_u64 s[18:19], s[18:19], s[16:17]
	s_delay_alu instid0(SALU_CYCLE_1)
	s_mul_hi_u32 s27, s16, s19
	s_mul_i32 s26, s16, s19
	s_mul_hi_u32 s20, s16, s18
	s_mul_i32 s22, s17, s18
	s_add_nc_u64 s[20:21], s[20:21], s[26:27]
	s_mul_hi_u32 s7, s17, s18
	s_mul_hi_u32 s25, s17, s19
	s_mul_i32 s18, s17, s19
	s_add_co_u32 s19, s20, s22
	s_add_co_ci_u32 s22, s21, s7
	s_add_co_ci_u32 s19, s25, 0
	s_add_nc_u64 s[20:21], s[2:3], 0
	s_add_nc_u64 s[18:19], s[22:23], s[18:19]
	s_delay_alu instid0(SALU_CYCLE_1) | instskip(SKIP_1) | instid1(SALU_CYCLE_1)
	s_add_co_u32 s7, s16, s18
	s_cselect_b32 s16, -1, 0
	s_cmp_lg_u32 s16, 0
	s_add_co_ci_u32 s18, s17, s19
	s_xor_b64 s[16:17], s[20:21], 0
	s_mov_b32 s19, s3
	s_mul_hi_u32 s21, s16, s18
	s_mul_i32 s20, s16, s18
	s_mul_hi_u32 s22, s16, s7
	s_mul_hi_u32 s26, s17, s7
	s_mul_i32 s7, s17, s7
	s_add_nc_u64 s[20:21], s[22:23], s[20:21]
	s_mul_hi_u32 s25, s17, s18
	s_add_co_u32 s7, s20, s7
	s_mul_i32 s22, s17, s18
	s_add_co_ci_u32 s18, s21, s26
	s_add_co_ci_u32 s23, s25, 0
	s_delay_alu instid0(SALU_CYCLE_1) | instskip(NEXT) | instid1(SALU_CYCLE_1)
	s_add_nc_u64 s[18:19], s[18:19], s[22:23]
	s_and_b64 s[20:21], s[18:19], 0xffffffff00000000
	s_delay_alu instid0(SALU_CYCLE_1) | instskip(NEXT) | instid1(SALU_CYCLE_1)
	s_or_b32 s20, s20, s18
	s_mul_u64 s[18:19], s[10:11], s[20:21]
	s_delay_alu instid0(SALU_CYCLE_1)
	s_sub_co_u32 s7, s16, s18
	s_cselect_b32 s16, -1, 0
	s_sub_co_i32 s18, s17, s19
	s_cmp_lg_u32 s16, 0
	s_sub_co_ci_u32 s18, s18, s11
	s_sub_co_u32 s22, s7, s10
	s_cselect_b32 s23, -1, 0
	s_delay_alu instid0(SALU_CYCLE_1) | instskip(SKIP_1) | instid1(SALU_CYCLE_1)
	s_cmp_lg_u32 s23, 0
	s_sub_co_ci_u32 s18, s18, 0
	s_cmp_ge_u32 s18, s11
	s_cselect_b32 s25, -1, 0
	s_cmp_ge_u32 s22, s10
	s_add_nc_u64 s[22:23], s[20:21], 1
	s_cselect_b32 s26, -1, 0
	s_cmp_eq_u32 s18, s11
	s_cselect_b32 s18, s26, s25
	s_add_nc_u64 s[26:27], s[20:21], 2
	s_cmp_lg_u32 s18, 0
	s_cselect_b32 s18, s26, s22
	s_cselect_b32 s22, s27, s23
	s_cmp_lg_u32 s16, 0
	s_sub_co_ci_u32 s16, s17, s19
	s_delay_alu instid0(SALU_CYCLE_1)
	s_cmp_ge_u32 s16, s11
	s_cselect_b32 s17, -1, 0
	s_cmp_ge_u32 s7, s10
	s_cselect_b32 s7, -1, 0
	s_cmp_eq_u32 s16, s11
	s_cselect_b32 s7, s7, s17
	s_delay_alu instid0(SALU_CYCLE_1) | instskip(SKIP_4) | instid1(SALU_CYCLE_1)
	s_cmp_lg_u32 s7, 0
	s_mov_b32 s7, s3
	s_cselect_b32 s11, s22, s21
	s_cselect_b32 s10, s18, s20
	s_xor_b64 s[8:9], 0, s[8:9]
	s_xor_b64 s[10:11], s[10:11], s[8:9]
	s_delay_alu instid0(SALU_CYCLE_1)
	s_sub_nc_u64 s[22:23], s[10:11], s[8:9]
	s_clause 0x1
	s_load_b64 s[8:9], s[0:1], 0x50
	s_load_b64 s[16:17], s[0:1], 0x20
	s_and_not1_b32 vcc_lo, exec_lo, s7
	s_cbranch_vccnz .LBB88_5
.LBB88_4:
	v_cvt_f32_u32_e32 v1, s12
	s_sub_co_i32 s10, 0, s12
	s_mov_b32 s23, 0
	s_delay_alu instid0(VALU_DEP_1) | instskip(SKIP_1) | instid1(TRANS32_DEP_1)
	v_rcp_iflag_f32_e32 v1, v1
	v_nop
	v_mul_f32_e32 v1, 0x4f7ffffe, v1
	s_delay_alu instid0(VALU_DEP_1) | instskip(NEXT) | instid1(VALU_DEP_1)
	v_cvt_u32_f32_e32 v1, v1
	v_readfirstlane_b32 s7, v1
	s_mul_i32 s10, s10, s7
	s_delay_alu instid0(SALU_CYCLE_1) | instskip(NEXT) | instid1(SALU_CYCLE_1)
	s_mul_hi_u32 s10, s7, s10
	s_add_co_i32 s7, s7, s10
	s_delay_alu instid0(SALU_CYCLE_1) | instskip(NEXT) | instid1(SALU_CYCLE_1)
	s_mul_hi_u32 s7, s2, s7
	s_mul_i32 s10, s7, s12
	s_add_co_i32 s11, s7, 1
	s_sub_co_i32 s10, s2, s10
	s_delay_alu instid0(SALU_CYCLE_1)
	s_sub_co_i32 s18, s10, s12
	s_cmp_ge_u32 s10, s12
	s_cselect_b32 s7, s11, s7
	s_cselect_b32 s10, s18, s10
	s_add_co_i32 s11, s7, 1
	s_cmp_ge_u32 s10, s12
	s_cselect_b32 s22, s11, s7
.LBB88_5:
	s_delay_alu instid0(SALU_CYCLE_1) | instskip(SKIP_2) | instid1(SALU_CYCLE_1)
	s_mul_u64 s[12:13], s[22:23], s[12:13]
	v_mov_b32_e32 v1, 0
	s_sub_nc_u64 s[2:3], s[2:3], s[12:13]
	s_lshl_b64 s[2:3], s[2:3], 3
	s_delay_alu instid0(VALU_DEP_1)
	v_mov_b32_e32 v12, v1
	s_wait_kmcnt 0x0
	s_add_nc_u64 s[2:3], s[8:9], s[2:3]
	s_load_b128 s[8:11], s[0:1], 0x38
	s_load_b64 s[20:21], s[2:3], 0x0
	s_wait_kmcnt 0x0
	s_lshl_b64 s[2:3], s[20:21], 3
	s_delay_alu instid0(SALU_CYCLE_1)
	s_add_nc_u64 s[2:3], s[16:17], s[2:3]
	s_load_b128 s[16:19], s[2:3], 0x0
	s_wait_xcnt 0x0
	s_lshl_b64 s[2:3], s[22:23], 8
	s_mul_u64 s[22:23], s[20:21], s[10:11]
	v_dual_mov_b32 v3, s3 :: v_dual_bitop2_b32 v2, s2, v0 bitop3:0x54
	s_delay_alu instid0(VALU_DEP_1)
	v_cmp_gt_i64_e64 s2, s[14:15], v[2:3]
	s_and_saveexec_b32 s3, s2
	s_cbranch_execz .LBB88_7
; %bb.6:
	v_add_nc_u64_e32 v[4:5], s[22:23], v[2:3]
	s_delay_alu instid0(VALU_DEP_1)
	v_lshl_add_u64 v[4:5], v[4:5], 2, s[8:9]
	global_load_b32 v4, v[4:5], off
	s_wait_loadcnt 0x0
	v_mul_f32_e32 v12, s24, v4
.LBB88_7:
	s_or_b32 exec_lo, exec_lo, s3
	s_load_b64 s[14:15], s[0:1], 0x48
	s_wait_kmcnt 0x0
	v_cmp_ge_i64_e64 s3, s[16:17], s[18:19]
	v_lshl_add_u64 v[2:3], v[2:3], 2, s[8:9]
	v_mov_b32_e32 v11, 1.0
	s_and_b32 vcc_lo, exec_lo, s3
	v_cmp_eq_u32_e64 s3, 0, v0
	s_cbranch_vccnz .LBB88_46
; %bb.8:
	s_clause 0x1
	s_load_b128 s[28:31], s[0:1], 0x28
	s_load_b64 s[8:9], s[0:1], 0x58
	v_dual_mov_b32 v5, 0 :: v_dual_lshlrev_b32 v4, 3, v0
	v_lshlrev_b32_e32 v8, 2, v0
	s_wait_xcnt 0x0
	s_lshl_b64 s[0:1], s[12:13], 2
	s_mov_b32 s25, 0
	s_mov_b32 s24, s4
	v_mov_b32_e32 v9, v5
	v_or_b32_e32 v13, 0x800, v8
	s_cmp_lg_u32 s6, 0
	s_add_nc_u64 s[26:27], s[14:15], s[0:1]
	v_cmp_ne_u32_e64 s0, 0, v0
	v_mov_b32_e32 v14, 1.0
	s_sub_nc_u64 s[16:17], s[16:17], s[24:25]
	s_cselect_b32 s4, -1, 0
	s_cmp_eq_u32 s6, 0
	s_sub_nc_u64 s[18:19], s[18:19], s[24:25]
	s_cselect_b32 s1, -1, 0
	s_wait_kmcnt 0x0
	v_add_nc_u64_e32 v[6:7], s[28:29], v[4:5]
	v_add_nc_u64_e32 v[8:9], s[30:31], v[8:9]
	s_add_nc_u64 s[28:29], s[20:21], s[24:25]
	s_mov_b64 s[30:31], s[16:17]
	s_delay_alu instid0(SALU_CYCLE_1) | instskip(NEXT) | instid1(SALU_CYCLE_1)
	s_sub_co_i32 s7, s30, s16
	s_and_b32 s7, s7, 0xff
	s_delay_alu instid0(SALU_CYCLE_1)
	s_cmp_lg_u32 s7, 0
	s_cbranch_scc1 .LBB88_12
.LBB88_9:
	v_mov_b64_e32 v[10:11], -1
	v_mov_b32_e32 v15, -1.0
	s_sub_nc_u64 s[34:35], s[18:19], s[30:31]
	s_mov_b32 s17, exec_lo
	v_cmpx_gt_i64_e64 s[34:35], v[0:1]
	s_cbranch_execz .LBB88_11
; %bb.10:
	v_lshl_add_u64 v[10:11], s[30:31], 3, v[6:7]
	v_lshl_add_u64 v[16:17], s[30:31], 2, v[8:9]
	global_load_b64 v[10:11], v[10:11], off
	global_load_b32 v15, v[16:17], off
	s_wait_loadcnt 0x1
	s_wait_xcnt 0x1
	v_sub_nc_u64_e64 v[10:11], v[10:11], s[24:25]
.LBB88_11:
	s_wait_xcnt 0x0
	s_or_b32 exec_lo, exec_lo, s17
	ds_store_b64 v4, v[10:11]
	s_wait_loadcnt 0x0
	ds_store_b32 v13, v15
.LBB88_12:                              ; =>This Loop Header: Depth=1
                                        ;     Child Loop BB88_44 Depth 2
                                        ;       Child Loop BB88_45 Depth 3
	s_lshl_b32 s17, s7, 3
	s_lshl_b32 s7, s7, 2
	s_delay_alu instid0(SALU_CYCLE_1)
	v_dual_mov_b32 v10, s17 :: v_dual_mov_b32 v15, s7
	s_wait_dscnt 0x0
	s_barrier_signal -1
	s_barrier_wait -1
	ds_load_b64 v[10:11], v10
	ds_load_b32 v15, v15 offset:2048
	s_wait_dscnt 0x1
	v_readfirstlane_b32 s34, v10
	v_readfirstlane_b32 s35, v11
	s_wait_dscnt 0x0
	v_cmp_neq_f32_e32 vcc_lo, 0, v15
	s_cmp_lg_u64 s[34:35], s[20:21]
	s_cselect_b32 s7, -1, 0
	s_delay_alu instid0(SALU_CYCLE_1) | instskip(NEXT) | instid1(SALU_CYCLE_1)
	s_or_b32 s7, s4, s7
	s_or_b32 vcc_lo, vcc_lo, s7
	v_cndmask_b32_e32 v10, 1.0, v15, vcc_lo
	s_nor_b32 s17, s0, vcc_lo
	s_delay_alu instid0(SALU_CYCLE_1)
	s_and_saveexec_b32 s7, s17
	s_cbranch_execz .LBB88_16
; %bb.13:                               ;   in Loop: Header=BB88_12 Depth=1
	v_mbcnt_lo_u32_b32 v10, exec_lo, 0
	s_mov_b32 s17, exec_lo
	s_delay_alu instid0(VALU_DEP_1)
	v_cmpx_eq_u32_e32 0, v10
	s_cbranch_execz .LBB88_15
; %bb.14:                               ;   in Loop: Header=BB88_12 Depth=1
	v_mov_b64_e32 v[10:11], s[28:29]
	global_atomic_min_u64 v5, v[10:11], s[8:9] scope:SCOPE_DEV
.LBB88_15:                              ;   in Loop: Header=BB88_12 Depth=1
	s_wait_xcnt 0x0
	s_or_b32 exec_lo, exec_lo, s17
	v_mov_b32_e32 v10, 1.0
.LBB88_16:                              ;   in Loop: Header=BB88_12 Depth=1
	s_or_b32 exec_lo, exec_lo, s7
	s_mov_b32 s33, -1
	s_mov_b32 s7, 0
	s_cmp_lt_i32 s5, 1
	s_mov_b32 s17, 0
                                        ; implicit-def: $vgpr11
	s_cbranch_scc0 .LBB88_23
; %bb.17:                               ;   in Loop: Header=BB88_12 Depth=1
	s_and_b32 vcc_lo, exec_lo, s33
	s_mov_b32 s33, 4
	s_cbranch_vccnz .LBB88_28
.LBB88_18:                              ;   in Loop: Header=BB88_12 Depth=1
	v_mov_b32_e32 v15, v12
	s_and_b32 vcc_lo, exec_lo, s17
	s_cbranch_vccnz .LBB88_33
.LBB88_19:                              ;   in Loop: Header=BB88_12 Depth=1
	s_and_b32 vcc_lo, exec_lo, s7
	s_cbranch_vccnz .LBB88_38
.LBB88_20:                              ;   in Loop: Header=BB88_12 Depth=1
	s_mov_b32 s7, -1
	s_cmp_gt_i32 s33, 3
	s_mov_b32 s17, -1
	s_cbranch_scc0 .LBB88_39
.LBB88_21:                              ;   in Loop: Header=BB88_12 Depth=1
	s_and_not1_b32 vcc_lo, exec_lo, s17
	s_cbranch_vccz .LBB88_40
.LBB88_22:                              ;   in Loop: Header=BB88_12 Depth=1
	s_and_not1_b32 vcc_lo, exec_lo, s7
	s_cbranch_vccnz .LBB88_41
	s_branch .LBB88_47
.LBB88_23:                              ;   in Loop: Header=BB88_12 Depth=1
	s_cmp_eq_u32 s5, 1
	s_mov_b32 s17, -1
                                        ; implicit-def: $vgpr11
	s_cbranch_scc0 .LBB88_27
; %bb.24:                               ;   in Loop: Header=BB88_12 Depth=1
	v_cmp_ge_i64_e64 s17, s[34:35], s[20:21]
	v_mov_b32_e32 v11, v14
	s_and_b32 vcc_lo, exec_lo, s17
	s_mov_b32 s17, 0
	s_cbranch_vccz .LBB88_27
; %bb.25:                               ;   in Loop: Header=BB88_12 Depth=1
	s_cmp_eq_u64 s[34:35], s[20:21]
	s_mov_b32 s17, -1
                                        ; implicit-def: $vgpr11
	s_cbranch_scc0 .LBB88_27
; %bb.26:                               ;   in Loop: Header=BB88_12 Depth=1
	v_div_scale_f32 v11, null, v10, v10, 1.0
	s_mov_b32 s17, 0
	v_rcp_f32_e32 v15, v11
	v_nop
	s_delay_alu instid0(TRANS32_DEP_1) | instskip(NEXT) | instid1(VALU_DEP_1)
	v_fma_f32 v16, -v11, v15, 1.0
	v_fmac_f32_e32 v15, v16, v15
	v_div_scale_f32 v16, vcc_lo, 1.0, v10, 1.0
	s_delay_alu instid0(VALU_DEP_1) | instskip(NEXT) | instid1(VALU_DEP_1)
	v_mul_f32_e32 v17, v16, v15
	v_fma_f32 v18, -v11, v17, v16
	s_delay_alu instid0(VALU_DEP_1) | instskip(NEXT) | instid1(VALU_DEP_1)
	v_fmac_f32_e32 v17, v18, v15
	v_fma_f32 v11, -v11, v17, v16
	s_delay_alu instid0(VALU_DEP_1) | instskip(NEXT) | instid1(VALU_DEP_1)
	v_div_fmas_f32 v11, v11, v15, v17
	v_div_fixup_f32 v11, v11, v10, 1.0
	s_delay_alu instid0(VALU_DEP_1)
	v_cndmask_b32_e64 v11, v14, v11, s1
.LBB88_27:                              ;   in Loop: Header=BB88_12 Depth=1
	s_mov_b32 s33, 4
	s_branch .LBB88_18
.LBB88_28:                              ;   in Loop: Header=BB88_12 Depth=1
	s_cmp_eq_u32 s5, 0
	s_cbranch_scc1 .LBB88_30
; %bb.29:                               ;   in Loop: Header=BB88_12 Depth=1
	s_mov_b32 s17, -1
	s_branch .LBB88_32
.LBB88_30:                              ;   in Loop: Header=BB88_12 Depth=1
	v_cmp_le_i64_e64 s17, s[34:35], s[20:21]
	s_and_b32 vcc_lo, exec_lo, s17
	s_mov_b32 s17, 0
	s_cbranch_vccz .LBB88_32
; %bb.31:                               ;   in Loop: Header=BB88_12 Depth=1
	s_cmp_lg_u64 s[34:35], s[20:21]
	s_mov_b32 s7, -1
	s_cselect_b32 s17, -1, 0
.LBB88_32:                              ;   in Loop: Header=BB88_12 Depth=1
	v_mov_b32_e32 v11, v14
	s_mov_b32 s33, 2
	v_mov_b32_e32 v15, v12
	s_and_b32 vcc_lo, exec_lo, s17
	s_cbranch_vccz .LBB88_19
.LBB88_33:                              ;   in Loop: Header=BB88_12 Depth=1
	s_and_saveexec_b32 s7, s3
	s_cbranch_execz .LBB88_35
; %bb.34:                               ;   in Loop: Header=BB88_12 Depth=1
	s_lshl_b64 s[36:37], s[34:35], 2
	s_delay_alu instid0(SALU_CYCLE_1)
	s_add_nc_u64 s[36:37], s[26:27], s[36:37]
	global_load_b32 v11, v5, s[36:37] scope:SCOPE_DEV
	s_wait_loadcnt 0x0
	v_cmp_ne_u32_e32 vcc_lo, 0, v11
	s_cbranch_vccz .LBB88_42
.LBB88_35:                              ;   in Loop: Header=BB88_12 Depth=1
	s_wait_xcnt 0x0
	s_or_b32 exec_lo, exec_lo, s7
	v_mov_b32_e32 v15, 0
	s_wait_storecnt 0x0
	s_barrier_signal -1
	s_barrier_wait -1
	global_inv scope:SCOPE_DEV
	s_and_saveexec_b32 s7, s2
	s_cbranch_execz .LBB88_37
; %bb.36:                               ;   in Loop: Header=BB88_12 Depth=1
	s_mul_u64 s[34:35], s[34:35], s[10:11]
	s_delay_alu instid0(SALU_CYCLE_1)
	v_lshl_add_u64 v[16:17], s[34:35], 2, v[2:3]
	global_load_b32 v11, v[16:17], off
	s_wait_loadcnt 0x0
	v_fma_f32 v15, -v10, v11, v12
.LBB88_37:                              ;   in Loop: Header=BB88_12 Depth=1
	s_or_b32 exec_lo, exec_lo, s7
	v_mov_b32_e32 v11, v14
	s_mov_b32 s33, 0
	s_branch .LBB88_20
.LBB88_38:                              ;   in Loop: Header=BB88_12 Depth=1
	v_div_scale_f32 v11, null, v10, v10, 1.0
	v_div_scale_f32 v17, vcc_lo, 1.0, v10, 1.0
	s_mov_b32 s33, 2
	v_rcp_f32_e32 v15, v11
	v_nop
	s_delay_alu instid0(TRANS32_DEP_1) | instskip(NEXT) | instid1(VALU_DEP_1)
	v_fma_f32 v16, -v11, v15, 1.0
	v_fmac_f32_e32 v15, v16, v15
	s_delay_alu instid0(VALU_DEP_1) | instskip(NEXT) | instid1(VALU_DEP_1)
	v_mul_f32_e32 v16, v17, v15
	v_fma_f32 v18, -v11, v16, v17
	s_delay_alu instid0(VALU_DEP_1) | instskip(NEXT) | instid1(VALU_DEP_1)
	v_fmac_f32_e32 v16, v18, v15
	v_fma_f32 v11, -v11, v16, v17
	s_delay_alu instid0(VALU_DEP_1) | instskip(SKIP_1) | instid1(VALU_DEP_2)
	v_div_fmas_f32 v11, v11, v15, v16
	v_mov_b32_e32 v15, v12
	v_div_fixup_f32 v10, v11, v10, 1.0
	s_delay_alu instid0(VALU_DEP_1)
	v_cndmask_b32_e64 v11, v14, v10, s1
	s_mov_b32 s7, -1
	s_cmp_gt_i32 s33, 3
	s_mov_b32 s17, -1
	s_cbranch_scc1 .LBB88_21
.LBB88_39:                              ;   in Loop: Header=BB88_12 Depth=1
	s_cmp_eq_u32 s33, 0
	s_cselect_b32 s17, -1, 0
	s_delay_alu instid0(SALU_CYCLE_1)
	s_and_not1_b32 vcc_lo, exec_lo, s17
	s_cbranch_vccnz .LBB88_22
.LBB88_40:                              ;   in Loop: Header=BB88_12 Depth=1
	s_add_nc_u64 s[30:31], s[30:31], 1
	s_delay_alu instid0(SALU_CYCLE_1)
	v_cmp_ge_i64_e64 s7, s[30:31], s[18:19]
	s_and_not1_b32 vcc_lo, exec_lo, s7
	s_cbranch_vccz .LBB88_47
.LBB88_41:                              ;   in Loop: Header=BB88_12 Depth=1
	v_dual_mov_b32 v12, v15 :: v_dual_mov_b32 v14, v11
	s_sub_co_i32 s7, s30, s16
	s_delay_alu instid0(SALU_CYCLE_1) | instskip(NEXT) | instid1(SALU_CYCLE_1)
	s_and_b32 s7, s7, 0xff
	s_cmp_lg_u32 s7, 0
	s_cbranch_scc1 .LBB88_12
	s_branch .LBB88_9
.LBB88_42:                              ;   in Loop: Header=BB88_12 Depth=1
	s_mov_b32 s17, 0
	s_branch .LBB88_44
.LBB88_43:                              ;   in Loop: Header=BB88_44 Depth=2
	global_load_b32 v11, v5, s[36:37] scope:SCOPE_DEV
	s_cmp_lt_u32 s17, 0xf43
	s_cselect_b32 s33, -1, 0
	s_delay_alu instid0(SALU_CYCLE_1)
	s_cmp_lg_u32 s33, 0
	s_add_co_ci_u32 s17, s17, 0
	s_wait_loadcnt 0x0
	v_cmp_ne_u32_e32 vcc_lo, 0, v11
	s_cbranch_vccnz .LBB88_35
.LBB88_44:                              ;   Parent Loop BB88_12 Depth=1
                                        ; =>  This Loop Header: Depth=2
                                        ;       Child Loop BB88_45 Depth 3
	s_cmp_eq_u32 s17, 0
	s_mov_b32 s33, s17
	s_cbranch_scc1 .LBB88_43
.LBB88_45:                              ;   Parent Loop BB88_12 Depth=1
                                        ;     Parent Loop BB88_44 Depth=2
                                        ; =>    This Inner Loop Header: Depth=3
	s_add_co_i32 s33, s33, -1
	s_sleep 1
	s_cmp_eq_u32 s33, 0
	s_cbranch_scc0 .LBB88_45
	s_branch .LBB88_43
.LBB88_46:
	v_mov_b32_e32 v15, v12
.LBB88_47:
	s_and_saveexec_b32 s0, s2
	s_cbranch_execz .LBB88_49
; %bb.48:
	s_delay_alu instid0(VALU_DEP_1) | instskip(SKIP_3) | instid1(VALU_DEP_2)
	v_mul_f32_e32 v1, v11, v15
	s_cmp_eq_u32 s6, 0
	v_lshl_add_u64 v[2:3], s[22:23], 2, v[2:3]
	s_cselect_b32 vcc_lo, -1, 0
	v_cndmask_b32_e32 v1, v15, v1, vcc_lo
	global_store_b32 v[2:3], v1, off
.LBB88_49:
	s_wait_xcnt 0x0
	s_or_b32 exec_lo, exec_lo, s0
	global_wb scope:SCOPE_DEV
	s_wait_loadcnt 0x0
	s_wait_storecnt 0x0
	global_inv scope:SCOPE_DEV
	s_wait_loadcnt 0x0
	s_barrier_signal -1
	s_barrier_wait -1
	s_mov_b32 s0, exec_lo
	v_cmpx_eq_u32_e32 0, v0
	s_cbranch_execz .LBB88_51
; %bb.50:
	s_lshl_b64 s[0:1], s[20:21], 2
	v_dual_mov_b32 v0, 0 :: v_dual_mov_b32 v1, 1
	s_add_nc_u64 s[0:1], s[14:15], s[0:1]
	s_lshl_b64 s[2:3], s[12:13], 2
	s_delay_alu instid0(SALU_CYCLE_1)
	s_add_nc_u64 s[0:1], s[0:1], s[2:3]
	global_store_b32 v0, v1, s[0:1] scope:SCOPE_DEV
.LBB88_51:
	s_endpgm
.LBB88_52:
                                        ; implicit-def: $sgpr22_sgpr23
	s_clause 0x1
	s_load_b64 s[8:9], s[0:1], 0x50
	s_load_b64 s[16:17], s[0:1], 0x20
	s_branch .LBB88_4
	.section	.rodata,"a",@progbits
	.p2align	6, 0x0
	.amdhsa_kernel _ZN9rocsparseL5csrsmILj256ELj64ELb1EllfEEv20rocsparse_operation_T3_S2_NS_24const_host_device_scalarIT4_EEPKT2_PKS2_PKS4_PS4_lPiSA_PS2_21rocsparse_index_base_20rocsparse_fill_mode_20rocsparse_diag_type_b
		.amdhsa_group_segment_fixed_size 3072
		.amdhsa_private_segment_fixed_size 0
		.amdhsa_kernarg_size 112
		.amdhsa_user_sgpr_count 2
		.amdhsa_user_sgpr_dispatch_ptr 0
		.amdhsa_user_sgpr_queue_ptr 0
		.amdhsa_user_sgpr_kernarg_segment_ptr 1
		.amdhsa_user_sgpr_dispatch_id 0
		.amdhsa_user_sgpr_kernarg_preload_length 0
		.amdhsa_user_sgpr_kernarg_preload_offset 0
		.amdhsa_user_sgpr_private_segment_size 0
		.amdhsa_wavefront_size32 1
		.amdhsa_uses_dynamic_stack 0
		.amdhsa_enable_private_segment 0
		.amdhsa_system_sgpr_workgroup_id_x 1
		.amdhsa_system_sgpr_workgroup_id_y 0
		.amdhsa_system_sgpr_workgroup_id_z 0
		.amdhsa_system_sgpr_workgroup_info 0
		.amdhsa_system_vgpr_workitem_id 0
		.amdhsa_next_free_vgpr 19
		.amdhsa_next_free_sgpr 38
		.amdhsa_named_barrier_count 0
		.amdhsa_reserve_vcc 1
		.amdhsa_float_round_mode_32 0
		.amdhsa_float_round_mode_16_64 0
		.amdhsa_float_denorm_mode_32 3
		.amdhsa_float_denorm_mode_16_64 3
		.amdhsa_fp16_overflow 0
		.amdhsa_memory_ordered 1
		.amdhsa_forward_progress 1
		.amdhsa_inst_pref_size 19
		.amdhsa_round_robin_scheduling 0
		.amdhsa_exception_fp_ieee_invalid_op 0
		.amdhsa_exception_fp_denorm_src 0
		.amdhsa_exception_fp_ieee_div_zero 0
		.amdhsa_exception_fp_ieee_overflow 0
		.amdhsa_exception_fp_ieee_underflow 0
		.amdhsa_exception_fp_ieee_inexact 0
		.amdhsa_exception_int_div_zero 0
	.end_amdhsa_kernel
	.section	.text._ZN9rocsparseL5csrsmILj256ELj64ELb1EllfEEv20rocsparse_operation_T3_S2_NS_24const_host_device_scalarIT4_EEPKT2_PKS2_PKS4_PS4_lPiSA_PS2_21rocsparse_index_base_20rocsparse_fill_mode_20rocsparse_diag_type_b,"axG",@progbits,_ZN9rocsparseL5csrsmILj256ELj64ELb1EllfEEv20rocsparse_operation_T3_S2_NS_24const_host_device_scalarIT4_EEPKT2_PKS2_PKS4_PS4_lPiSA_PS2_21rocsparse_index_base_20rocsparse_fill_mode_20rocsparse_diag_type_b,comdat
.Lfunc_end88:
	.size	_ZN9rocsparseL5csrsmILj256ELj64ELb1EllfEEv20rocsparse_operation_T3_S2_NS_24const_host_device_scalarIT4_EEPKT2_PKS2_PKS4_PS4_lPiSA_PS2_21rocsparse_index_base_20rocsparse_fill_mode_20rocsparse_diag_type_b, .Lfunc_end88-_ZN9rocsparseL5csrsmILj256ELj64ELb1EllfEEv20rocsparse_operation_T3_S2_NS_24const_host_device_scalarIT4_EEPKT2_PKS2_PKS4_PS4_lPiSA_PS2_21rocsparse_index_base_20rocsparse_fill_mode_20rocsparse_diag_type_b
                                        ; -- End function
	.set _ZN9rocsparseL5csrsmILj256ELj64ELb1EllfEEv20rocsparse_operation_T3_S2_NS_24const_host_device_scalarIT4_EEPKT2_PKS2_PKS4_PS4_lPiSA_PS2_21rocsparse_index_base_20rocsparse_fill_mode_20rocsparse_diag_type_b.num_vgpr, 19
	.set _ZN9rocsparseL5csrsmILj256ELj64ELb1EllfEEv20rocsparse_operation_T3_S2_NS_24const_host_device_scalarIT4_EEPKT2_PKS2_PKS4_PS4_lPiSA_PS2_21rocsparse_index_base_20rocsparse_fill_mode_20rocsparse_diag_type_b.num_agpr, 0
	.set _ZN9rocsparseL5csrsmILj256ELj64ELb1EllfEEv20rocsparse_operation_T3_S2_NS_24const_host_device_scalarIT4_EEPKT2_PKS2_PKS4_PS4_lPiSA_PS2_21rocsparse_index_base_20rocsparse_fill_mode_20rocsparse_diag_type_b.numbered_sgpr, 38
	.set _ZN9rocsparseL5csrsmILj256ELj64ELb1EllfEEv20rocsparse_operation_T3_S2_NS_24const_host_device_scalarIT4_EEPKT2_PKS2_PKS4_PS4_lPiSA_PS2_21rocsparse_index_base_20rocsparse_fill_mode_20rocsparse_diag_type_b.num_named_barrier, 0
	.set _ZN9rocsparseL5csrsmILj256ELj64ELb1EllfEEv20rocsparse_operation_T3_S2_NS_24const_host_device_scalarIT4_EEPKT2_PKS2_PKS4_PS4_lPiSA_PS2_21rocsparse_index_base_20rocsparse_fill_mode_20rocsparse_diag_type_b.private_seg_size, 0
	.set _ZN9rocsparseL5csrsmILj256ELj64ELb1EllfEEv20rocsparse_operation_T3_S2_NS_24const_host_device_scalarIT4_EEPKT2_PKS2_PKS4_PS4_lPiSA_PS2_21rocsparse_index_base_20rocsparse_fill_mode_20rocsparse_diag_type_b.uses_vcc, 1
	.set _ZN9rocsparseL5csrsmILj256ELj64ELb1EllfEEv20rocsparse_operation_T3_S2_NS_24const_host_device_scalarIT4_EEPKT2_PKS2_PKS4_PS4_lPiSA_PS2_21rocsparse_index_base_20rocsparse_fill_mode_20rocsparse_diag_type_b.uses_flat_scratch, 0
	.set _ZN9rocsparseL5csrsmILj256ELj64ELb1EllfEEv20rocsparse_operation_T3_S2_NS_24const_host_device_scalarIT4_EEPKT2_PKS2_PKS4_PS4_lPiSA_PS2_21rocsparse_index_base_20rocsparse_fill_mode_20rocsparse_diag_type_b.has_dyn_sized_stack, 0
	.set _ZN9rocsparseL5csrsmILj256ELj64ELb1EllfEEv20rocsparse_operation_T3_S2_NS_24const_host_device_scalarIT4_EEPKT2_PKS2_PKS4_PS4_lPiSA_PS2_21rocsparse_index_base_20rocsparse_fill_mode_20rocsparse_diag_type_b.has_recursion, 0
	.set _ZN9rocsparseL5csrsmILj256ELj64ELb1EllfEEv20rocsparse_operation_T3_S2_NS_24const_host_device_scalarIT4_EEPKT2_PKS2_PKS4_PS4_lPiSA_PS2_21rocsparse_index_base_20rocsparse_fill_mode_20rocsparse_diag_type_b.has_indirect_call, 0
	.section	.AMDGPU.csdata,"",@progbits
; Kernel info:
; codeLenInByte = 2364
; TotalNumSgprs: 40
; NumVgprs: 19
; ScratchSize: 0
; MemoryBound: 0
; FloatMode: 240
; IeeeMode: 1
; LDSByteSize: 3072 bytes/workgroup (compile time only)
; SGPRBlocks: 0
; VGPRBlocks: 1
; NumSGPRsForWavesPerEU: 40
; NumVGPRsForWavesPerEU: 19
; NamedBarCnt: 0
; Occupancy: 16
; WaveLimiterHint : 1
; COMPUTE_PGM_RSRC2:SCRATCH_EN: 0
; COMPUTE_PGM_RSRC2:USER_SGPR: 2
; COMPUTE_PGM_RSRC2:TRAP_HANDLER: 0
; COMPUTE_PGM_RSRC2:TGID_X_EN: 1
; COMPUTE_PGM_RSRC2:TGID_Y_EN: 0
; COMPUTE_PGM_RSRC2:TGID_Z_EN: 0
; COMPUTE_PGM_RSRC2:TIDIG_COMP_CNT: 0
	.section	.text._ZN9rocsparseL5csrsmILj256ELj64ELb0EllfEEv20rocsparse_operation_T3_S2_NS_24const_host_device_scalarIT4_EEPKT2_PKS2_PKS4_PS4_lPiSA_PS2_21rocsparse_index_base_20rocsparse_fill_mode_20rocsparse_diag_type_b,"axG",@progbits,_ZN9rocsparseL5csrsmILj256ELj64ELb0EllfEEv20rocsparse_operation_T3_S2_NS_24const_host_device_scalarIT4_EEPKT2_PKS2_PKS4_PS4_lPiSA_PS2_21rocsparse_index_base_20rocsparse_fill_mode_20rocsparse_diag_type_b,comdat
	.globl	_ZN9rocsparseL5csrsmILj256ELj64ELb0EllfEEv20rocsparse_operation_T3_S2_NS_24const_host_device_scalarIT4_EEPKT2_PKS2_PKS4_PS4_lPiSA_PS2_21rocsparse_index_base_20rocsparse_fill_mode_20rocsparse_diag_type_b ; -- Begin function _ZN9rocsparseL5csrsmILj256ELj64ELb0EllfEEv20rocsparse_operation_T3_S2_NS_24const_host_device_scalarIT4_EEPKT2_PKS2_PKS4_PS4_lPiSA_PS2_21rocsparse_index_base_20rocsparse_fill_mode_20rocsparse_diag_type_b
	.p2align	8
	.type	_ZN9rocsparseL5csrsmILj256ELj64ELb0EllfEEv20rocsparse_operation_T3_S2_NS_24const_host_device_scalarIT4_EEPKT2_PKS2_PKS4_PS4_lPiSA_PS2_21rocsparse_index_base_20rocsparse_fill_mode_20rocsparse_diag_type_b,@function
_ZN9rocsparseL5csrsmILj256ELj64ELb0EllfEEv20rocsparse_operation_T3_S2_NS_24const_host_device_scalarIT4_EEPKT2_PKS2_PKS4_PS4_lPiSA_PS2_21rocsparse_index_base_20rocsparse_fill_mode_20rocsparse_diag_type_b: ; @_ZN9rocsparseL5csrsmILj256ELj64ELb0EllfEEv20rocsparse_operation_T3_S2_NS_24const_host_device_scalarIT4_EEPKT2_PKS2_PKS4_PS4_lPiSA_PS2_21rocsparse_index_base_20rocsparse_fill_mode_20rocsparse_diag_type_b
; %bb.0:
	s_clause 0x2
	s_load_b128 s[4:7], s[0:1], 0x60
	s_load_b128 s[12:15], s[0:1], 0x8
	s_load_b64 s[24:25], s[0:1], 0x18
	s_wait_kmcnt 0x0
	s_bitcmp1_b32 s7, 0
	s_cselect_b32 s2, -1, 0
	s_delay_alu instid0(SALU_CYCLE_1)
	s_and_b32 vcc_lo, exec_lo, s2
	s_cbranch_vccnz .LBB89_2
; %bb.1:
	s_load_b32 s24, s[24:25], 0x0
.LBB89_2:
	s_bfe_u32 s2, ttmp6, 0x4000c
	s_and_b32 s3, ttmp6, 15
	s_add_co_i32 s2, s2, 1
	s_getreg_b32 s7, hwreg(HW_REG_IB_STS2, 6, 4)
	s_mul_i32 s2, ttmp9, s2
	s_delay_alu instid0(SALU_CYCLE_1)
	s_add_co_i32 s3, s3, s2
	s_cmp_eq_u32 s7, 0
	s_cselect_b32 s2, ttmp9, s3
	s_and_b64 s[8:9], s[12:13], 0xffffffff00000000
	s_mov_b32 s3, 0
	s_cmp_lg_u64 s[8:9], 0
	s_cbranch_scc0 .LBB89_49
; %bb.3:
	s_ashr_i32 s8, s13, 31
	s_mov_b32 s21, s3
	s_mov_b32 s9, s8
	;; [unrolled: 1-line block ×3, first 2 shown]
	s_add_nc_u64 s[10:11], s[12:13], s[8:9]
	s_delay_alu instid0(SALU_CYCLE_1) | instskip(NEXT) | instid1(SALU_CYCLE_1)
	s_xor_b64 s[10:11], s[10:11], s[8:9]
	s_cvt_f32_u32 s7, s10
	s_cvt_f32_u32 s16, s11
	s_sub_nc_u64 s[18:19], 0, s[10:11]
	s_delay_alu instid0(SALU_CYCLE_2) | instskip(NEXT) | instid1(SALU_CYCLE_3)
	s_fmamk_f32 s7, s16, 0x4f800000, s7
	v_s_rcp_f32 s7, s7
	s_delay_alu instid0(TRANS32_DEP_1) | instskip(NEXT) | instid1(SALU_CYCLE_3)
	s_mul_f32 s7, s7, 0x5f7ffffc
	s_mul_f32 s16, s7, 0x2f800000
	s_delay_alu instid0(SALU_CYCLE_3) | instskip(NEXT) | instid1(SALU_CYCLE_3)
	s_trunc_f32 s16, s16
	s_fmamk_f32 s7, s16, 0xcf800000, s7
	s_cvt_u32_f32 s17, s16
	s_delay_alu instid0(SALU_CYCLE_2) | instskip(NEXT) | instid1(SALU_CYCLE_3)
	s_cvt_u32_f32 s16, s7
	s_mul_u64 s[22:23], s[18:19], s[16:17]
	s_delay_alu instid0(SALU_CYCLE_1)
	s_mul_hi_u32 s29, s16, s23
	s_mul_i32 s28, s16, s23
	s_mul_hi_u32 s20, s16, s22
	s_wait_xcnt 0x0
	s_mul_i32 s25, s17, s22
	s_add_nc_u64 s[20:21], s[20:21], s[28:29]
	s_mul_hi_u32 s7, s17, s22
	s_mul_hi_u32 s30, s17, s23
	s_add_co_u32 s20, s20, s25
	s_add_co_ci_u32 s26, s21, s7
	s_mul_i32 s22, s17, s23
	s_add_co_ci_u32 s23, s30, 0
	s_delay_alu instid0(SALU_CYCLE_1) | instskip(SKIP_3) | instid1(SALU_CYCLE_1)
	s_add_nc_u64 s[20:21], s[26:27], s[22:23]
	s_mov_b32 s23, s3
	s_add_co_u32 s16, s16, s20
	s_cselect_b32 s7, -1, 0
	s_cmp_lg_u32 s7, 0
	s_add_co_ci_u32 s17, s17, s21
	s_mov_b32 s21, s3
	s_mul_u64 s[18:19], s[18:19], s[16:17]
	s_delay_alu instid0(SALU_CYCLE_1)
	s_mul_hi_u32 s27, s16, s19
	s_mul_i32 s26, s16, s19
	s_mul_hi_u32 s20, s16, s18
	s_mul_i32 s22, s17, s18
	s_add_nc_u64 s[20:21], s[20:21], s[26:27]
	s_mul_hi_u32 s7, s17, s18
	s_mul_hi_u32 s25, s17, s19
	s_mul_i32 s18, s17, s19
	s_add_co_u32 s19, s20, s22
	s_add_co_ci_u32 s22, s21, s7
	s_add_co_ci_u32 s19, s25, 0
	s_add_nc_u64 s[20:21], s[2:3], 0
	s_add_nc_u64 s[18:19], s[22:23], s[18:19]
	s_delay_alu instid0(SALU_CYCLE_1) | instskip(SKIP_1) | instid1(SALU_CYCLE_1)
	s_add_co_u32 s7, s16, s18
	s_cselect_b32 s16, -1, 0
	s_cmp_lg_u32 s16, 0
	s_add_co_ci_u32 s18, s17, s19
	s_xor_b64 s[16:17], s[20:21], 0
	s_mov_b32 s19, s3
	s_mul_hi_u32 s21, s16, s18
	s_mul_i32 s20, s16, s18
	s_mul_hi_u32 s22, s16, s7
	s_mul_hi_u32 s26, s17, s7
	s_mul_i32 s7, s17, s7
	s_add_nc_u64 s[20:21], s[22:23], s[20:21]
	s_mul_hi_u32 s25, s17, s18
	s_add_co_u32 s7, s20, s7
	s_mul_i32 s22, s17, s18
	s_add_co_ci_u32 s18, s21, s26
	s_add_co_ci_u32 s23, s25, 0
	s_delay_alu instid0(SALU_CYCLE_1) | instskip(NEXT) | instid1(SALU_CYCLE_1)
	s_add_nc_u64 s[18:19], s[18:19], s[22:23]
	s_and_b64 s[20:21], s[18:19], 0xffffffff00000000
	s_delay_alu instid0(SALU_CYCLE_1) | instskip(NEXT) | instid1(SALU_CYCLE_1)
	s_or_b32 s20, s20, s18
	s_mul_u64 s[18:19], s[10:11], s[20:21]
	s_delay_alu instid0(SALU_CYCLE_1)
	s_sub_co_u32 s7, s16, s18
	s_cselect_b32 s16, -1, 0
	s_sub_co_i32 s18, s17, s19
	s_cmp_lg_u32 s16, 0
	s_sub_co_ci_u32 s18, s18, s11
	s_sub_co_u32 s22, s7, s10
	s_cselect_b32 s23, -1, 0
	s_delay_alu instid0(SALU_CYCLE_1) | instskip(SKIP_1) | instid1(SALU_CYCLE_1)
	s_cmp_lg_u32 s23, 0
	s_sub_co_ci_u32 s18, s18, 0
	s_cmp_ge_u32 s18, s11
	s_cselect_b32 s25, -1, 0
	s_cmp_ge_u32 s22, s10
	s_add_nc_u64 s[22:23], s[20:21], 1
	s_cselect_b32 s26, -1, 0
	s_cmp_eq_u32 s18, s11
	s_cselect_b32 s18, s26, s25
	s_add_nc_u64 s[26:27], s[20:21], 2
	s_cmp_lg_u32 s18, 0
	s_cselect_b32 s18, s26, s22
	s_cselect_b32 s22, s27, s23
	s_cmp_lg_u32 s16, 0
	s_sub_co_ci_u32 s16, s17, s19
	s_delay_alu instid0(SALU_CYCLE_1)
	s_cmp_ge_u32 s16, s11
	s_cselect_b32 s17, -1, 0
	s_cmp_ge_u32 s7, s10
	s_cselect_b32 s7, -1, 0
	s_cmp_eq_u32 s16, s11
	s_cselect_b32 s7, s7, s17
	s_delay_alu instid0(SALU_CYCLE_1) | instskip(SKIP_4) | instid1(SALU_CYCLE_1)
	s_cmp_lg_u32 s7, 0
	s_mov_b32 s7, s3
	s_cselect_b32 s11, s22, s21
	s_cselect_b32 s10, s18, s20
	s_xor_b64 s[8:9], 0, s[8:9]
	s_xor_b64 s[10:11], s[10:11], s[8:9]
	s_delay_alu instid0(SALU_CYCLE_1)
	s_sub_nc_u64 s[22:23], s[10:11], s[8:9]
	s_clause 0x1
	s_load_b64 s[8:9], s[0:1], 0x50
	s_load_b64 s[16:17], s[0:1], 0x20
	s_and_not1_b32 vcc_lo, exec_lo, s7
	s_cbranch_vccnz .LBB89_5
.LBB89_4:
	v_cvt_f32_u32_e32 v1, s12
	s_sub_co_i32 s10, 0, s12
	s_mov_b32 s23, 0
	s_delay_alu instid0(VALU_DEP_1) | instskip(SKIP_1) | instid1(TRANS32_DEP_1)
	v_rcp_iflag_f32_e32 v1, v1
	v_nop
	v_mul_f32_e32 v1, 0x4f7ffffe, v1
	s_delay_alu instid0(VALU_DEP_1) | instskip(NEXT) | instid1(VALU_DEP_1)
	v_cvt_u32_f32_e32 v1, v1
	v_readfirstlane_b32 s7, v1
	s_mul_i32 s10, s10, s7
	s_delay_alu instid0(SALU_CYCLE_1) | instskip(NEXT) | instid1(SALU_CYCLE_1)
	s_mul_hi_u32 s10, s7, s10
	s_add_co_i32 s7, s7, s10
	s_delay_alu instid0(SALU_CYCLE_1) | instskip(NEXT) | instid1(SALU_CYCLE_1)
	s_mul_hi_u32 s7, s2, s7
	s_mul_i32 s10, s7, s12
	s_add_co_i32 s11, s7, 1
	s_sub_co_i32 s10, s2, s10
	s_delay_alu instid0(SALU_CYCLE_1)
	s_sub_co_i32 s18, s10, s12
	s_cmp_ge_u32 s10, s12
	s_cselect_b32 s7, s11, s7
	s_cselect_b32 s10, s18, s10
	s_add_co_i32 s11, s7, 1
	s_cmp_ge_u32 s10, s12
	s_cselect_b32 s22, s11, s7
.LBB89_5:
	s_delay_alu instid0(SALU_CYCLE_1) | instskip(SKIP_2) | instid1(SALU_CYCLE_1)
	s_mul_u64 s[12:13], s[22:23], s[12:13]
	v_mov_b32_e32 v1, 0
	s_sub_nc_u64 s[2:3], s[2:3], s[12:13]
	s_lshl_b64 s[2:3], s[2:3], 3
	s_delay_alu instid0(VALU_DEP_1)
	v_mov_b32_e32 v12, v1
	s_wait_kmcnt 0x0
	s_add_nc_u64 s[2:3], s[8:9], s[2:3]
	s_load_b128 s[8:11], s[0:1], 0x38
	s_load_b64 s[20:21], s[2:3], 0x0
	s_wait_kmcnt 0x0
	s_lshl_b64 s[2:3], s[20:21], 3
	s_delay_alu instid0(SALU_CYCLE_1)
	s_add_nc_u64 s[2:3], s[16:17], s[2:3]
	s_load_b128 s[16:19], s[2:3], 0x0
	s_wait_xcnt 0x0
	s_lshl_b64 s[2:3], s[22:23], 8
	s_mul_u64 s[22:23], s[20:21], s[10:11]
	v_dual_mov_b32 v3, s3 :: v_dual_bitop2_b32 v2, s2, v0 bitop3:0x54
	s_delay_alu instid0(VALU_DEP_1)
	v_cmp_gt_i64_e64 s2, s[14:15], v[2:3]
	s_and_saveexec_b32 s3, s2
	s_cbranch_execz .LBB89_7
; %bb.6:
	v_add_nc_u64_e32 v[4:5], s[22:23], v[2:3]
	s_delay_alu instid0(VALU_DEP_1)
	v_lshl_add_u64 v[4:5], v[4:5], 2, s[8:9]
	global_load_b32 v4, v[4:5], off
	s_wait_loadcnt 0x0
	v_mul_f32_e32 v12, s24, v4
.LBB89_7:
	s_or_b32 exec_lo, exec_lo, s3
	s_load_b64 s[14:15], s[0:1], 0x48
	s_wait_kmcnt 0x0
	v_cmp_ge_i64_e64 s3, s[16:17], s[18:19]
	v_lshl_add_u64 v[2:3], v[2:3], 2, s[8:9]
	v_mov_b32_e32 v11, 1.0
	s_and_b32 vcc_lo, exec_lo, s3
	v_cmp_eq_u32_e64 s3, 0, v0
	s_cbranch_vccnz .LBB89_43
; %bb.8:
	s_clause 0x1
	s_load_b128 s[28:31], s[0:1], 0x28
	s_load_b64 s[8:9], s[0:1], 0x58
	v_dual_mov_b32 v5, 0 :: v_dual_lshlrev_b32 v4, 3, v0
	v_lshlrev_b32_e32 v8, 2, v0
	s_wait_xcnt 0x0
	s_lshl_b64 s[0:1], s[12:13], 2
	s_mov_b32 s25, 0
	s_mov_b32 s24, s4
	v_mov_b32_e32 v9, v5
	v_or_b32_e32 v13, 0x800, v8
	s_cmp_lg_u32 s6, 0
	s_add_nc_u64 s[26:27], s[14:15], s[0:1]
	v_cmp_ne_u32_e64 s0, 0, v0
	v_mov_b32_e32 v14, 1.0
	s_sub_nc_u64 s[16:17], s[16:17], s[24:25]
	s_cselect_b32 s4, -1, 0
	s_cmp_eq_u32 s6, 0
	s_sub_nc_u64 s[18:19], s[18:19], s[24:25]
	s_cselect_b32 s1, -1, 0
	s_wait_kmcnt 0x0
	v_add_nc_u64_e32 v[6:7], s[28:29], v[4:5]
	v_add_nc_u64_e32 v[8:9], s[30:31], v[8:9]
	s_add_nc_u64 s[28:29], s[20:21], s[24:25]
	s_mov_b64 s[30:31], s[16:17]
	s_delay_alu instid0(SALU_CYCLE_1) | instskip(NEXT) | instid1(SALU_CYCLE_1)
	s_sub_co_i32 s7, s30, s16
	s_and_b32 s7, s7, 0xff
	s_delay_alu instid0(SALU_CYCLE_1)
	s_cmp_lg_u32 s7, 0
	s_cbranch_scc1 .LBB89_12
.LBB89_9:
	v_mov_b64_e32 v[10:11], -1
	v_mov_b32_e32 v15, -1.0
	s_sub_nc_u64 s[34:35], s[18:19], s[30:31]
	s_mov_b32 s17, exec_lo
	v_cmpx_gt_i64_e64 s[34:35], v[0:1]
	s_cbranch_execz .LBB89_11
; %bb.10:
	v_lshl_add_u64 v[10:11], s[30:31], 3, v[6:7]
	v_lshl_add_u64 v[16:17], s[30:31], 2, v[8:9]
	global_load_b64 v[10:11], v[10:11], off
	global_load_b32 v15, v[16:17], off
	s_wait_loadcnt 0x1
	s_wait_xcnt 0x1
	v_sub_nc_u64_e64 v[10:11], v[10:11], s[24:25]
.LBB89_11:
	s_wait_xcnt 0x0
	s_or_b32 exec_lo, exec_lo, s17
	ds_store_b64 v4, v[10:11]
	s_wait_loadcnt 0x0
	ds_store_b32 v13, v15
.LBB89_12:                              ; =>This Loop Header: Depth=1
                                        ;     Child Loop BB89_35 Depth 2
	s_lshl_b32 s17, s7, 3
	s_lshl_b32 s7, s7, 2
	s_delay_alu instid0(SALU_CYCLE_1)
	v_dual_mov_b32 v10, s17 :: v_dual_mov_b32 v15, s7
	s_wait_dscnt 0x0
	s_barrier_signal -1
	s_barrier_wait -1
	ds_load_b64 v[10:11], v10
	ds_load_b32 v15, v15 offset:2048
	s_wait_dscnt 0x1
	v_readfirstlane_b32 s34, v10
	v_readfirstlane_b32 s35, v11
	s_wait_dscnt 0x0
	v_cmp_neq_f32_e32 vcc_lo, 0, v15
	s_cmp_lg_u64 s[34:35], s[20:21]
	s_cselect_b32 s7, -1, 0
	s_delay_alu instid0(SALU_CYCLE_1) | instskip(NEXT) | instid1(SALU_CYCLE_1)
	s_or_b32 s7, s4, s7
	s_or_b32 vcc_lo, vcc_lo, s7
	v_cndmask_b32_e32 v10, 1.0, v15, vcc_lo
	s_nor_b32 s17, s0, vcc_lo
	s_delay_alu instid0(SALU_CYCLE_1)
	s_and_saveexec_b32 s7, s17
	s_cbranch_execz .LBB89_16
; %bb.13:                               ;   in Loop: Header=BB89_12 Depth=1
	v_mbcnt_lo_u32_b32 v10, exec_lo, 0
	s_mov_b32 s17, exec_lo
	s_delay_alu instid0(VALU_DEP_1)
	v_cmpx_eq_u32_e32 0, v10
	s_cbranch_execz .LBB89_15
; %bb.14:                               ;   in Loop: Header=BB89_12 Depth=1
	v_mov_b64_e32 v[10:11], s[28:29]
	global_atomic_min_u64 v5, v[10:11], s[8:9] scope:SCOPE_DEV
.LBB89_15:                              ;   in Loop: Header=BB89_12 Depth=1
	s_wait_xcnt 0x0
	s_or_b32 exec_lo, exec_lo, s17
	v_mov_b32_e32 v10, 1.0
.LBB89_16:                              ;   in Loop: Header=BB89_12 Depth=1
	s_or_b32 exec_lo, exec_lo, s7
	s_mov_b32 s33, -1
	s_mov_b32 s7, 0
	s_cmp_lt_i32 s5, 1
	s_mov_b32 s17, 0
                                        ; implicit-def: $vgpr11
	s_cbranch_scc0 .LBB89_23
; %bb.17:                               ;   in Loop: Header=BB89_12 Depth=1
	s_and_b32 vcc_lo, exec_lo, s33
	s_mov_b32 s33, 4
	s_cbranch_vccnz .LBB89_28
.LBB89_18:                              ;   in Loop: Header=BB89_12 Depth=1
	v_mov_b32_e32 v15, v12
	s_and_b32 vcc_lo, exec_lo, s17
	s_cbranch_vccnz .LBB89_33
.LBB89_19:                              ;   in Loop: Header=BB89_12 Depth=1
	s_and_b32 vcc_lo, exec_lo, s7
	s_cbranch_vccnz .LBB89_39
.LBB89_20:                              ;   in Loop: Header=BB89_12 Depth=1
	s_mov_b32 s7, -1
	s_cmp_gt_i32 s33, 3
	s_mov_b32 s17, -1
	s_cbranch_scc0 .LBB89_40
.LBB89_21:                              ;   in Loop: Header=BB89_12 Depth=1
	s_and_not1_b32 vcc_lo, exec_lo, s17
	s_cbranch_vccz .LBB89_41
.LBB89_22:                              ;   in Loop: Header=BB89_12 Depth=1
	s_and_not1_b32 vcc_lo, exec_lo, s7
	s_cbranch_vccnz .LBB89_42
	s_branch .LBB89_44
.LBB89_23:                              ;   in Loop: Header=BB89_12 Depth=1
	s_cmp_eq_u32 s5, 1
	s_mov_b32 s17, -1
                                        ; implicit-def: $vgpr11
	s_cbranch_scc0 .LBB89_27
; %bb.24:                               ;   in Loop: Header=BB89_12 Depth=1
	v_cmp_ge_i64_e64 s17, s[34:35], s[20:21]
	v_mov_b32_e32 v11, v14
	s_and_b32 vcc_lo, exec_lo, s17
	s_mov_b32 s17, 0
	s_cbranch_vccz .LBB89_27
; %bb.25:                               ;   in Loop: Header=BB89_12 Depth=1
	s_cmp_eq_u64 s[34:35], s[20:21]
	s_mov_b32 s17, -1
                                        ; implicit-def: $vgpr11
	s_cbranch_scc0 .LBB89_27
; %bb.26:                               ;   in Loop: Header=BB89_12 Depth=1
	v_div_scale_f32 v11, null, v10, v10, 1.0
	s_mov_b32 s17, 0
	v_rcp_f32_e32 v15, v11
	v_nop
	s_delay_alu instid0(TRANS32_DEP_1) | instskip(NEXT) | instid1(VALU_DEP_1)
	v_fma_f32 v16, -v11, v15, 1.0
	v_fmac_f32_e32 v15, v16, v15
	v_div_scale_f32 v16, vcc_lo, 1.0, v10, 1.0
	s_delay_alu instid0(VALU_DEP_1) | instskip(NEXT) | instid1(VALU_DEP_1)
	v_mul_f32_e32 v17, v16, v15
	v_fma_f32 v18, -v11, v17, v16
	s_delay_alu instid0(VALU_DEP_1) | instskip(NEXT) | instid1(VALU_DEP_1)
	v_fmac_f32_e32 v17, v18, v15
	v_fma_f32 v11, -v11, v17, v16
	s_delay_alu instid0(VALU_DEP_1) | instskip(NEXT) | instid1(VALU_DEP_1)
	v_div_fmas_f32 v11, v11, v15, v17
	v_div_fixup_f32 v11, v11, v10, 1.0
	s_delay_alu instid0(VALU_DEP_1)
	v_cndmask_b32_e64 v11, v14, v11, s1
.LBB89_27:                              ;   in Loop: Header=BB89_12 Depth=1
	s_mov_b32 s33, 4
	s_branch .LBB89_18
.LBB89_28:                              ;   in Loop: Header=BB89_12 Depth=1
	s_cmp_eq_u32 s5, 0
	s_cbranch_scc1 .LBB89_30
; %bb.29:                               ;   in Loop: Header=BB89_12 Depth=1
	s_mov_b32 s17, -1
	s_branch .LBB89_32
.LBB89_30:                              ;   in Loop: Header=BB89_12 Depth=1
	v_cmp_le_i64_e64 s17, s[34:35], s[20:21]
	s_and_b32 vcc_lo, exec_lo, s17
	s_mov_b32 s17, 0
	s_cbranch_vccz .LBB89_32
; %bb.31:                               ;   in Loop: Header=BB89_12 Depth=1
	s_cmp_lg_u64 s[34:35], s[20:21]
	s_mov_b32 s7, -1
	s_cselect_b32 s17, -1, 0
.LBB89_32:                              ;   in Loop: Header=BB89_12 Depth=1
	v_mov_b32_e32 v11, v14
	s_mov_b32 s33, 2
	v_mov_b32_e32 v15, v12
	s_and_b32 vcc_lo, exec_lo, s17
	s_cbranch_vccz .LBB89_19
.LBB89_33:                              ;   in Loop: Header=BB89_12 Depth=1
	s_and_saveexec_b32 s7, s3
	s_cbranch_execz .LBB89_36
; %bb.34:                               ;   in Loop: Header=BB89_12 Depth=1
	s_lshl_b64 s[36:37], s[34:35], 2
	s_delay_alu instid0(SALU_CYCLE_1)
	s_add_nc_u64 s[36:37], s[26:27], s[36:37]
	global_load_b32 v11, v5, s[36:37] scope:SCOPE_DEV
	s_wait_loadcnt 0x0
	v_cmp_ne_u32_e32 vcc_lo, 0, v11
	s_cbranch_vccnz .LBB89_36
.LBB89_35:                              ;   Parent Loop BB89_12 Depth=1
                                        ; =>  This Inner Loop Header: Depth=2
	global_load_b32 v11, v5, s[36:37] scope:SCOPE_DEV
	s_wait_loadcnt 0x0
	v_cmp_eq_u32_e32 vcc_lo, 0, v11
	s_cbranch_vccnz .LBB89_35
.LBB89_36:                              ;   in Loop: Header=BB89_12 Depth=1
	s_wait_xcnt 0x0
	s_or_b32 exec_lo, exec_lo, s7
	v_mov_b32_e32 v15, 0
	s_wait_storecnt 0x0
	s_barrier_signal -1
	s_barrier_wait -1
	global_inv scope:SCOPE_DEV
	s_and_saveexec_b32 s7, s2
	s_cbranch_execz .LBB89_38
; %bb.37:                               ;   in Loop: Header=BB89_12 Depth=1
	s_mul_u64 s[34:35], s[34:35], s[10:11]
	s_delay_alu instid0(SALU_CYCLE_1)
	v_lshl_add_u64 v[16:17], s[34:35], 2, v[2:3]
	global_load_b32 v11, v[16:17], off
	s_wait_loadcnt 0x0
	v_fma_f32 v15, -v10, v11, v12
.LBB89_38:                              ;   in Loop: Header=BB89_12 Depth=1
	s_or_b32 exec_lo, exec_lo, s7
	v_mov_b32_e32 v11, v14
	s_mov_b32 s33, 0
	s_branch .LBB89_20
.LBB89_39:                              ;   in Loop: Header=BB89_12 Depth=1
	v_div_scale_f32 v11, null, v10, v10, 1.0
	v_div_scale_f32 v17, vcc_lo, 1.0, v10, 1.0
	s_mov_b32 s33, 2
	v_rcp_f32_e32 v15, v11
	v_nop
	s_delay_alu instid0(TRANS32_DEP_1) | instskip(NEXT) | instid1(VALU_DEP_1)
	v_fma_f32 v16, -v11, v15, 1.0
	v_fmac_f32_e32 v15, v16, v15
	s_delay_alu instid0(VALU_DEP_1) | instskip(NEXT) | instid1(VALU_DEP_1)
	v_mul_f32_e32 v16, v17, v15
	v_fma_f32 v18, -v11, v16, v17
	s_delay_alu instid0(VALU_DEP_1) | instskip(NEXT) | instid1(VALU_DEP_1)
	v_fmac_f32_e32 v16, v18, v15
	v_fma_f32 v11, -v11, v16, v17
	s_delay_alu instid0(VALU_DEP_1) | instskip(SKIP_1) | instid1(VALU_DEP_2)
	v_div_fmas_f32 v11, v11, v15, v16
	v_mov_b32_e32 v15, v12
	v_div_fixup_f32 v10, v11, v10, 1.0
	s_delay_alu instid0(VALU_DEP_1)
	v_cndmask_b32_e64 v11, v14, v10, s1
	s_mov_b32 s7, -1
	s_cmp_gt_i32 s33, 3
	s_mov_b32 s17, -1
	s_cbranch_scc1 .LBB89_21
.LBB89_40:                              ;   in Loop: Header=BB89_12 Depth=1
	s_cmp_eq_u32 s33, 0
	s_cselect_b32 s17, -1, 0
	s_delay_alu instid0(SALU_CYCLE_1)
	s_and_not1_b32 vcc_lo, exec_lo, s17
	s_cbranch_vccnz .LBB89_22
.LBB89_41:                              ;   in Loop: Header=BB89_12 Depth=1
	s_add_nc_u64 s[30:31], s[30:31], 1
	s_delay_alu instid0(SALU_CYCLE_1)
	v_cmp_ge_i64_e64 s7, s[30:31], s[18:19]
	s_and_not1_b32 vcc_lo, exec_lo, s7
	s_cbranch_vccz .LBB89_44
.LBB89_42:                              ;   in Loop: Header=BB89_12 Depth=1
	v_dual_mov_b32 v12, v15 :: v_dual_mov_b32 v14, v11
	s_sub_co_i32 s7, s30, s16
	s_delay_alu instid0(SALU_CYCLE_1) | instskip(NEXT) | instid1(SALU_CYCLE_1)
	s_and_b32 s7, s7, 0xff
	s_cmp_lg_u32 s7, 0
	s_cbranch_scc1 .LBB89_12
	s_branch .LBB89_9
.LBB89_43:
	v_mov_b32_e32 v15, v12
.LBB89_44:
	s_and_saveexec_b32 s0, s2
	s_cbranch_execz .LBB89_46
; %bb.45:
	s_delay_alu instid0(VALU_DEP_1) | instskip(SKIP_3) | instid1(VALU_DEP_2)
	v_mul_f32_e32 v1, v11, v15
	s_cmp_eq_u32 s6, 0
	v_lshl_add_u64 v[2:3], s[22:23], 2, v[2:3]
	s_cselect_b32 vcc_lo, -1, 0
	v_cndmask_b32_e32 v1, v15, v1, vcc_lo
	global_store_b32 v[2:3], v1, off
.LBB89_46:
	s_wait_xcnt 0x0
	s_or_b32 exec_lo, exec_lo, s0
	global_wb scope:SCOPE_DEV
	s_wait_loadcnt 0x0
	s_wait_storecnt 0x0
	global_inv scope:SCOPE_DEV
	s_wait_loadcnt 0x0
	s_barrier_signal -1
	s_barrier_wait -1
	s_mov_b32 s0, exec_lo
	v_cmpx_eq_u32_e32 0, v0
	s_cbranch_execz .LBB89_48
; %bb.47:
	s_lshl_b64 s[0:1], s[20:21], 2
	v_dual_mov_b32 v0, 0 :: v_dual_mov_b32 v1, 1
	s_add_nc_u64 s[0:1], s[14:15], s[0:1]
	s_lshl_b64 s[2:3], s[12:13], 2
	s_delay_alu instid0(SALU_CYCLE_1)
	s_add_nc_u64 s[0:1], s[0:1], s[2:3]
	global_store_b32 v0, v1, s[0:1] scope:SCOPE_DEV
.LBB89_48:
	s_endpgm
.LBB89_49:
                                        ; implicit-def: $sgpr22_sgpr23
	s_clause 0x1
	s_load_b64 s[8:9], s[0:1], 0x50
	s_load_b64 s[16:17], s[0:1], 0x20
	s_branch .LBB89_4
	.section	.rodata,"a",@progbits
	.p2align	6, 0x0
	.amdhsa_kernel _ZN9rocsparseL5csrsmILj256ELj64ELb0EllfEEv20rocsparse_operation_T3_S2_NS_24const_host_device_scalarIT4_EEPKT2_PKS2_PKS4_PS4_lPiSA_PS2_21rocsparse_index_base_20rocsparse_fill_mode_20rocsparse_diag_type_b
		.amdhsa_group_segment_fixed_size 3072
		.amdhsa_private_segment_fixed_size 0
		.amdhsa_kernarg_size 112
		.amdhsa_user_sgpr_count 2
		.amdhsa_user_sgpr_dispatch_ptr 0
		.amdhsa_user_sgpr_queue_ptr 0
		.amdhsa_user_sgpr_kernarg_segment_ptr 1
		.amdhsa_user_sgpr_dispatch_id 0
		.amdhsa_user_sgpr_kernarg_preload_length 0
		.amdhsa_user_sgpr_kernarg_preload_offset 0
		.amdhsa_user_sgpr_private_segment_size 0
		.amdhsa_wavefront_size32 1
		.amdhsa_uses_dynamic_stack 0
		.amdhsa_enable_private_segment 0
		.amdhsa_system_sgpr_workgroup_id_x 1
		.amdhsa_system_sgpr_workgroup_id_y 0
		.amdhsa_system_sgpr_workgroup_id_z 0
		.amdhsa_system_sgpr_workgroup_info 0
		.amdhsa_system_vgpr_workitem_id 0
		.amdhsa_next_free_vgpr 19
		.amdhsa_next_free_sgpr 38
		.amdhsa_named_barrier_count 0
		.amdhsa_reserve_vcc 1
		.amdhsa_float_round_mode_32 0
		.amdhsa_float_round_mode_16_64 0
		.amdhsa_float_denorm_mode_32 3
		.amdhsa_float_denorm_mode_16_64 3
		.amdhsa_fp16_overflow 0
		.amdhsa_memory_ordered 1
		.amdhsa_forward_progress 1
		.amdhsa_inst_pref_size 18
		.amdhsa_round_robin_scheduling 0
		.amdhsa_exception_fp_ieee_invalid_op 0
		.amdhsa_exception_fp_denorm_src 0
		.amdhsa_exception_fp_ieee_div_zero 0
		.amdhsa_exception_fp_ieee_overflow 0
		.amdhsa_exception_fp_ieee_underflow 0
		.amdhsa_exception_fp_ieee_inexact 0
		.amdhsa_exception_int_div_zero 0
	.end_amdhsa_kernel
	.section	.text._ZN9rocsparseL5csrsmILj256ELj64ELb0EllfEEv20rocsparse_operation_T3_S2_NS_24const_host_device_scalarIT4_EEPKT2_PKS2_PKS4_PS4_lPiSA_PS2_21rocsparse_index_base_20rocsparse_fill_mode_20rocsparse_diag_type_b,"axG",@progbits,_ZN9rocsparseL5csrsmILj256ELj64ELb0EllfEEv20rocsparse_operation_T3_S2_NS_24const_host_device_scalarIT4_EEPKT2_PKS2_PKS4_PS4_lPiSA_PS2_21rocsparse_index_base_20rocsparse_fill_mode_20rocsparse_diag_type_b,comdat
.Lfunc_end89:
	.size	_ZN9rocsparseL5csrsmILj256ELj64ELb0EllfEEv20rocsparse_operation_T3_S2_NS_24const_host_device_scalarIT4_EEPKT2_PKS2_PKS4_PS4_lPiSA_PS2_21rocsparse_index_base_20rocsparse_fill_mode_20rocsparse_diag_type_b, .Lfunc_end89-_ZN9rocsparseL5csrsmILj256ELj64ELb0EllfEEv20rocsparse_operation_T3_S2_NS_24const_host_device_scalarIT4_EEPKT2_PKS2_PKS4_PS4_lPiSA_PS2_21rocsparse_index_base_20rocsparse_fill_mode_20rocsparse_diag_type_b
                                        ; -- End function
	.set _ZN9rocsparseL5csrsmILj256ELj64ELb0EllfEEv20rocsparse_operation_T3_S2_NS_24const_host_device_scalarIT4_EEPKT2_PKS2_PKS4_PS4_lPiSA_PS2_21rocsparse_index_base_20rocsparse_fill_mode_20rocsparse_diag_type_b.num_vgpr, 19
	.set _ZN9rocsparseL5csrsmILj256ELj64ELb0EllfEEv20rocsparse_operation_T3_S2_NS_24const_host_device_scalarIT4_EEPKT2_PKS2_PKS4_PS4_lPiSA_PS2_21rocsparse_index_base_20rocsparse_fill_mode_20rocsparse_diag_type_b.num_agpr, 0
	.set _ZN9rocsparseL5csrsmILj256ELj64ELb0EllfEEv20rocsparse_operation_T3_S2_NS_24const_host_device_scalarIT4_EEPKT2_PKS2_PKS4_PS4_lPiSA_PS2_21rocsparse_index_base_20rocsparse_fill_mode_20rocsparse_diag_type_b.numbered_sgpr, 38
	.set _ZN9rocsparseL5csrsmILj256ELj64ELb0EllfEEv20rocsparse_operation_T3_S2_NS_24const_host_device_scalarIT4_EEPKT2_PKS2_PKS4_PS4_lPiSA_PS2_21rocsparse_index_base_20rocsparse_fill_mode_20rocsparse_diag_type_b.num_named_barrier, 0
	.set _ZN9rocsparseL5csrsmILj256ELj64ELb0EllfEEv20rocsparse_operation_T3_S2_NS_24const_host_device_scalarIT4_EEPKT2_PKS2_PKS4_PS4_lPiSA_PS2_21rocsparse_index_base_20rocsparse_fill_mode_20rocsparse_diag_type_b.private_seg_size, 0
	.set _ZN9rocsparseL5csrsmILj256ELj64ELb0EllfEEv20rocsparse_operation_T3_S2_NS_24const_host_device_scalarIT4_EEPKT2_PKS2_PKS4_PS4_lPiSA_PS2_21rocsparse_index_base_20rocsparse_fill_mode_20rocsparse_diag_type_b.uses_vcc, 1
	.set _ZN9rocsparseL5csrsmILj256ELj64ELb0EllfEEv20rocsparse_operation_T3_S2_NS_24const_host_device_scalarIT4_EEPKT2_PKS2_PKS4_PS4_lPiSA_PS2_21rocsparse_index_base_20rocsparse_fill_mode_20rocsparse_diag_type_b.uses_flat_scratch, 0
	.set _ZN9rocsparseL5csrsmILj256ELj64ELb0EllfEEv20rocsparse_operation_T3_S2_NS_24const_host_device_scalarIT4_EEPKT2_PKS2_PKS4_PS4_lPiSA_PS2_21rocsparse_index_base_20rocsparse_fill_mode_20rocsparse_diag_type_b.has_dyn_sized_stack, 0
	.set _ZN9rocsparseL5csrsmILj256ELj64ELb0EllfEEv20rocsparse_operation_T3_S2_NS_24const_host_device_scalarIT4_EEPKT2_PKS2_PKS4_PS4_lPiSA_PS2_21rocsparse_index_base_20rocsparse_fill_mode_20rocsparse_diag_type_b.has_recursion, 0
	.set _ZN9rocsparseL5csrsmILj256ELj64ELb0EllfEEv20rocsparse_operation_T3_S2_NS_24const_host_device_scalarIT4_EEPKT2_PKS2_PKS4_PS4_lPiSA_PS2_21rocsparse_index_base_20rocsparse_fill_mode_20rocsparse_diag_type_b.has_indirect_call, 0
	.section	.AMDGPU.csdata,"",@progbits
; Kernel info:
; codeLenInByte = 2300
; TotalNumSgprs: 40
; NumVgprs: 19
; ScratchSize: 0
; MemoryBound: 0
; FloatMode: 240
; IeeeMode: 1
; LDSByteSize: 3072 bytes/workgroup (compile time only)
; SGPRBlocks: 0
; VGPRBlocks: 1
; NumSGPRsForWavesPerEU: 40
; NumVGPRsForWavesPerEU: 19
; NamedBarCnt: 0
; Occupancy: 16
; WaveLimiterHint : 1
; COMPUTE_PGM_RSRC2:SCRATCH_EN: 0
; COMPUTE_PGM_RSRC2:USER_SGPR: 2
; COMPUTE_PGM_RSRC2:TRAP_HANDLER: 0
; COMPUTE_PGM_RSRC2:TGID_X_EN: 1
; COMPUTE_PGM_RSRC2:TGID_Y_EN: 0
; COMPUTE_PGM_RSRC2:TGID_Z_EN: 0
; COMPUTE_PGM_RSRC2:TIDIG_COMP_CNT: 0
	.section	.text._ZN9rocsparseL5csrsmILj512ELj64ELb1EllfEEv20rocsparse_operation_T3_S2_NS_24const_host_device_scalarIT4_EEPKT2_PKS2_PKS4_PS4_lPiSA_PS2_21rocsparse_index_base_20rocsparse_fill_mode_20rocsparse_diag_type_b,"axG",@progbits,_ZN9rocsparseL5csrsmILj512ELj64ELb1EllfEEv20rocsparse_operation_T3_S2_NS_24const_host_device_scalarIT4_EEPKT2_PKS2_PKS4_PS4_lPiSA_PS2_21rocsparse_index_base_20rocsparse_fill_mode_20rocsparse_diag_type_b,comdat
	.globl	_ZN9rocsparseL5csrsmILj512ELj64ELb1EllfEEv20rocsparse_operation_T3_S2_NS_24const_host_device_scalarIT4_EEPKT2_PKS2_PKS4_PS4_lPiSA_PS2_21rocsparse_index_base_20rocsparse_fill_mode_20rocsparse_diag_type_b ; -- Begin function _ZN9rocsparseL5csrsmILj512ELj64ELb1EllfEEv20rocsparse_operation_T3_S2_NS_24const_host_device_scalarIT4_EEPKT2_PKS2_PKS4_PS4_lPiSA_PS2_21rocsparse_index_base_20rocsparse_fill_mode_20rocsparse_diag_type_b
	.p2align	8
	.type	_ZN9rocsparseL5csrsmILj512ELj64ELb1EllfEEv20rocsparse_operation_T3_S2_NS_24const_host_device_scalarIT4_EEPKT2_PKS2_PKS4_PS4_lPiSA_PS2_21rocsparse_index_base_20rocsparse_fill_mode_20rocsparse_diag_type_b,@function
_ZN9rocsparseL5csrsmILj512ELj64ELb1EllfEEv20rocsparse_operation_T3_S2_NS_24const_host_device_scalarIT4_EEPKT2_PKS2_PKS4_PS4_lPiSA_PS2_21rocsparse_index_base_20rocsparse_fill_mode_20rocsparse_diag_type_b: ; @_ZN9rocsparseL5csrsmILj512ELj64ELb1EllfEEv20rocsparse_operation_T3_S2_NS_24const_host_device_scalarIT4_EEPKT2_PKS2_PKS4_PS4_lPiSA_PS2_21rocsparse_index_base_20rocsparse_fill_mode_20rocsparse_diag_type_b
; %bb.0:
	s_clause 0x2
	s_load_b128 s[4:7], s[0:1], 0x60
	s_load_b128 s[12:15], s[0:1], 0x8
	s_load_b64 s[24:25], s[0:1], 0x18
	s_wait_kmcnt 0x0
	s_bitcmp1_b32 s7, 0
	s_cselect_b32 s2, -1, 0
	s_delay_alu instid0(SALU_CYCLE_1)
	s_and_b32 vcc_lo, exec_lo, s2
	s_cbranch_vccnz .LBB90_2
; %bb.1:
	s_load_b32 s24, s[24:25], 0x0
.LBB90_2:
	s_bfe_u32 s2, ttmp6, 0x4000c
	s_and_b32 s3, ttmp6, 15
	s_add_co_i32 s2, s2, 1
	s_getreg_b32 s7, hwreg(HW_REG_IB_STS2, 6, 4)
	s_mul_i32 s2, ttmp9, s2
	s_delay_alu instid0(SALU_CYCLE_1)
	s_add_co_i32 s3, s3, s2
	s_cmp_eq_u32 s7, 0
	s_cselect_b32 s2, ttmp9, s3
	s_and_b64 s[8:9], s[12:13], 0xffffffff00000000
	s_mov_b32 s3, 0
	s_cmp_lg_u64 s[8:9], 0
	s_cbranch_scc0 .LBB90_52
; %bb.3:
	s_ashr_i32 s8, s13, 31
	s_mov_b32 s21, s3
	s_mov_b32 s9, s8
	s_mov_b32 s27, s3
	s_add_nc_u64 s[10:11], s[12:13], s[8:9]
	s_delay_alu instid0(SALU_CYCLE_1) | instskip(NEXT) | instid1(SALU_CYCLE_1)
	s_xor_b64 s[10:11], s[10:11], s[8:9]
	s_cvt_f32_u32 s7, s10
	s_cvt_f32_u32 s16, s11
	s_sub_nc_u64 s[18:19], 0, s[10:11]
	s_delay_alu instid0(SALU_CYCLE_2) | instskip(NEXT) | instid1(SALU_CYCLE_3)
	s_fmamk_f32 s7, s16, 0x4f800000, s7
	v_s_rcp_f32 s7, s7
	s_delay_alu instid0(TRANS32_DEP_1) | instskip(NEXT) | instid1(SALU_CYCLE_3)
	s_mul_f32 s7, s7, 0x5f7ffffc
	s_mul_f32 s16, s7, 0x2f800000
	s_delay_alu instid0(SALU_CYCLE_3) | instskip(NEXT) | instid1(SALU_CYCLE_3)
	s_trunc_f32 s16, s16
	s_fmamk_f32 s7, s16, 0xcf800000, s7
	s_cvt_u32_f32 s17, s16
	s_delay_alu instid0(SALU_CYCLE_2) | instskip(NEXT) | instid1(SALU_CYCLE_3)
	s_cvt_u32_f32 s16, s7
	s_mul_u64 s[22:23], s[18:19], s[16:17]
	s_delay_alu instid0(SALU_CYCLE_1)
	s_mul_hi_u32 s29, s16, s23
	s_mul_i32 s28, s16, s23
	s_mul_hi_u32 s20, s16, s22
	s_wait_xcnt 0x0
	s_mul_i32 s25, s17, s22
	s_add_nc_u64 s[20:21], s[20:21], s[28:29]
	s_mul_hi_u32 s7, s17, s22
	s_mul_hi_u32 s30, s17, s23
	s_add_co_u32 s20, s20, s25
	s_add_co_ci_u32 s26, s21, s7
	s_mul_i32 s22, s17, s23
	s_add_co_ci_u32 s23, s30, 0
	s_delay_alu instid0(SALU_CYCLE_1) | instskip(SKIP_3) | instid1(SALU_CYCLE_1)
	s_add_nc_u64 s[20:21], s[26:27], s[22:23]
	s_mov_b32 s23, s3
	s_add_co_u32 s16, s16, s20
	s_cselect_b32 s7, -1, 0
	s_cmp_lg_u32 s7, 0
	s_add_co_ci_u32 s17, s17, s21
	s_mov_b32 s21, s3
	s_mul_u64 s[18:19], s[18:19], s[16:17]
	s_delay_alu instid0(SALU_CYCLE_1)
	s_mul_hi_u32 s27, s16, s19
	s_mul_i32 s26, s16, s19
	s_mul_hi_u32 s20, s16, s18
	s_mul_i32 s22, s17, s18
	s_add_nc_u64 s[20:21], s[20:21], s[26:27]
	s_mul_hi_u32 s7, s17, s18
	s_mul_hi_u32 s25, s17, s19
	s_mul_i32 s18, s17, s19
	s_add_co_u32 s19, s20, s22
	s_add_co_ci_u32 s22, s21, s7
	s_add_co_ci_u32 s19, s25, 0
	s_add_nc_u64 s[20:21], s[2:3], 0
	s_add_nc_u64 s[18:19], s[22:23], s[18:19]
	s_delay_alu instid0(SALU_CYCLE_1) | instskip(SKIP_1) | instid1(SALU_CYCLE_1)
	s_add_co_u32 s7, s16, s18
	s_cselect_b32 s16, -1, 0
	s_cmp_lg_u32 s16, 0
	s_add_co_ci_u32 s18, s17, s19
	s_xor_b64 s[16:17], s[20:21], 0
	s_mov_b32 s19, s3
	s_mul_hi_u32 s21, s16, s18
	s_mul_i32 s20, s16, s18
	s_mul_hi_u32 s22, s16, s7
	s_mul_hi_u32 s26, s17, s7
	s_mul_i32 s7, s17, s7
	s_add_nc_u64 s[20:21], s[22:23], s[20:21]
	s_mul_hi_u32 s25, s17, s18
	s_add_co_u32 s7, s20, s7
	s_mul_i32 s22, s17, s18
	s_add_co_ci_u32 s18, s21, s26
	s_add_co_ci_u32 s23, s25, 0
	s_delay_alu instid0(SALU_CYCLE_1) | instskip(NEXT) | instid1(SALU_CYCLE_1)
	s_add_nc_u64 s[18:19], s[18:19], s[22:23]
	s_and_b64 s[20:21], s[18:19], 0xffffffff00000000
	s_delay_alu instid0(SALU_CYCLE_1) | instskip(NEXT) | instid1(SALU_CYCLE_1)
	s_or_b32 s20, s20, s18
	s_mul_u64 s[18:19], s[10:11], s[20:21]
	s_delay_alu instid0(SALU_CYCLE_1)
	s_sub_co_u32 s7, s16, s18
	s_cselect_b32 s16, -1, 0
	s_sub_co_i32 s18, s17, s19
	s_cmp_lg_u32 s16, 0
	s_sub_co_ci_u32 s18, s18, s11
	s_sub_co_u32 s22, s7, s10
	s_cselect_b32 s23, -1, 0
	s_delay_alu instid0(SALU_CYCLE_1) | instskip(SKIP_1) | instid1(SALU_CYCLE_1)
	s_cmp_lg_u32 s23, 0
	s_sub_co_ci_u32 s18, s18, 0
	s_cmp_ge_u32 s18, s11
	s_cselect_b32 s25, -1, 0
	s_cmp_ge_u32 s22, s10
	s_add_nc_u64 s[22:23], s[20:21], 1
	s_cselect_b32 s26, -1, 0
	s_cmp_eq_u32 s18, s11
	s_cselect_b32 s18, s26, s25
	s_add_nc_u64 s[26:27], s[20:21], 2
	s_cmp_lg_u32 s18, 0
	s_cselect_b32 s18, s26, s22
	s_cselect_b32 s22, s27, s23
	s_cmp_lg_u32 s16, 0
	s_sub_co_ci_u32 s16, s17, s19
	s_delay_alu instid0(SALU_CYCLE_1)
	s_cmp_ge_u32 s16, s11
	s_cselect_b32 s17, -1, 0
	s_cmp_ge_u32 s7, s10
	s_cselect_b32 s7, -1, 0
	s_cmp_eq_u32 s16, s11
	s_cselect_b32 s7, s7, s17
	s_delay_alu instid0(SALU_CYCLE_1) | instskip(SKIP_4) | instid1(SALU_CYCLE_1)
	s_cmp_lg_u32 s7, 0
	s_mov_b32 s7, s3
	s_cselect_b32 s11, s22, s21
	s_cselect_b32 s10, s18, s20
	s_xor_b64 s[8:9], 0, s[8:9]
	s_xor_b64 s[10:11], s[10:11], s[8:9]
	s_delay_alu instid0(SALU_CYCLE_1)
	s_sub_nc_u64 s[22:23], s[10:11], s[8:9]
	s_clause 0x1
	s_load_b64 s[8:9], s[0:1], 0x50
	s_load_b64 s[16:17], s[0:1], 0x20
	s_and_not1_b32 vcc_lo, exec_lo, s7
	s_cbranch_vccnz .LBB90_5
.LBB90_4:
	v_cvt_f32_u32_e32 v1, s12
	s_sub_co_i32 s10, 0, s12
	s_mov_b32 s23, 0
	s_delay_alu instid0(VALU_DEP_1) | instskip(SKIP_1) | instid1(TRANS32_DEP_1)
	v_rcp_iflag_f32_e32 v1, v1
	v_nop
	v_mul_f32_e32 v1, 0x4f7ffffe, v1
	s_delay_alu instid0(VALU_DEP_1) | instskip(NEXT) | instid1(VALU_DEP_1)
	v_cvt_u32_f32_e32 v1, v1
	v_readfirstlane_b32 s7, v1
	s_mul_i32 s10, s10, s7
	s_delay_alu instid0(SALU_CYCLE_1) | instskip(NEXT) | instid1(SALU_CYCLE_1)
	s_mul_hi_u32 s10, s7, s10
	s_add_co_i32 s7, s7, s10
	s_delay_alu instid0(SALU_CYCLE_1) | instskip(NEXT) | instid1(SALU_CYCLE_1)
	s_mul_hi_u32 s7, s2, s7
	s_mul_i32 s10, s7, s12
	s_add_co_i32 s11, s7, 1
	s_sub_co_i32 s10, s2, s10
	s_delay_alu instid0(SALU_CYCLE_1)
	s_sub_co_i32 s18, s10, s12
	s_cmp_ge_u32 s10, s12
	s_cselect_b32 s7, s11, s7
	s_cselect_b32 s10, s18, s10
	s_add_co_i32 s11, s7, 1
	s_cmp_ge_u32 s10, s12
	s_cselect_b32 s22, s11, s7
.LBB90_5:
	s_delay_alu instid0(SALU_CYCLE_1) | instskip(SKIP_2) | instid1(SALU_CYCLE_1)
	s_mul_u64 s[12:13], s[22:23], s[12:13]
	v_mov_b32_e32 v1, 0
	s_sub_nc_u64 s[2:3], s[2:3], s[12:13]
	s_lshl_b64 s[2:3], s[2:3], 3
	s_delay_alu instid0(VALU_DEP_1)
	v_mov_b32_e32 v12, v1
	s_wait_kmcnt 0x0
	s_add_nc_u64 s[2:3], s[8:9], s[2:3]
	s_load_b128 s[8:11], s[0:1], 0x38
	s_load_b64 s[20:21], s[2:3], 0x0
	s_wait_kmcnt 0x0
	s_lshl_b64 s[2:3], s[20:21], 3
	s_delay_alu instid0(SALU_CYCLE_1)
	s_add_nc_u64 s[2:3], s[16:17], s[2:3]
	s_load_b128 s[16:19], s[2:3], 0x0
	s_wait_xcnt 0x0
	s_lshl_b64 s[2:3], s[22:23], 9
	s_mul_u64 s[22:23], s[20:21], s[10:11]
	v_dual_mov_b32 v3, s3 :: v_dual_bitop2_b32 v2, s2, v0 bitop3:0x54
	s_delay_alu instid0(VALU_DEP_1)
	v_cmp_gt_i64_e64 s2, s[14:15], v[2:3]
	s_and_saveexec_b32 s3, s2
	s_cbranch_execz .LBB90_7
; %bb.6:
	v_add_nc_u64_e32 v[4:5], s[22:23], v[2:3]
	s_delay_alu instid0(VALU_DEP_1)
	v_lshl_add_u64 v[4:5], v[4:5], 2, s[8:9]
	global_load_b32 v4, v[4:5], off
	s_wait_loadcnt 0x0
	v_mul_f32_e32 v12, s24, v4
.LBB90_7:
	s_or_b32 exec_lo, exec_lo, s3
	s_load_b64 s[14:15], s[0:1], 0x48
	s_wait_kmcnt 0x0
	v_cmp_ge_i64_e64 s3, s[16:17], s[18:19]
	v_lshl_add_u64 v[2:3], v[2:3], 2, s[8:9]
	v_mov_b32_e32 v11, 1.0
	s_and_b32 vcc_lo, exec_lo, s3
	v_cmp_eq_u32_e64 s3, 0, v0
	s_cbranch_vccnz .LBB90_46
; %bb.8:
	s_clause 0x1
	s_load_b128 s[28:31], s[0:1], 0x28
	s_load_b64 s[8:9], s[0:1], 0x58
	v_dual_mov_b32 v5, 0 :: v_dual_lshlrev_b32 v4, 3, v0
	v_lshlrev_b32_e32 v8, 2, v0
	s_wait_xcnt 0x0
	s_lshl_b64 s[0:1], s[12:13], 2
	s_mov_b32 s25, 0
	s_mov_b32 s24, s4
	v_mov_b32_e32 v9, v5
	v_or_b32_e32 v13, 0x1000, v8
	s_cmp_lg_u32 s6, 0
	s_add_nc_u64 s[26:27], s[14:15], s[0:1]
	v_cmp_ne_u32_e64 s0, 0, v0
	v_mov_b32_e32 v14, 1.0
	s_sub_nc_u64 s[16:17], s[16:17], s[24:25]
	s_cselect_b32 s4, -1, 0
	s_cmp_eq_u32 s6, 0
	s_sub_nc_u64 s[18:19], s[18:19], s[24:25]
	s_cselect_b32 s1, -1, 0
	s_wait_kmcnt 0x0
	v_add_nc_u64_e32 v[6:7], s[28:29], v[4:5]
	v_add_nc_u64_e32 v[8:9], s[30:31], v[8:9]
	s_add_nc_u64 s[28:29], s[20:21], s[24:25]
	s_mov_b64 s[30:31], s[16:17]
	s_delay_alu instid0(SALU_CYCLE_1) | instskip(NEXT) | instid1(SALU_CYCLE_1)
	s_sub_co_i32 s7, s30, s16
	s_and_b32 s7, s7, 0x1ff
	s_delay_alu instid0(SALU_CYCLE_1)
	s_cmp_lg_u32 s7, 0
	s_cbranch_scc1 .LBB90_12
.LBB90_9:
	v_mov_b64_e32 v[10:11], -1
	v_mov_b32_e32 v15, -1.0
	s_sub_nc_u64 s[34:35], s[18:19], s[30:31]
	s_mov_b32 s17, exec_lo
	v_cmpx_gt_i64_e64 s[34:35], v[0:1]
	s_cbranch_execz .LBB90_11
; %bb.10:
	v_lshl_add_u64 v[10:11], s[30:31], 3, v[6:7]
	v_lshl_add_u64 v[16:17], s[30:31], 2, v[8:9]
	global_load_b64 v[10:11], v[10:11], off
	global_load_b32 v15, v[16:17], off
	s_wait_loadcnt 0x1
	s_wait_xcnt 0x1
	v_sub_nc_u64_e64 v[10:11], v[10:11], s[24:25]
.LBB90_11:
	s_wait_xcnt 0x0
	s_or_b32 exec_lo, exec_lo, s17
	ds_store_b64 v4, v[10:11]
	s_wait_loadcnt 0x0
	ds_store_b32 v13, v15
.LBB90_12:                              ; =>This Loop Header: Depth=1
                                        ;     Child Loop BB90_44 Depth 2
                                        ;       Child Loop BB90_45 Depth 3
	s_lshl_b32 s17, s7, 3
	s_lshl_b32 s7, s7, 2
	s_delay_alu instid0(SALU_CYCLE_1)
	v_dual_mov_b32 v10, s17 :: v_dual_mov_b32 v15, s7
	s_wait_dscnt 0x0
	s_barrier_signal -1
	s_barrier_wait -1
	ds_load_b64 v[10:11], v10
	ds_load_b32 v15, v15 offset:4096
	s_wait_dscnt 0x1
	v_readfirstlane_b32 s34, v10
	v_readfirstlane_b32 s35, v11
	s_wait_dscnt 0x0
	v_cmp_neq_f32_e32 vcc_lo, 0, v15
	s_cmp_lg_u64 s[34:35], s[20:21]
	s_cselect_b32 s7, -1, 0
	s_delay_alu instid0(SALU_CYCLE_1) | instskip(NEXT) | instid1(SALU_CYCLE_1)
	s_or_b32 s7, s4, s7
	s_or_b32 vcc_lo, vcc_lo, s7
	v_cndmask_b32_e32 v10, 1.0, v15, vcc_lo
	s_nor_b32 s17, s0, vcc_lo
	s_delay_alu instid0(SALU_CYCLE_1)
	s_and_saveexec_b32 s7, s17
	s_cbranch_execz .LBB90_16
; %bb.13:                               ;   in Loop: Header=BB90_12 Depth=1
	v_mbcnt_lo_u32_b32 v10, exec_lo, 0
	s_mov_b32 s17, exec_lo
	s_delay_alu instid0(VALU_DEP_1)
	v_cmpx_eq_u32_e32 0, v10
	s_cbranch_execz .LBB90_15
; %bb.14:                               ;   in Loop: Header=BB90_12 Depth=1
	v_mov_b64_e32 v[10:11], s[28:29]
	global_atomic_min_u64 v5, v[10:11], s[8:9] scope:SCOPE_DEV
.LBB90_15:                              ;   in Loop: Header=BB90_12 Depth=1
	s_wait_xcnt 0x0
	s_or_b32 exec_lo, exec_lo, s17
	v_mov_b32_e32 v10, 1.0
.LBB90_16:                              ;   in Loop: Header=BB90_12 Depth=1
	s_or_b32 exec_lo, exec_lo, s7
	s_mov_b32 s33, -1
	s_mov_b32 s7, 0
	s_cmp_lt_i32 s5, 1
	s_mov_b32 s17, 0
                                        ; implicit-def: $vgpr11
	s_cbranch_scc0 .LBB90_23
; %bb.17:                               ;   in Loop: Header=BB90_12 Depth=1
	s_and_b32 vcc_lo, exec_lo, s33
	s_mov_b32 s33, 4
	s_cbranch_vccnz .LBB90_28
.LBB90_18:                              ;   in Loop: Header=BB90_12 Depth=1
	v_mov_b32_e32 v15, v12
	s_and_b32 vcc_lo, exec_lo, s17
	s_cbranch_vccnz .LBB90_33
.LBB90_19:                              ;   in Loop: Header=BB90_12 Depth=1
	s_and_b32 vcc_lo, exec_lo, s7
	s_cbranch_vccnz .LBB90_38
.LBB90_20:                              ;   in Loop: Header=BB90_12 Depth=1
	s_mov_b32 s7, -1
	s_cmp_gt_i32 s33, 3
	s_mov_b32 s17, -1
	s_cbranch_scc0 .LBB90_39
.LBB90_21:                              ;   in Loop: Header=BB90_12 Depth=1
	s_and_not1_b32 vcc_lo, exec_lo, s17
	s_cbranch_vccz .LBB90_40
.LBB90_22:                              ;   in Loop: Header=BB90_12 Depth=1
	s_and_not1_b32 vcc_lo, exec_lo, s7
	s_cbranch_vccnz .LBB90_41
	s_branch .LBB90_47
.LBB90_23:                              ;   in Loop: Header=BB90_12 Depth=1
	s_cmp_eq_u32 s5, 1
	s_mov_b32 s17, -1
                                        ; implicit-def: $vgpr11
	s_cbranch_scc0 .LBB90_27
; %bb.24:                               ;   in Loop: Header=BB90_12 Depth=1
	v_cmp_ge_i64_e64 s17, s[34:35], s[20:21]
	v_mov_b32_e32 v11, v14
	s_and_b32 vcc_lo, exec_lo, s17
	s_mov_b32 s17, 0
	s_cbranch_vccz .LBB90_27
; %bb.25:                               ;   in Loop: Header=BB90_12 Depth=1
	s_cmp_eq_u64 s[34:35], s[20:21]
	s_mov_b32 s17, -1
                                        ; implicit-def: $vgpr11
	s_cbranch_scc0 .LBB90_27
; %bb.26:                               ;   in Loop: Header=BB90_12 Depth=1
	v_div_scale_f32 v11, null, v10, v10, 1.0
	s_mov_b32 s17, 0
	v_rcp_f32_e32 v15, v11
	v_nop
	s_delay_alu instid0(TRANS32_DEP_1) | instskip(NEXT) | instid1(VALU_DEP_1)
	v_fma_f32 v16, -v11, v15, 1.0
	v_fmac_f32_e32 v15, v16, v15
	v_div_scale_f32 v16, vcc_lo, 1.0, v10, 1.0
	s_delay_alu instid0(VALU_DEP_1) | instskip(NEXT) | instid1(VALU_DEP_1)
	v_mul_f32_e32 v17, v16, v15
	v_fma_f32 v18, -v11, v17, v16
	s_delay_alu instid0(VALU_DEP_1) | instskip(NEXT) | instid1(VALU_DEP_1)
	v_fmac_f32_e32 v17, v18, v15
	v_fma_f32 v11, -v11, v17, v16
	s_delay_alu instid0(VALU_DEP_1) | instskip(NEXT) | instid1(VALU_DEP_1)
	v_div_fmas_f32 v11, v11, v15, v17
	v_div_fixup_f32 v11, v11, v10, 1.0
	s_delay_alu instid0(VALU_DEP_1)
	v_cndmask_b32_e64 v11, v14, v11, s1
.LBB90_27:                              ;   in Loop: Header=BB90_12 Depth=1
	s_mov_b32 s33, 4
	s_branch .LBB90_18
.LBB90_28:                              ;   in Loop: Header=BB90_12 Depth=1
	s_cmp_eq_u32 s5, 0
	s_cbranch_scc1 .LBB90_30
; %bb.29:                               ;   in Loop: Header=BB90_12 Depth=1
	s_mov_b32 s17, -1
	s_branch .LBB90_32
.LBB90_30:                              ;   in Loop: Header=BB90_12 Depth=1
	v_cmp_le_i64_e64 s17, s[34:35], s[20:21]
	s_and_b32 vcc_lo, exec_lo, s17
	s_mov_b32 s17, 0
	s_cbranch_vccz .LBB90_32
; %bb.31:                               ;   in Loop: Header=BB90_12 Depth=1
	s_cmp_lg_u64 s[34:35], s[20:21]
	s_mov_b32 s7, -1
	s_cselect_b32 s17, -1, 0
.LBB90_32:                              ;   in Loop: Header=BB90_12 Depth=1
	v_mov_b32_e32 v11, v14
	s_mov_b32 s33, 2
	v_mov_b32_e32 v15, v12
	s_and_b32 vcc_lo, exec_lo, s17
	s_cbranch_vccz .LBB90_19
.LBB90_33:                              ;   in Loop: Header=BB90_12 Depth=1
	s_and_saveexec_b32 s7, s3
	s_cbranch_execz .LBB90_35
; %bb.34:                               ;   in Loop: Header=BB90_12 Depth=1
	s_lshl_b64 s[36:37], s[34:35], 2
	s_delay_alu instid0(SALU_CYCLE_1)
	s_add_nc_u64 s[36:37], s[26:27], s[36:37]
	global_load_b32 v11, v5, s[36:37] scope:SCOPE_DEV
	s_wait_loadcnt 0x0
	v_cmp_ne_u32_e32 vcc_lo, 0, v11
	s_cbranch_vccz .LBB90_42
.LBB90_35:                              ;   in Loop: Header=BB90_12 Depth=1
	s_wait_xcnt 0x0
	s_or_b32 exec_lo, exec_lo, s7
	v_mov_b32_e32 v15, 0
	s_wait_storecnt 0x0
	s_barrier_signal -1
	s_barrier_wait -1
	global_inv scope:SCOPE_DEV
	s_and_saveexec_b32 s7, s2
	s_cbranch_execz .LBB90_37
; %bb.36:                               ;   in Loop: Header=BB90_12 Depth=1
	s_mul_u64 s[34:35], s[34:35], s[10:11]
	s_delay_alu instid0(SALU_CYCLE_1)
	v_lshl_add_u64 v[16:17], s[34:35], 2, v[2:3]
	global_load_b32 v11, v[16:17], off
	s_wait_loadcnt 0x0
	v_fma_f32 v15, -v10, v11, v12
.LBB90_37:                              ;   in Loop: Header=BB90_12 Depth=1
	s_or_b32 exec_lo, exec_lo, s7
	v_mov_b32_e32 v11, v14
	s_mov_b32 s33, 0
	s_branch .LBB90_20
.LBB90_38:                              ;   in Loop: Header=BB90_12 Depth=1
	v_div_scale_f32 v11, null, v10, v10, 1.0
	v_div_scale_f32 v17, vcc_lo, 1.0, v10, 1.0
	s_mov_b32 s33, 2
	v_rcp_f32_e32 v15, v11
	v_nop
	s_delay_alu instid0(TRANS32_DEP_1) | instskip(NEXT) | instid1(VALU_DEP_1)
	v_fma_f32 v16, -v11, v15, 1.0
	v_fmac_f32_e32 v15, v16, v15
	s_delay_alu instid0(VALU_DEP_1) | instskip(NEXT) | instid1(VALU_DEP_1)
	v_mul_f32_e32 v16, v17, v15
	v_fma_f32 v18, -v11, v16, v17
	s_delay_alu instid0(VALU_DEP_1) | instskip(NEXT) | instid1(VALU_DEP_1)
	v_fmac_f32_e32 v16, v18, v15
	v_fma_f32 v11, -v11, v16, v17
	s_delay_alu instid0(VALU_DEP_1) | instskip(SKIP_1) | instid1(VALU_DEP_2)
	v_div_fmas_f32 v11, v11, v15, v16
	v_mov_b32_e32 v15, v12
	v_div_fixup_f32 v10, v11, v10, 1.0
	s_delay_alu instid0(VALU_DEP_1)
	v_cndmask_b32_e64 v11, v14, v10, s1
	s_mov_b32 s7, -1
	s_cmp_gt_i32 s33, 3
	s_mov_b32 s17, -1
	s_cbranch_scc1 .LBB90_21
.LBB90_39:                              ;   in Loop: Header=BB90_12 Depth=1
	s_cmp_eq_u32 s33, 0
	s_cselect_b32 s17, -1, 0
	s_delay_alu instid0(SALU_CYCLE_1)
	s_and_not1_b32 vcc_lo, exec_lo, s17
	s_cbranch_vccnz .LBB90_22
.LBB90_40:                              ;   in Loop: Header=BB90_12 Depth=1
	s_add_nc_u64 s[30:31], s[30:31], 1
	s_delay_alu instid0(SALU_CYCLE_1)
	v_cmp_ge_i64_e64 s7, s[30:31], s[18:19]
	s_and_not1_b32 vcc_lo, exec_lo, s7
	s_cbranch_vccz .LBB90_47
.LBB90_41:                              ;   in Loop: Header=BB90_12 Depth=1
	v_dual_mov_b32 v12, v15 :: v_dual_mov_b32 v14, v11
	s_sub_co_i32 s7, s30, s16
	s_delay_alu instid0(SALU_CYCLE_1) | instskip(NEXT) | instid1(SALU_CYCLE_1)
	s_and_b32 s7, s7, 0x1ff
	s_cmp_lg_u32 s7, 0
	s_cbranch_scc1 .LBB90_12
	s_branch .LBB90_9
.LBB90_42:                              ;   in Loop: Header=BB90_12 Depth=1
	s_mov_b32 s17, 0
	s_branch .LBB90_44
.LBB90_43:                              ;   in Loop: Header=BB90_44 Depth=2
	global_load_b32 v11, v5, s[36:37] scope:SCOPE_DEV
	s_cmp_lt_u32 s17, 0xf43
	s_cselect_b32 s33, -1, 0
	s_delay_alu instid0(SALU_CYCLE_1)
	s_cmp_lg_u32 s33, 0
	s_add_co_ci_u32 s17, s17, 0
	s_wait_loadcnt 0x0
	v_cmp_ne_u32_e32 vcc_lo, 0, v11
	s_cbranch_vccnz .LBB90_35
.LBB90_44:                              ;   Parent Loop BB90_12 Depth=1
                                        ; =>  This Loop Header: Depth=2
                                        ;       Child Loop BB90_45 Depth 3
	s_cmp_eq_u32 s17, 0
	s_mov_b32 s33, s17
	s_cbranch_scc1 .LBB90_43
.LBB90_45:                              ;   Parent Loop BB90_12 Depth=1
                                        ;     Parent Loop BB90_44 Depth=2
                                        ; =>    This Inner Loop Header: Depth=3
	s_add_co_i32 s33, s33, -1
	s_sleep 1
	s_cmp_eq_u32 s33, 0
	s_cbranch_scc0 .LBB90_45
	s_branch .LBB90_43
.LBB90_46:
	v_mov_b32_e32 v15, v12
.LBB90_47:
	s_and_saveexec_b32 s0, s2
	s_cbranch_execz .LBB90_49
; %bb.48:
	s_delay_alu instid0(VALU_DEP_1) | instskip(SKIP_3) | instid1(VALU_DEP_2)
	v_mul_f32_e32 v1, v11, v15
	s_cmp_eq_u32 s6, 0
	v_lshl_add_u64 v[2:3], s[22:23], 2, v[2:3]
	s_cselect_b32 vcc_lo, -1, 0
	v_cndmask_b32_e32 v1, v15, v1, vcc_lo
	global_store_b32 v[2:3], v1, off
.LBB90_49:
	s_wait_xcnt 0x0
	s_or_b32 exec_lo, exec_lo, s0
	global_wb scope:SCOPE_DEV
	s_wait_loadcnt 0x0
	s_wait_storecnt 0x0
	global_inv scope:SCOPE_DEV
	s_wait_loadcnt 0x0
	s_barrier_signal -1
	s_barrier_wait -1
	s_mov_b32 s0, exec_lo
	v_cmpx_eq_u32_e32 0, v0
	s_cbranch_execz .LBB90_51
; %bb.50:
	s_lshl_b64 s[0:1], s[20:21], 2
	v_dual_mov_b32 v0, 0 :: v_dual_mov_b32 v1, 1
	s_add_nc_u64 s[0:1], s[14:15], s[0:1]
	s_lshl_b64 s[2:3], s[12:13], 2
	s_delay_alu instid0(SALU_CYCLE_1)
	s_add_nc_u64 s[0:1], s[0:1], s[2:3]
	global_store_b32 v0, v1, s[0:1] scope:SCOPE_DEV
.LBB90_51:
	s_endpgm
.LBB90_52:
                                        ; implicit-def: $sgpr22_sgpr23
	s_clause 0x1
	s_load_b64 s[8:9], s[0:1], 0x50
	s_load_b64 s[16:17], s[0:1], 0x20
	s_branch .LBB90_4
	.section	.rodata,"a",@progbits
	.p2align	6, 0x0
	.amdhsa_kernel _ZN9rocsparseL5csrsmILj512ELj64ELb1EllfEEv20rocsparse_operation_T3_S2_NS_24const_host_device_scalarIT4_EEPKT2_PKS2_PKS4_PS4_lPiSA_PS2_21rocsparse_index_base_20rocsparse_fill_mode_20rocsparse_diag_type_b
		.amdhsa_group_segment_fixed_size 6144
		.amdhsa_private_segment_fixed_size 0
		.amdhsa_kernarg_size 112
		.amdhsa_user_sgpr_count 2
		.amdhsa_user_sgpr_dispatch_ptr 0
		.amdhsa_user_sgpr_queue_ptr 0
		.amdhsa_user_sgpr_kernarg_segment_ptr 1
		.amdhsa_user_sgpr_dispatch_id 0
		.amdhsa_user_sgpr_kernarg_preload_length 0
		.amdhsa_user_sgpr_kernarg_preload_offset 0
		.amdhsa_user_sgpr_private_segment_size 0
		.amdhsa_wavefront_size32 1
		.amdhsa_uses_dynamic_stack 0
		.amdhsa_enable_private_segment 0
		.amdhsa_system_sgpr_workgroup_id_x 1
		.amdhsa_system_sgpr_workgroup_id_y 0
		.amdhsa_system_sgpr_workgroup_id_z 0
		.amdhsa_system_sgpr_workgroup_info 0
		.amdhsa_system_vgpr_workitem_id 0
		.amdhsa_next_free_vgpr 19
		.amdhsa_next_free_sgpr 38
		.amdhsa_named_barrier_count 0
		.amdhsa_reserve_vcc 1
		.amdhsa_float_round_mode_32 0
		.amdhsa_float_round_mode_16_64 0
		.amdhsa_float_denorm_mode_32 3
		.amdhsa_float_denorm_mode_16_64 3
		.amdhsa_fp16_overflow 0
		.amdhsa_memory_ordered 1
		.amdhsa_forward_progress 1
		.amdhsa_inst_pref_size 19
		.amdhsa_round_robin_scheduling 0
		.amdhsa_exception_fp_ieee_invalid_op 0
		.amdhsa_exception_fp_denorm_src 0
		.amdhsa_exception_fp_ieee_div_zero 0
		.amdhsa_exception_fp_ieee_overflow 0
		.amdhsa_exception_fp_ieee_underflow 0
		.amdhsa_exception_fp_ieee_inexact 0
		.amdhsa_exception_int_div_zero 0
	.end_amdhsa_kernel
	.section	.text._ZN9rocsparseL5csrsmILj512ELj64ELb1EllfEEv20rocsparse_operation_T3_S2_NS_24const_host_device_scalarIT4_EEPKT2_PKS2_PKS4_PS4_lPiSA_PS2_21rocsparse_index_base_20rocsparse_fill_mode_20rocsparse_diag_type_b,"axG",@progbits,_ZN9rocsparseL5csrsmILj512ELj64ELb1EllfEEv20rocsparse_operation_T3_S2_NS_24const_host_device_scalarIT4_EEPKT2_PKS2_PKS4_PS4_lPiSA_PS2_21rocsparse_index_base_20rocsparse_fill_mode_20rocsparse_diag_type_b,comdat
.Lfunc_end90:
	.size	_ZN9rocsparseL5csrsmILj512ELj64ELb1EllfEEv20rocsparse_operation_T3_S2_NS_24const_host_device_scalarIT4_EEPKT2_PKS2_PKS4_PS4_lPiSA_PS2_21rocsparse_index_base_20rocsparse_fill_mode_20rocsparse_diag_type_b, .Lfunc_end90-_ZN9rocsparseL5csrsmILj512ELj64ELb1EllfEEv20rocsparse_operation_T3_S2_NS_24const_host_device_scalarIT4_EEPKT2_PKS2_PKS4_PS4_lPiSA_PS2_21rocsparse_index_base_20rocsparse_fill_mode_20rocsparse_diag_type_b
                                        ; -- End function
	.set _ZN9rocsparseL5csrsmILj512ELj64ELb1EllfEEv20rocsparse_operation_T3_S2_NS_24const_host_device_scalarIT4_EEPKT2_PKS2_PKS4_PS4_lPiSA_PS2_21rocsparse_index_base_20rocsparse_fill_mode_20rocsparse_diag_type_b.num_vgpr, 19
	.set _ZN9rocsparseL5csrsmILj512ELj64ELb1EllfEEv20rocsparse_operation_T3_S2_NS_24const_host_device_scalarIT4_EEPKT2_PKS2_PKS4_PS4_lPiSA_PS2_21rocsparse_index_base_20rocsparse_fill_mode_20rocsparse_diag_type_b.num_agpr, 0
	.set _ZN9rocsparseL5csrsmILj512ELj64ELb1EllfEEv20rocsparse_operation_T3_S2_NS_24const_host_device_scalarIT4_EEPKT2_PKS2_PKS4_PS4_lPiSA_PS2_21rocsparse_index_base_20rocsparse_fill_mode_20rocsparse_diag_type_b.numbered_sgpr, 38
	.set _ZN9rocsparseL5csrsmILj512ELj64ELb1EllfEEv20rocsparse_operation_T3_S2_NS_24const_host_device_scalarIT4_EEPKT2_PKS2_PKS4_PS4_lPiSA_PS2_21rocsparse_index_base_20rocsparse_fill_mode_20rocsparse_diag_type_b.num_named_barrier, 0
	.set _ZN9rocsparseL5csrsmILj512ELj64ELb1EllfEEv20rocsparse_operation_T3_S2_NS_24const_host_device_scalarIT4_EEPKT2_PKS2_PKS4_PS4_lPiSA_PS2_21rocsparse_index_base_20rocsparse_fill_mode_20rocsparse_diag_type_b.private_seg_size, 0
	.set _ZN9rocsparseL5csrsmILj512ELj64ELb1EllfEEv20rocsparse_operation_T3_S2_NS_24const_host_device_scalarIT4_EEPKT2_PKS2_PKS4_PS4_lPiSA_PS2_21rocsparse_index_base_20rocsparse_fill_mode_20rocsparse_diag_type_b.uses_vcc, 1
	.set _ZN9rocsparseL5csrsmILj512ELj64ELb1EllfEEv20rocsparse_operation_T3_S2_NS_24const_host_device_scalarIT4_EEPKT2_PKS2_PKS4_PS4_lPiSA_PS2_21rocsparse_index_base_20rocsparse_fill_mode_20rocsparse_diag_type_b.uses_flat_scratch, 0
	.set _ZN9rocsparseL5csrsmILj512ELj64ELb1EllfEEv20rocsparse_operation_T3_S2_NS_24const_host_device_scalarIT4_EEPKT2_PKS2_PKS4_PS4_lPiSA_PS2_21rocsparse_index_base_20rocsparse_fill_mode_20rocsparse_diag_type_b.has_dyn_sized_stack, 0
	.set _ZN9rocsparseL5csrsmILj512ELj64ELb1EllfEEv20rocsparse_operation_T3_S2_NS_24const_host_device_scalarIT4_EEPKT2_PKS2_PKS4_PS4_lPiSA_PS2_21rocsparse_index_base_20rocsparse_fill_mode_20rocsparse_diag_type_b.has_recursion, 0
	.set _ZN9rocsparseL5csrsmILj512ELj64ELb1EllfEEv20rocsparse_operation_T3_S2_NS_24const_host_device_scalarIT4_EEPKT2_PKS2_PKS4_PS4_lPiSA_PS2_21rocsparse_index_base_20rocsparse_fill_mode_20rocsparse_diag_type_b.has_indirect_call, 0
	.section	.AMDGPU.csdata,"",@progbits
; Kernel info:
; codeLenInByte = 2364
; TotalNumSgprs: 40
; NumVgprs: 19
; ScratchSize: 0
; MemoryBound: 0
; FloatMode: 240
; IeeeMode: 1
; LDSByteSize: 6144 bytes/workgroup (compile time only)
; SGPRBlocks: 0
; VGPRBlocks: 1
; NumSGPRsForWavesPerEU: 40
; NumVGPRsForWavesPerEU: 19
; NamedBarCnt: 0
; Occupancy: 16
; WaveLimiterHint : 1
; COMPUTE_PGM_RSRC2:SCRATCH_EN: 0
; COMPUTE_PGM_RSRC2:USER_SGPR: 2
; COMPUTE_PGM_RSRC2:TRAP_HANDLER: 0
; COMPUTE_PGM_RSRC2:TGID_X_EN: 1
; COMPUTE_PGM_RSRC2:TGID_Y_EN: 0
; COMPUTE_PGM_RSRC2:TGID_Z_EN: 0
; COMPUTE_PGM_RSRC2:TIDIG_COMP_CNT: 0
	.section	.text._ZN9rocsparseL5csrsmILj512ELj64ELb0EllfEEv20rocsparse_operation_T3_S2_NS_24const_host_device_scalarIT4_EEPKT2_PKS2_PKS4_PS4_lPiSA_PS2_21rocsparse_index_base_20rocsparse_fill_mode_20rocsparse_diag_type_b,"axG",@progbits,_ZN9rocsparseL5csrsmILj512ELj64ELb0EllfEEv20rocsparse_operation_T3_S2_NS_24const_host_device_scalarIT4_EEPKT2_PKS2_PKS4_PS4_lPiSA_PS2_21rocsparse_index_base_20rocsparse_fill_mode_20rocsparse_diag_type_b,comdat
	.globl	_ZN9rocsparseL5csrsmILj512ELj64ELb0EllfEEv20rocsparse_operation_T3_S2_NS_24const_host_device_scalarIT4_EEPKT2_PKS2_PKS4_PS4_lPiSA_PS2_21rocsparse_index_base_20rocsparse_fill_mode_20rocsparse_diag_type_b ; -- Begin function _ZN9rocsparseL5csrsmILj512ELj64ELb0EllfEEv20rocsparse_operation_T3_S2_NS_24const_host_device_scalarIT4_EEPKT2_PKS2_PKS4_PS4_lPiSA_PS2_21rocsparse_index_base_20rocsparse_fill_mode_20rocsparse_diag_type_b
	.p2align	8
	.type	_ZN9rocsparseL5csrsmILj512ELj64ELb0EllfEEv20rocsparse_operation_T3_S2_NS_24const_host_device_scalarIT4_EEPKT2_PKS2_PKS4_PS4_lPiSA_PS2_21rocsparse_index_base_20rocsparse_fill_mode_20rocsparse_diag_type_b,@function
_ZN9rocsparseL5csrsmILj512ELj64ELb0EllfEEv20rocsparse_operation_T3_S2_NS_24const_host_device_scalarIT4_EEPKT2_PKS2_PKS4_PS4_lPiSA_PS2_21rocsparse_index_base_20rocsparse_fill_mode_20rocsparse_diag_type_b: ; @_ZN9rocsparseL5csrsmILj512ELj64ELb0EllfEEv20rocsparse_operation_T3_S2_NS_24const_host_device_scalarIT4_EEPKT2_PKS2_PKS4_PS4_lPiSA_PS2_21rocsparse_index_base_20rocsparse_fill_mode_20rocsparse_diag_type_b
; %bb.0:
	s_clause 0x2
	s_load_b128 s[4:7], s[0:1], 0x60
	s_load_b128 s[12:15], s[0:1], 0x8
	s_load_b64 s[24:25], s[0:1], 0x18
	s_wait_kmcnt 0x0
	s_bitcmp1_b32 s7, 0
	s_cselect_b32 s2, -1, 0
	s_delay_alu instid0(SALU_CYCLE_1)
	s_and_b32 vcc_lo, exec_lo, s2
	s_cbranch_vccnz .LBB91_2
; %bb.1:
	s_load_b32 s24, s[24:25], 0x0
.LBB91_2:
	s_bfe_u32 s2, ttmp6, 0x4000c
	s_and_b32 s3, ttmp6, 15
	s_add_co_i32 s2, s2, 1
	s_getreg_b32 s7, hwreg(HW_REG_IB_STS2, 6, 4)
	s_mul_i32 s2, ttmp9, s2
	s_delay_alu instid0(SALU_CYCLE_1)
	s_add_co_i32 s3, s3, s2
	s_cmp_eq_u32 s7, 0
	s_cselect_b32 s2, ttmp9, s3
	s_and_b64 s[8:9], s[12:13], 0xffffffff00000000
	s_mov_b32 s3, 0
	s_cmp_lg_u64 s[8:9], 0
	s_cbranch_scc0 .LBB91_49
; %bb.3:
	s_ashr_i32 s8, s13, 31
	s_mov_b32 s21, s3
	s_mov_b32 s9, s8
	;; [unrolled: 1-line block ×3, first 2 shown]
	s_add_nc_u64 s[10:11], s[12:13], s[8:9]
	s_delay_alu instid0(SALU_CYCLE_1) | instskip(NEXT) | instid1(SALU_CYCLE_1)
	s_xor_b64 s[10:11], s[10:11], s[8:9]
	s_cvt_f32_u32 s7, s10
	s_cvt_f32_u32 s16, s11
	s_sub_nc_u64 s[18:19], 0, s[10:11]
	s_delay_alu instid0(SALU_CYCLE_2) | instskip(NEXT) | instid1(SALU_CYCLE_3)
	s_fmamk_f32 s7, s16, 0x4f800000, s7
	v_s_rcp_f32 s7, s7
	s_delay_alu instid0(TRANS32_DEP_1) | instskip(NEXT) | instid1(SALU_CYCLE_3)
	s_mul_f32 s7, s7, 0x5f7ffffc
	s_mul_f32 s16, s7, 0x2f800000
	s_delay_alu instid0(SALU_CYCLE_3) | instskip(NEXT) | instid1(SALU_CYCLE_3)
	s_trunc_f32 s16, s16
	s_fmamk_f32 s7, s16, 0xcf800000, s7
	s_cvt_u32_f32 s17, s16
	s_delay_alu instid0(SALU_CYCLE_2) | instskip(NEXT) | instid1(SALU_CYCLE_3)
	s_cvt_u32_f32 s16, s7
	s_mul_u64 s[22:23], s[18:19], s[16:17]
	s_delay_alu instid0(SALU_CYCLE_1)
	s_mul_hi_u32 s29, s16, s23
	s_mul_i32 s28, s16, s23
	s_mul_hi_u32 s20, s16, s22
	s_wait_xcnt 0x0
	s_mul_i32 s25, s17, s22
	s_add_nc_u64 s[20:21], s[20:21], s[28:29]
	s_mul_hi_u32 s7, s17, s22
	s_mul_hi_u32 s30, s17, s23
	s_add_co_u32 s20, s20, s25
	s_add_co_ci_u32 s26, s21, s7
	s_mul_i32 s22, s17, s23
	s_add_co_ci_u32 s23, s30, 0
	s_delay_alu instid0(SALU_CYCLE_1) | instskip(SKIP_3) | instid1(SALU_CYCLE_1)
	s_add_nc_u64 s[20:21], s[26:27], s[22:23]
	s_mov_b32 s23, s3
	s_add_co_u32 s16, s16, s20
	s_cselect_b32 s7, -1, 0
	s_cmp_lg_u32 s7, 0
	s_add_co_ci_u32 s17, s17, s21
	s_mov_b32 s21, s3
	s_mul_u64 s[18:19], s[18:19], s[16:17]
	s_delay_alu instid0(SALU_CYCLE_1)
	s_mul_hi_u32 s27, s16, s19
	s_mul_i32 s26, s16, s19
	s_mul_hi_u32 s20, s16, s18
	s_mul_i32 s22, s17, s18
	s_add_nc_u64 s[20:21], s[20:21], s[26:27]
	s_mul_hi_u32 s7, s17, s18
	s_mul_hi_u32 s25, s17, s19
	s_mul_i32 s18, s17, s19
	s_add_co_u32 s19, s20, s22
	s_add_co_ci_u32 s22, s21, s7
	s_add_co_ci_u32 s19, s25, 0
	s_add_nc_u64 s[20:21], s[2:3], 0
	s_add_nc_u64 s[18:19], s[22:23], s[18:19]
	s_delay_alu instid0(SALU_CYCLE_1) | instskip(SKIP_1) | instid1(SALU_CYCLE_1)
	s_add_co_u32 s7, s16, s18
	s_cselect_b32 s16, -1, 0
	s_cmp_lg_u32 s16, 0
	s_add_co_ci_u32 s18, s17, s19
	s_xor_b64 s[16:17], s[20:21], 0
	s_mov_b32 s19, s3
	s_mul_hi_u32 s21, s16, s18
	s_mul_i32 s20, s16, s18
	s_mul_hi_u32 s22, s16, s7
	s_mul_hi_u32 s26, s17, s7
	s_mul_i32 s7, s17, s7
	s_add_nc_u64 s[20:21], s[22:23], s[20:21]
	s_mul_hi_u32 s25, s17, s18
	s_add_co_u32 s7, s20, s7
	s_mul_i32 s22, s17, s18
	s_add_co_ci_u32 s18, s21, s26
	s_add_co_ci_u32 s23, s25, 0
	s_delay_alu instid0(SALU_CYCLE_1) | instskip(NEXT) | instid1(SALU_CYCLE_1)
	s_add_nc_u64 s[18:19], s[18:19], s[22:23]
	s_and_b64 s[20:21], s[18:19], 0xffffffff00000000
	s_delay_alu instid0(SALU_CYCLE_1) | instskip(NEXT) | instid1(SALU_CYCLE_1)
	s_or_b32 s20, s20, s18
	s_mul_u64 s[18:19], s[10:11], s[20:21]
	s_delay_alu instid0(SALU_CYCLE_1)
	s_sub_co_u32 s7, s16, s18
	s_cselect_b32 s16, -1, 0
	s_sub_co_i32 s18, s17, s19
	s_cmp_lg_u32 s16, 0
	s_sub_co_ci_u32 s18, s18, s11
	s_sub_co_u32 s22, s7, s10
	s_cselect_b32 s23, -1, 0
	s_delay_alu instid0(SALU_CYCLE_1) | instskip(SKIP_1) | instid1(SALU_CYCLE_1)
	s_cmp_lg_u32 s23, 0
	s_sub_co_ci_u32 s18, s18, 0
	s_cmp_ge_u32 s18, s11
	s_cselect_b32 s25, -1, 0
	s_cmp_ge_u32 s22, s10
	s_add_nc_u64 s[22:23], s[20:21], 1
	s_cselect_b32 s26, -1, 0
	s_cmp_eq_u32 s18, s11
	s_cselect_b32 s18, s26, s25
	s_add_nc_u64 s[26:27], s[20:21], 2
	s_cmp_lg_u32 s18, 0
	s_cselect_b32 s18, s26, s22
	s_cselect_b32 s22, s27, s23
	s_cmp_lg_u32 s16, 0
	s_sub_co_ci_u32 s16, s17, s19
	s_delay_alu instid0(SALU_CYCLE_1)
	s_cmp_ge_u32 s16, s11
	s_cselect_b32 s17, -1, 0
	s_cmp_ge_u32 s7, s10
	s_cselect_b32 s7, -1, 0
	s_cmp_eq_u32 s16, s11
	s_cselect_b32 s7, s7, s17
	s_delay_alu instid0(SALU_CYCLE_1) | instskip(SKIP_4) | instid1(SALU_CYCLE_1)
	s_cmp_lg_u32 s7, 0
	s_mov_b32 s7, s3
	s_cselect_b32 s11, s22, s21
	s_cselect_b32 s10, s18, s20
	s_xor_b64 s[8:9], 0, s[8:9]
	s_xor_b64 s[10:11], s[10:11], s[8:9]
	s_delay_alu instid0(SALU_CYCLE_1)
	s_sub_nc_u64 s[22:23], s[10:11], s[8:9]
	s_clause 0x1
	s_load_b64 s[8:9], s[0:1], 0x50
	s_load_b64 s[16:17], s[0:1], 0x20
	s_and_not1_b32 vcc_lo, exec_lo, s7
	s_cbranch_vccnz .LBB91_5
.LBB91_4:
	v_cvt_f32_u32_e32 v1, s12
	s_sub_co_i32 s10, 0, s12
	s_mov_b32 s23, 0
	s_delay_alu instid0(VALU_DEP_1) | instskip(SKIP_1) | instid1(TRANS32_DEP_1)
	v_rcp_iflag_f32_e32 v1, v1
	v_nop
	v_mul_f32_e32 v1, 0x4f7ffffe, v1
	s_delay_alu instid0(VALU_DEP_1) | instskip(NEXT) | instid1(VALU_DEP_1)
	v_cvt_u32_f32_e32 v1, v1
	v_readfirstlane_b32 s7, v1
	s_mul_i32 s10, s10, s7
	s_delay_alu instid0(SALU_CYCLE_1) | instskip(NEXT) | instid1(SALU_CYCLE_1)
	s_mul_hi_u32 s10, s7, s10
	s_add_co_i32 s7, s7, s10
	s_delay_alu instid0(SALU_CYCLE_1) | instskip(NEXT) | instid1(SALU_CYCLE_1)
	s_mul_hi_u32 s7, s2, s7
	s_mul_i32 s10, s7, s12
	s_add_co_i32 s11, s7, 1
	s_sub_co_i32 s10, s2, s10
	s_delay_alu instid0(SALU_CYCLE_1)
	s_sub_co_i32 s18, s10, s12
	s_cmp_ge_u32 s10, s12
	s_cselect_b32 s7, s11, s7
	s_cselect_b32 s10, s18, s10
	s_add_co_i32 s11, s7, 1
	s_cmp_ge_u32 s10, s12
	s_cselect_b32 s22, s11, s7
.LBB91_5:
	s_delay_alu instid0(SALU_CYCLE_1) | instskip(SKIP_2) | instid1(SALU_CYCLE_1)
	s_mul_u64 s[12:13], s[22:23], s[12:13]
	v_mov_b32_e32 v1, 0
	s_sub_nc_u64 s[2:3], s[2:3], s[12:13]
	s_lshl_b64 s[2:3], s[2:3], 3
	s_delay_alu instid0(VALU_DEP_1)
	v_mov_b32_e32 v12, v1
	s_wait_kmcnt 0x0
	s_add_nc_u64 s[2:3], s[8:9], s[2:3]
	s_load_b128 s[8:11], s[0:1], 0x38
	s_load_b64 s[20:21], s[2:3], 0x0
	s_wait_kmcnt 0x0
	s_lshl_b64 s[2:3], s[20:21], 3
	s_delay_alu instid0(SALU_CYCLE_1)
	s_add_nc_u64 s[2:3], s[16:17], s[2:3]
	s_load_b128 s[16:19], s[2:3], 0x0
	s_wait_xcnt 0x0
	s_lshl_b64 s[2:3], s[22:23], 9
	s_mul_u64 s[22:23], s[20:21], s[10:11]
	v_dual_mov_b32 v3, s3 :: v_dual_bitop2_b32 v2, s2, v0 bitop3:0x54
	s_delay_alu instid0(VALU_DEP_1)
	v_cmp_gt_i64_e64 s2, s[14:15], v[2:3]
	s_and_saveexec_b32 s3, s2
	s_cbranch_execz .LBB91_7
; %bb.6:
	v_add_nc_u64_e32 v[4:5], s[22:23], v[2:3]
	s_delay_alu instid0(VALU_DEP_1)
	v_lshl_add_u64 v[4:5], v[4:5], 2, s[8:9]
	global_load_b32 v4, v[4:5], off
	s_wait_loadcnt 0x0
	v_mul_f32_e32 v12, s24, v4
.LBB91_7:
	s_or_b32 exec_lo, exec_lo, s3
	s_load_b64 s[14:15], s[0:1], 0x48
	s_wait_kmcnt 0x0
	v_cmp_ge_i64_e64 s3, s[16:17], s[18:19]
	v_lshl_add_u64 v[2:3], v[2:3], 2, s[8:9]
	v_mov_b32_e32 v11, 1.0
	s_and_b32 vcc_lo, exec_lo, s3
	v_cmp_eq_u32_e64 s3, 0, v0
	s_cbranch_vccnz .LBB91_43
; %bb.8:
	s_clause 0x1
	s_load_b128 s[28:31], s[0:1], 0x28
	s_load_b64 s[8:9], s[0:1], 0x58
	v_dual_mov_b32 v5, 0 :: v_dual_lshlrev_b32 v4, 3, v0
	v_lshlrev_b32_e32 v8, 2, v0
	s_wait_xcnt 0x0
	s_lshl_b64 s[0:1], s[12:13], 2
	s_mov_b32 s25, 0
	s_mov_b32 s24, s4
	v_mov_b32_e32 v9, v5
	v_or_b32_e32 v13, 0x1000, v8
	s_cmp_lg_u32 s6, 0
	s_add_nc_u64 s[26:27], s[14:15], s[0:1]
	v_cmp_ne_u32_e64 s0, 0, v0
	v_mov_b32_e32 v14, 1.0
	s_sub_nc_u64 s[16:17], s[16:17], s[24:25]
	s_cselect_b32 s4, -1, 0
	s_cmp_eq_u32 s6, 0
	s_sub_nc_u64 s[18:19], s[18:19], s[24:25]
	s_cselect_b32 s1, -1, 0
	s_wait_kmcnt 0x0
	v_add_nc_u64_e32 v[6:7], s[28:29], v[4:5]
	v_add_nc_u64_e32 v[8:9], s[30:31], v[8:9]
	s_add_nc_u64 s[28:29], s[20:21], s[24:25]
	s_mov_b64 s[30:31], s[16:17]
	s_delay_alu instid0(SALU_CYCLE_1) | instskip(NEXT) | instid1(SALU_CYCLE_1)
	s_sub_co_i32 s7, s30, s16
	s_and_b32 s7, s7, 0x1ff
	s_delay_alu instid0(SALU_CYCLE_1)
	s_cmp_lg_u32 s7, 0
	s_cbranch_scc1 .LBB91_12
.LBB91_9:
	v_mov_b64_e32 v[10:11], -1
	v_mov_b32_e32 v15, -1.0
	s_sub_nc_u64 s[34:35], s[18:19], s[30:31]
	s_mov_b32 s17, exec_lo
	v_cmpx_gt_i64_e64 s[34:35], v[0:1]
	s_cbranch_execz .LBB91_11
; %bb.10:
	v_lshl_add_u64 v[10:11], s[30:31], 3, v[6:7]
	v_lshl_add_u64 v[16:17], s[30:31], 2, v[8:9]
	global_load_b64 v[10:11], v[10:11], off
	global_load_b32 v15, v[16:17], off
	s_wait_loadcnt 0x1
	s_wait_xcnt 0x1
	v_sub_nc_u64_e64 v[10:11], v[10:11], s[24:25]
.LBB91_11:
	s_wait_xcnt 0x0
	s_or_b32 exec_lo, exec_lo, s17
	ds_store_b64 v4, v[10:11]
	s_wait_loadcnt 0x0
	ds_store_b32 v13, v15
.LBB91_12:                              ; =>This Loop Header: Depth=1
                                        ;     Child Loop BB91_35 Depth 2
	s_lshl_b32 s17, s7, 3
	s_lshl_b32 s7, s7, 2
	s_delay_alu instid0(SALU_CYCLE_1)
	v_dual_mov_b32 v10, s17 :: v_dual_mov_b32 v15, s7
	s_wait_dscnt 0x0
	s_barrier_signal -1
	s_barrier_wait -1
	ds_load_b64 v[10:11], v10
	ds_load_b32 v15, v15 offset:4096
	s_wait_dscnt 0x1
	v_readfirstlane_b32 s34, v10
	v_readfirstlane_b32 s35, v11
	s_wait_dscnt 0x0
	v_cmp_neq_f32_e32 vcc_lo, 0, v15
	s_cmp_lg_u64 s[34:35], s[20:21]
	s_cselect_b32 s7, -1, 0
	s_delay_alu instid0(SALU_CYCLE_1) | instskip(NEXT) | instid1(SALU_CYCLE_1)
	s_or_b32 s7, s4, s7
	s_or_b32 vcc_lo, vcc_lo, s7
	v_cndmask_b32_e32 v10, 1.0, v15, vcc_lo
	s_nor_b32 s17, s0, vcc_lo
	s_delay_alu instid0(SALU_CYCLE_1)
	s_and_saveexec_b32 s7, s17
	s_cbranch_execz .LBB91_16
; %bb.13:                               ;   in Loop: Header=BB91_12 Depth=1
	v_mbcnt_lo_u32_b32 v10, exec_lo, 0
	s_mov_b32 s17, exec_lo
	s_delay_alu instid0(VALU_DEP_1)
	v_cmpx_eq_u32_e32 0, v10
	s_cbranch_execz .LBB91_15
; %bb.14:                               ;   in Loop: Header=BB91_12 Depth=1
	v_mov_b64_e32 v[10:11], s[28:29]
	global_atomic_min_u64 v5, v[10:11], s[8:9] scope:SCOPE_DEV
.LBB91_15:                              ;   in Loop: Header=BB91_12 Depth=1
	s_wait_xcnt 0x0
	s_or_b32 exec_lo, exec_lo, s17
	v_mov_b32_e32 v10, 1.0
.LBB91_16:                              ;   in Loop: Header=BB91_12 Depth=1
	s_or_b32 exec_lo, exec_lo, s7
	s_mov_b32 s33, -1
	s_mov_b32 s7, 0
	s_cmp_lt_i32 s5, 1
	s_mov_b32 s17, 0
                                        ; implicit-def: $vgpr11
	s_cbranch_scc0 .LBB91_23
; %bb.17:                               ;   in Loop: Header=BB91_12 Depth=1
	s_and_b32 vcc_lo, exec_lo, s33
	s_mov_b32 s33, 4
	s_cbranch_vccnz .LBB91_28
.LBB91_18:                              ;   in Loop: Header=BB91_12 Depth=1
	v_mov_b32_e32 v15, v12
	s_and_b32 vcc_lo, exec_lo, s17
	s_cbranch_vccnz .LBB91_33
.LBB91_19:                              ;   in Loop: Header=BB91_12 Depth=1
	s_and_b32 vcc_lo, exec_lo, s7
	s_cbranch_vccnz .LBB91_39
.LBB91_20:                              ;   in Loop: Header=BB91_12 Depth=1
	s_mov_b32 s7, -1
	s_cmp_gt_i32 s33, 3
	s_mov_b32 s17, -1
	s_cbranch_scc0 .LBB91_40
.LBB91_21:                              ;   in Loop: Header=BB91_12 Depth=1
	s_and_not1_b32 vcc_lo, exec_lo, s17
	s_cbranch_vccz .LBB91_41
.LBB91_22:                              ;   in Loop: Header=BB91_12 Depth=1
	s_and_not1_b32 vcc_lo, exec_lo, s7
	s_cbranch_vccnz .LBB91_42
	s_branch .LBB91_44
.LBB91_23:                              ;   in Loop: Header=BB91_12 Depth=1
	s_cmp_eq_u32 s5, 1
	s_mov_b32 s17, -1
                                        ; implicit-def: $vgpr11
	s_cbranch_scc0 .LBB91_27
; %bb.24:                               ;   in Loop: Header=BB91_12 Depth=1
	v_cmp_ge_i64_e64 s17, s[34:35], s[20:21]
	v_mov_b32_e32 v11, v14
	s_and_b32 vcc_lo, exec_lo, s17
	s_mov_b32 s17, 0
	s_cbranch_vccz .LBB91_27
; %bb.25:                               ;   in Loop: Header=BB91_12 Depth=1
	s_cmp_eq_u64 s[34:35], s[20:21]
	s_mov_b32 s17, -1
                                        ; implicit-def: $vgpr11
	s_cbranch_scc0 .LBB91_27
; %bb.26:                               ;   in Loop: Header=BB91_12 Depth=1
	v_div_scale_f32 v11, null, v10, v10, 1.0
	s_mov_b32 s17, 0
	v_rcp_f32_e32 v15, v11
	v_nop
	s_delay_alu instid0(TRANS32_DEP_1) | instskip(NEXT) | instid1(VALU_DEP_1)
	v_fma_f32 v16, -v11, v15, 1.0
	v_fmac_f32_e32 v15, v16, v15
	v_div_scale_f32 v16, vcc_lo, 1.0, v10, 1.0
	s_delay_alu instid0(VALU_DEP_1) | instskip(NEXT) | instid1(VALU_DEP_1)
	v_mul_f32_e32 v17, v16, v15
	v_fma_f32 v18, -v11, v17, v16
	s_delay_alu instid0(VALU_DEP_1) | instskip(NEXT) | instid1(VALU_DEP_1)
	v_fmac_f32_e32 v17, v18, v15
	v_fma_f32 v11, -v11, v17, v16
	s_delay_alu instid0(VALU_DEP_1) | instskip(NEXT) | instid1(VALU_DEP_1)
	v_div_fmas_f32 v11, v11, v15, v17
	v_div_fixup_f32 v11, v11, v10, 1.0
	s_delay_alu instid0(VALU_DEP_1)
	v_cndmask_b32_e64 v11, v14, v11, s1
.LBB91_27:                              ;   in Loop: Header=BB91_12 Depth=1
	s_mov_b32 s33, 4
	s_branch .LBB91_18
.LBB91_28:                              ;   in Loop: Header=BB91_12 Depth=1
	s_cmp_eq_u32 s5, 0
	s_cbranch_scc1 .LBB91_30
; %bb.29:                               ;   in Loop: Header=BB91_12 Depth=1
	s_mov_b32 s17, -1
	s_branch .LBB91_32
.LBB91_30:                              ;   in Loop: Header=BB91_12 Depth=1
	v_cmp_le_i64_e64 s17, s[34:35], s[20:21]
	s_and_b32 vcc_lo, exec_lo, s17
	s_mov_b32 s17, 0
	s_cbranch_vccz .LBB91_32
; %bb.31:                               ;   in Loop: Header=BB91_12 Depth=1
	s_cmp_lg_u64 s[34:35], s[20:21]
	s_mov_b32 s7, -1
	s_cselect_b32 s17, -1, 0
.LBB91_32:                              ;   in Loop: Header=BB91_12 Depth=1
	v_mov_b32_e32 v11, v14
	s_mov_b32 s33, 2
	v_mov_b32_e32 v15, v12
	s_and_b32 vcc_lo, exec_lo, s17
	s_cbranch_vccz .LBB91_19
.LBB91_33:                              ;   in Loop: Header=BB91_12 Depth=1
	s_and_saveexec_b32 s7, s3
	s_cbranch_execz .LBB91_36
; %bb.34:                               ;   in Loop: Header=BB91_12 Depth=1
	s_lshl_b64 s[36:37], s[34:35], 2
	s_delay_alu instid0(SALU_CYCLE_1)
	s_add_nc_u64 s[36:37], s[26:27], s[36:37]
	global_load_b32 v11, v5, s[36:37] scope:SCOPE_DEV
	s_wait_loadcnt 0x0
	v_cmp_ne_u32_e32 vcc_lo, 0, v11
	s_cbranch_vccnz .LBB91_36
.LBB91_35:                              ;   Parent Loop BB91_12 Depth=1
                                        ; =>  This Inner Loop Header: Depth=2
	global_load_b32 v11, v5, s[36:37] scope:SCOPE_DEV
	s_wait_loadcnt 0x0
	v_cmp_eq_u32_e32 vcc_lo, 0, v11
	s_cbranch_vccnz .LBB91_35
.LBB91_36:                              ;   in Loop: Header=BB91_12 Depth=1
	s_wait_xcnt 0x0
	s_or_b32 exec_lo, exec_lo, s7
	v_mov_b32_e32 v15, 0
	s_wait_storecnt 0x0
	s_barrier_signal -1
	s_barrier_wait -1
	global_inv scope:SCOPE_DEV
	s_and_saveexec_b32 s7, s2
	s_cbranch_execz .LBB91_38
; %bb.37:                               ;   in Loop: Header=BB91_12 Depth=1
	s_mul_u64 s[34:35], s[34:35], s[10:11]
	s_delay_alu instid0(SALU_CYCLE_1)
	v_lshl_add_u64 v[16:17], s[34:35], 2, v[2:3]
	global_load_b32 v11, v[16:17], off
	s_wait_loadcnt 0x0
	v_fma_f32 v15, -v10, v11, v12
.LBB91_38:                              ;   in Loop: Header=BB91_12 Depth=1
	s_or_b32 exec_lo, exec_lo, s7
	v_mov_b32_e32 v11, v14
	s_mov_b32 s33, 0
	s_branch .LBB91_20
.LBB91_39:                              ;   in Loop: Header=BB91_12 Depth=1
	v_div_scale_f32 v11, null, v10, v10, 1.0
	v_div_scale_f32 v17, vcc_lo, 1.0, v10, 1.0
	s_mov_b32 s33, 2
	v_rcp_f32_e32 v15, v11
	v_nop
	s_delay_alu instid0(TRANS32_DEP_1) | instskip(NEXT) | instid1(VALU_DEP_1)
	v_fma_f32 v16, -v11, v15, 1.0
	v_fmac_f32_e32 v15, v16, v15
	s_delay_alu instid0(VALU_DEP_1) | instskip(NEXT) | instid1(VALU_DEP_1)
	v_mul_f32_e32 v16, v17, v15
	v_fma_f32 v18, -v11, v16, v17
	s_delay_alu instid0(VALU_DEP_1) | instskip(NEXT) | instid1(VALU_DEP_1)
	v_fmac_f32_e32 v16, v18, v15
	v_fma_f32 v11, -v11, v16, v17
	s_delay_alu instid0(VALU_DEP_1) | instskip(SKIP_1) | instid1(VALU_DEP_2)
	v_div_fmas_f32 v11, v11, v15, v16
	v_mov_b32_e32 v15, v12
	v_div_fixup_f32 v10, v11, v10, 1.0
	s_delay_alu instid0(VALU_DEP_1)
	v_cndmask_b32_e64 v11, v14, v10, s1
	s_mov_b32 s7, -1
	s_cmp_gt_i32 s33, 3
	s_mov_b32 s17, -1
	s_cbranch_scc1 .LBB91_21
.LBB91_40:                              ;   in Loop: Header=BB91_12 Depth=1
	s_cmp_eq_u32 s33, 0
	s_cselect_b32 s17, -1, 0
	s_delay_alu instid0(SALU_CYCLE_1)
	s_and_not1_b32 vcc_lo, exec_lo, s17
	s_cbranch_vccnz .LBB91_22
.LBB91_41:                              ;   in Loop: Header=BB91_12 Depth=1
	s_add_nc_u64 s[30:31], s[30:31], 1
	s_delay_alu instid0(SALU_CYCLE_1)
	v_cmp_ge_i64_e64 s7, s[30:31], s[18:19]
	s_and_not1_b32 vcc_lo, exec_lo, s7
	s_cbranch_vccz .LBB91_44
.LBB91_42:                              ;   in Loop: Header=BB91_12 Depth=1
	v_dual_mov_b32 v12, v15 :: v_dual_mov_b32 v14, v11
	s_sub_co_i32 s7, s30, s16
	s_delay_alu instid0(SALU_CYCLE_1) | instskip(NEXT) | instid1(SALU_CYCLE_1)
	s_and_b32 s7, s7, 0x1ff
	s_cmp_lg_u32 s7, 0
	s_cbranch_scc1 .LBB91_12
	s_branch .LBB91_9
.LBB91_43:
	v_mov_b32_e32 v15, v12
.LBB91_44:
	s_and_saveexec_b32 s0, s2
	s_cbranch_execz .LBB91_46
; %bb.45:
	s_delay_alu instid0(VALU_DEP_1) | instskip(SKIP_3) | instid1(VALU_DEP_2)
	v_mul_f32_e32 v1, v11, v15
	s_cmp_eq_u32 s6, 0
	v_lshl_add_u64 v[2:3], s[22:23], 2, v[2:3]
	s_cselect_b32 vcc_lo, -1, 0
	v_cndmask_b32_e32 v1, v15, v1, vcc_lo
	global_store_b32 v[2:3], v1, off
.LBB91_46:
	s_wait_xcnt 0x0
	s_or_b32 exec_lo, exec_lo, s0
	global_wb scope:SCOPE_DEV
	s_wait_loadcnt 0x0
	s_wait_storecnt 0x0
	global_inv scope:SCOPE_DEV
	s_wait_loadcnt 0x0
	s_barrier_signal -1
	s_barrier_wait -1
	s_mov_b32 s0, exec_lo
	v_cmpx_eq_u32_e32 0, v0
	s_cbranch_execz .LBB91_48
; %bb.47:
	s_lshl_b64 s[0:1], s[20:21], 2
	v_dual_mov_b32 v0, 0 :: v_dual_mov_b32 v1, 1
	s_add_nc_u64 s[0:1], s[14:15], s[0:1]
	s_lshl_b64 s[2:3], s[12:13], 2
	s_delay_alu instid0(SALU_CYCLE_1)
	s_add_nc_u64 s[0:1], s[0:1], s[2:3]
	global_store_b32 v0, v1, s[0:1] scope:SCOPE_DEV
.LBB91_48:
	s_endpgm
.LBB91_49:
                                        ; implicit-def: $sgpr22_sgpr23
	s_clause 0x1
	s_load_b64 s[8:9], s[0:1], 0x50
	s_load_b64 s[16:17], s[0:1], 0x20
	s_branch .LBB91_4
	.section	.rodata,"a",@progbits
	.p2align	6, 0x0
	.amdhsa_kernel _ZN9rocsparseL5csrsmILj512ELj64ELb0EllfEEv20rocsparse_operation_T3_S2_NS_24const_host_device_scalarIT4_EEPKT2_PKS2_PKS4_PS4_lPiSA_PS2_21rocsparse_index_base_20rocsparse_fill_mode_20rocsparse_diag_type_b
		.amdhsa_group_segment_fixed_size 6144
		.amdhsa_private_segment_fixed_size 0
		.amdhsa_kernarg_size 112
		.amdhsa_user_sgpr_count 2
		.amdhsa_user_sgpr_dispatch_ptr 0
		.amdhsa_user_sgpr_queue_ptr 0
		.amdhsa_user_sgpr_kernarg_segment_ptr 1
		.amdhsa_user_sgpr_dispatch_id 0
		.amdhsa_user_sgpr_kernarg_preload_length 0
		.amdhsa_user_sgpr_kernarg_preload_offset 0
		.amdhsa_user_sgpr_private_segment_size 0
		.amdhsa_wavefront_size32 1
		.amdhsa_uses_dynamic_stack 0
		.amdhsa_enable_private_segment 0
		.amdhsa_system_sgpr_workgroup_id_x 1
		.amdhsa_system_sgpr_workgroup_id_y 0
		.amdhsa_system_sgpr_workgroup_id_z 0
		.amdhsa_system_sgpr_workgroup_info 0
		.amdhsa_system_vgpr_workitem_id 0
		.amdhsa_next_free_vgpr 19
		.amdhsa_next_free_sgpr 38
		.amdhsa_named_barrier_count 0
		.amdhsa_reserve_vcc 1
		.amdhsa_float_round_mode_32 0
		.amdhsa_float_round_mode_16_64 0
		.amdhsa_float_denorm_mode_32 3
		.amdhsa_float_denorm_mode_16_64 3
		.amdhsa_fp16_overflow 0
		.amdhsa_memory_ordered 1
		.amdhsa_forward_progress 1
		.amdhsa_inst_pref_size 18
		.amdhsa_round_robin_scheduling 0
		.amdhsa_exception_fp_ieee_invalid_op 0
		.amdhsa_exception_fp_denorm_src 0
		.amdhsa_exception_fp_ieee_div_zero 0
		.amdhsa_exception_fp_ieee_overflow 0
		.amdhsa_exception_fp_ieee_underflow 0
		.amdhsa_exception_fp_ieee_inexact 0
		.amdhsa_exception_int_div_zero 0
	.end_amdhsa_kernel
	.section	.text._ZN9rocsparseL5csrsmILj512ELj64ELb0EllfEEv20rocsparse_operation_T3_S2_NS_24const_host_device_scalarIT4_EEPKT2_PKS2_PKS4_PS4_lPiSA_PS2_21rocsparse_index_base_20rocsparse_fill_mode_20rocsparse_diag_type_b,"axG",@progbits,_ZN9rocsparseL5csrsmILj512ELj64ELb0EllfEEv20rocsparse_operation_T3_S2_NS_24const_host_device_scalarIT4_EEPKT2_PKS2_PKS4_PS4_lPiSA_PS2_21rocsparse_index_base_20rocsparse_fill_mode_20rocsparse_diag_type_b,comdat
.Lfunc_end91:
	.size	_ZN9rocsparseL5csrsmILj512ELj64ELb0EllfEEv20rocsparse_operation_T3_S2_NS_24const_host_device_scalarIT4_EEPKT2_PKS2_PKS4_PS4_lPiSA_PS2_21rocsparse_index_base_20rocsparse_fill_mode_20rocsparse_diag_type_b, .Lfunc_end91-_ZN9rocsparseL5csrsmILj512ELj64ELb0EllfEEv20rocsparse_operation_T3_S2_NS_24const_host_device_scalarIT4_EEPKT2_PKS2_PKS4_PS4_lPiSA_PS2_21rocsparse_index_base_20rocsparse_fill_mode_20rocsparse_diag_type_b
                                        ; -- End function
	.set _ZN9rocsparseL5csrsmILj512ELj64ELb0EllfEEv20rocsparse_operation_T3_S2_NS_24const_host_device_scalarIT4_EEPKT2_PKS2_PKS4_PS4_lPiSA_PS2_21rocsparse_index_base_20rocsparse_fill_mode_20rocsparse_diag_type_b.num_vgpr, 19
	.set _ZN9rocsparseL5csrsmILj512ELj64ELb0EllfEEv20rocsparse_operation_T3_S2_NS_24const_host_device_scalarIT4_EEPKT2_PKS2_PKS4_PS4_lPiSA_PS2_21rocsparse_index_base_20rocsparse_fill_mode_20rocsparse_diag_type_b.num_agpr, 0
	.set _ZN9rocsparseL5csrsmILj512ELj64ELb0EllfEEv20rocsparse_operation_T3_S2_NS_24const_host_device_scalarIT4_EEPKT2_PKS2_PKS4_PS4_lPiSA_PS2_21rocsparse_index_base_20rocsparse_fill_mode_20rocsparse_diag_type_b.numbered_sgpr, 38
	.set _ZN9rocsparseL5csrsmILj512ELj64ELb0EllfEEv20rocsparse_operation_T3_S2_NS_24const_host_device_scalarIT4_EEPKT2_PKS2_PKS4_PS4_lPiSA_PS2_21rocsparse_index_base_20rocsparse_fill_mode_20rocsparse_diag_type_b.num_named_barrier, 0
	.set _ZN9rocsparseL5csrsmILj512ELj64ELb0EllfEEv20rocsparse_operation_T3_S2_NS_24const_host_device_scalarIT4_EEPKT2_PKS2_PKS4_PS4_lPiSA_PS2_21rocsparse_index_base_20rocsparse_fill_mode_20rocsparse_diag_type_b.private_seg_size, 0
	.set _ZN9rocsparseL5csrsmILj512ELj64ELb0EllfEEv20rocsparse_operation_T3_S2_NS_24const_host_device_scalarIT4_EEPKT2_PKS2_PKS4_PS4_lPiSA_PS2_21rocsparse_index_base_20rocsparse_fill_mode_20rocsparse_diag_type_b.uses_vcc, 1
	.set _ZN9rocsparseL5csrsmILj512ELj64ELb0EllfEEv20rocsparse_operation_T3_S2_NS_24const_host_device_scalarIT4_EEPKT2_PKS2_PKS4_PS4_lPiSA_PS2_21rocsparse_index_base_20rocsparse_fill_mode_20rocsparse_diag_type_b.uses_flat_scratch, 0
	.set _ZN9rocsparseL5csrsmILj512ELj64ELb0EllfEEv20rocsparse_operation_T3_S2_NS_24const_host_device_scalarIT4_EEPKT2_PKS2_PKS4_PS4_lPiSA_PS2_21rocsparse_index_base_20rocsparse_fill_mode_20rocsparse_diag_type_b.has_dyn_sized_stack, 0
	.set _ZN9rocsparseL5csrsmILj512ELj64ELb0EllfEEv20rocsparse_operation_T3_S2_NS_24const_host_device_scalarIT4_EEPKT2_PKS2_PKS4_PS4_lPiSA_PS2_21rocsparse_index_base_20rocsparse_fill_mode_20rocsparse_diag_type_b.has_recursion, 0
	.set _ZN9rocsparseL5csrsmILj512ELj64ELb0EllfEEv20rocsparse_operation_T3_S2_NS_24const_host_device_scalarIT4_EEPKT2_PKS2_PKS4_PS4_lPiSA_PS2_21rocsparse_index_base_20rocsparse_fill_mode_20rocsparse_diag_type_b.has_indirect_call, 0
	.section	.AMDGPU.csdata,"",@progbits
; Kernel info:
; codeLenInByte = 2300
; TotalNumSgprs: 40
; NumVgprs: 19
; ScratchSize: 0
; MemoryBound: 0
; FloatMode: 240
; IeeeMode: 1
; LDSByteSize: 6144 bytes/workgroup (compile time only)
; SGPRBlocks: 0
; VGPRBlocks: 1
; NumSGPRsForWavesPerEU: 40
; NumVGPRsForWavesPerEU: 19
; NamedBarCnt: 0
; Occupancy: 16
; WaveLimiterHint : 1
; COMPUTE_PGM_RSRC2:SCRATCH_EN: 0
; COMPUTE_PGM_RSRC2:USER_SGPR: 2
; COMPUTE_PGM_RSRC2:TRAP_HANDLER: 0
; COMPUTE_PGM_RSRC2:TGID_X_EN: 1
; COMPUTE_PGM_RSRC2:TGID_Y_EN: 0
; COMPUTE_PGM_RSRC2:TGID_Z_EN: 0
; COMPUTE_PGM_RSRC2:TIDIG_COMP_CNT: 0
	.section	.text._ZN9rocsparseL5csrsmILj1024ELj64ELb1EllfEEv20rocsparse_operation_T3_S2_NS_24const_host_device_scalarIT4_EEPKT2_PKS2_PKS4_PS4_lPiSA_PS2_21rocsparse_index_base_20rocsparse_fill_mode_20rocsparse_diag_type_b,"axG",@progbits,_ZN9rocsparseL5csrsmILj1024ELj64ELb1EllfEEv20rocsparse_operation_T3_S2_NS_24const_host_device_scalarIT4_EEPKT2_PKS2_PKS4_PS4_lPiSA_PS2_21rocsparse_index_base_20rocsparse_fill_mode_20rocsparse_diag_type_b,comdat
	.globl	_ZN9rocsparseL5csrsmILj1024ELj64ELb1EllfEEv20rocsparse_operation_T3_S2_NS_24const_host_device_scalarIT4_EEPKT2_PKS2_PKS4_PS4_lPiSA_PS2_21rocsparse_index_base_20rocsparse_fill_mode_20rocsparse_diag_type_b ; -- Begin function _ZN9rocsparseL5csrsmILj1024ELj64ELb1EllfEEv20rocsparse_operation_T3_S2_NS_24const_host_device_scalarIT4_EEPKT2_PKS2_PKS4_PS4_lPiSA_PS2_21rocsparse_index_base_20rocsparse_fill_mode_20rocsparse_diag_type_b
	.p2align	8
	.type	_ZN9rocsparseL5csrsmILj1024ELj64ELb1EllfEEv20rocsparse_operation_T3_S2_NS_24const_host_device_scalarIT4_EEPKT2_PKS2_PKS4_PS4_lPiSA_PS2_21rocsparse_index_base_20rocsparse_fill_mode_20rocsparse_diag_type_b,@function
_ZN9rocsparseL5csrsmILj1024ELj64ELb1EllfEEv20rocsparse_operation_T3_S2_NS_24const_host_device_scalarIT4_EEPKT2_PKS2_PKS4_PS4_lPiSA_PS2_21rocsparse_index_base_20rocsparse_fill_mode_20rocsparse_diag_type_b: ; @_ZN9rocsparseL5csrsmILj1024ELj64ELb1EllfEEv20rocsparse_operation_T3_S2_NS_24const_host_device_scalarIT4_EEPKT2_PKS2_PKS4_PS4_lPiSA_PS2_21rocsparse_index_base_20rocsparse_fill_mode_20rocsparse_diag_type_b
; %bb.0:
	s_clause 0x2
	s_load_b128 s[4:7], s[0:1], 0x60
	s_load_b128 s[12:15], s[0:1], 0x8
	s_load_b64 s[24:25], s[0:1], 0x18
	s_wait_kmcnt 0x0
	s_bitcmp1_b32 s7, 0
	s_cselect_b32 s2, -1, 0
	s_delay_alu instid0(SALU_CYCLE_1)
	s_and_b32 vcc_lo, exec_lo, s2
	s_cbranch_vccnz .LBB92_2
; %bb.1:
	s_load_b32 s24, s[24:25], 0x0
.LBB92_2:
	s_bfe_u32 s2, ttmp6, 0x4000c
	s_and_b32 s3, ttmp6, 15
	s_add_co_i32 s2, s2, 1
	s_getreg_b32 s7, hwreg(HW_REG_IB_STS2, 6, 4)
	s_mul_i32 s2, ttmp9, s2
	s_delay_alu instid0(SALU_CYCLE_1)
	s_add_co_i32 s3, s3, s2
	s_cmp_eq_u32 s7, 0
	s_cselect_b32 s2, ttmp9, s3
	s_and_b64 s[8:9], s[12:13], 0xffffffff00000000
	s_mov_b32 s3, 0
	s_cmp_lg_u64 s[8:9], 0
	s_cbranch_scc0 .LBB92_52
; %bb.3:
	s_ashr_i32 s8, s13, 31
	s_mov_b32 s21, s3
	s_mov_b32 s9, s8
	;; [unrolled: 1-line block ×3, first 2 shown]
	s_add_nc_u64 s[10:11], s[12:13], s[8:9]
	s_delay_alu instid0(SALU_CYCLE_1) | instskip(NEXT) | instid1(SALU_CYCLE_1)
	s_xor_b64 s[10:11], s[10:11], s[8:9]
	s_cvt_f32_u32 s7, s10
	s_cvt_f32_u32 s16, s11
	s_sub_nc_u64 s[18:19], 0, s[10:11]
	s_delay_alu instid0(SALU_CYCLE_2) | instskip(NEXT) | instid1(SALU_CYCLE_3)
	s_fmamk_f32 s7, s16, 0x4f800000, s7
	v_s_rcp_f32 s7, s7
	s_delay_alu instid0(TRANS32_DEP_1) | instskip(NEXT) | instid1(SALU_CYCLE_3)
	s_mul_f32 s7, s7, 0x5f7ffffc
	s_mul_f32 s16, s7, 0x2f800000
	s_delay_alu instid0(SALU_CYCLE_3) | instskip(NEXT) | instid1(SALU_CYCLE_3)
	s_trunc_f32 s16, s16
	s_fmamk_f32 s7, s16, 0xcf800000, s7
	s_cvt_u32_f32 s17, s16
	s_delay_alu instid0(SALU_CYCLE_2) | instskip(NEXT) | instid1(SALU_CYCLE_3)
	s_cvt_u32_f32 s16, s7
	s_mul_u64 s[22:23], s[18:19], s[16:17]
	s_delay_alu instid0(SALU_CYCLE_1)
	s_mul_hi_u32 s29, s16, s23
	s_mul_i32 s28, s16, s23
	s_mul_hi_u32 s20, s16, s22
	s_wait_xcnt 0x0
	s_mul_i32 s25, s17, s22
	s_add_nc_u64 s[20:21], s[20:21], s[28:29]
	s_mul_hi_u32 s7, s17, s22
	s_mul_hi_u32 s30, s17, s23
	s_add_co_u32 s20, s20, s25
	s_add_co_ci_u32 s26, s21, s7
	s_mul_i32 s22, s17, s23
	s_add_co_ci_u32 s23, s30, 0
	s_delay_alu instid0(SALU_CYCLE_1) | instskip(SKIP_3) | instid1(SALU_CYCLE_1)
	s_add_nc_u64 s[20:21], s[26:27], s[22:23]
	s_mov_b32 s23, s3
	s_add_co_u32 s16, s16, s20
	s_cselect_b32 s7, -1, 0
	s_cmp_lg_u32 s7, 0
	s_add_co_ci_u32 s17, s17, s21
	s_mov_b32 s21, s3
	s_mul_u64 s[18:19], s[18:19], s[16:17]
	s_delay_alu instid0(SALU_CYCLE_1)
	s_mul_hi_u32 s27, s16, s19
	s_mul_i32 s26, s16, s19
	s_mul_hi_u32 s20, s16, s18
	s_mul_i32 s22, s17, s18
	s_add_nc_u64 s[20:21], s[20:21], s[26:27]
	s_mul_hi_u32 s7, s17, s18
	s_mul_hi_u32 s25, s17, s19
	s_mul_i32 s18, s17, s19
	s_add_co_u32 s19, s20, s22
	s_add_co_ci_u32 s22, s21, s7
	s_add_co_ci_u32 s19, s25, 0
	s_add_nc_u64 s[20:21], s[2:3], 0
	s_add_nc_u64 s[18:19], s[22:23], s[18:19]
	s_delay_alu instid0(SALU_CYCLE_1) | instskip(SKIP_1) | instid1(SALU_CYCLE_1)
	s_add_co_u32 s7, s16, s18
	s_cselect_b32 s16, -1, 0
	s_cmp_lg_u32 s16, 0
	s_add_co_ci_u32 s18, s17, s19
	s_xor_b64 s[16:17], s[20:21], 0
	s_mov_b32 s19, s3
	s_mul_hi_u32 s21, s16, s18
	s_mul_i32 s20, s16, s18
	s_mul_hi_u32 s22, s16, s7
	s_mul_hi_u32 s26, s17, s7
	s_mul_i32 s7, s17, s7
	s_add_nc_u64 s[20:21], s[22:23], s[20:21]
	s_mul_hi_u32 s25, s17, s18
	s_add_co_u32 s7, s20, s7
	s_mul_i32 s22, s17, s18
	s_add_co_ci_u32 s18, s21, s26
	s_add_co_ci_u32 s23, s25, 0
	s_delay_alu instid0(SALU_CYCLE_1) | instskip(NEXT) | instid1(SALU_CYCLE_1)
	s_add_nc_u64 s[18:19], s[18:19], s[22:23]
	s_and_b64 s[20:21], s[18:19], 0xffffffff00000000
	s_delay_alu instid0(SALU_CYCLE_1) | instskip(NEXT) | instid1(SALU_CYCLE_1)
	s_or_b32 s20, s20, s18
	s_mul_u64 s[18:19], s[10:11], s[20:21]
	s_delay_alu instid0(SALU_CYCLE_1)
	s_sub_co_u32 s7, s16, s18
	s_cselect_b32 s16, -1, 0
	s_sub_co_i32 s18, s17, s19
	s_cmp_lg_u32 s16, 0
	s_sub_co_ci_u32 s18, s18, s11
	s_sub_co_u32 s22, s7, s10
	s_cselect_b32 s23, -1, 0
	s_delay_alu instid0(SALU_CYCLE_1) | instskip(SKIP_1) | instid1(SALU_CYCLE_1)
	s_cmp_lg_u32 s23, 0
	s_sub_co_ci_u32 s18, s18, 0
	s_cmp_ge_u32 s18, s11
	s_cselect_b32 s25, -1, 0
	s_cmp_ge_u32 s22, s10
	s_add_nc_u64 s[22:23], s[20:21], 1
	s_cselect_b32 s26, -1, 0
	s_cmp_eq_u32 s18, s11
	s_cselect_b32 s18, s26, s25
	s_add_nc_u64 s[26:27], s[20:21], 2
	s_cmp_lg_u32 s18, 0
	s_cselect_b32 s18, s26, s22
	s_cselect_b32 s22, s27, s23
	s_cmp_lg_u32 s16, 0
	s_sub_co_ci_u32 s16, s17, s19
	s_delay_alu instid0(SALU_CYCLE_1)
	s_cmp_ge_u32 s16, s11
	s_cselect_b32 s17, -1, 0
	s_cmp_ge_u32 s7, s10
	s_cselect_b32 s7, -1, 0
	s_cmp_eq_u32 s16, s11
	s_cselect_b32 s7, s7, s17
	s_delay_alu instid0(SALU_CYCLE_1) | instskip(SKIP_4) | instid1(SALU_CYCLE_1)
	s_cmp_lg_u32 s7, 0
	s_mov_b32 s7, s3
	s_cselect_b32 s11, s22, s21
	s_cselect_b32 s10, s18, s20
	s_xor_b64 s[8:9], 0, s[8:9]
	s_xor_b64 s[10:11], s[10:11], s[8:9]
	s_delay_alu instid0(SALU_CYCLE_1)
	s_sub_nc_u64 s[22:23], s[10:11], s[8:9]
	s_clause 0x1
	s_load_b64 s[8:9], s[0:1], 0x50
	s_load_b64 s[16:17], s[0:1], 0x20
	s_and_not1_b32 vcc_lo, exec_lo, s7
	s_cbranch_vccnz .LBB92_5
.LBB92_4:
	v_cvt_f32_u32_e32 v1, s12
	s_sub_co_i32 s10, 0, s12
	s_mov_b32 s23, 0
	s_delay_alu instid0(VALU_DEP_1) | instskip(SKIP_1) | instid1(TRANS32_DEP_1)
	v_rcp_iflag_f32_e32 v1, v1
	v_nop
	v_mul_f32_e32 v1, 0x4f7ffffe, v1
	s_delay_alu instid0(VALU_DEP_1) | instskip(NEXT) | instid1(VALU_DEP_1)
	v_cvt_u32_f32_e32 v1, v1
	v_readfirstlane_b32 s7, v1
	s_mul_i32 s10, s10, s7
	s_delay_alu instid0(SALU_CYCLE_1) | instskip(NEXT) | instid1(SALU_CYCLE_1)
	s_mul_hi_u32 s10, s7, s10
	s_add_co_i32 s7, s7, s10
	s_delay_alu instid0(SALU_CYCLE_1) | instskip(NEXT) | instid1(SALU_CYCLE_1)
	s_mul_hi_u32 s7, s2, s7
	s_mul_i32 s10, s7, s12
	s_add_co_i32 s11, s7, 1
	s_sub_co_i32 s10, s2, s10
	s_delay_alu instid0(SALU_CYCLE_1)
	s_sub_co_i32 s18, s10, s12
	s_cmp_ge_u32 s10, s12
	s_cselect_b32 s7, s11, s7
	s_cselect_b32 s10, s18, s10
	s_add_co_i32 s11, s7, 1
	s_cmp_ge_u32 s10, s12
	s_cselect_b32 s22, s11, s7
.LBB92_5:
	s_delay_alu instid0(SALU_CYCLE_1) | instskip(SKIP_2) | instid1(SALU_CYCLE_1)
	s_mul_u64 s[12:13], s[22:23], s[12:13]
	v_mov_b32_e32 v1, 0
	s_sub_nc_u64 s[2:3], s[2:3], s[12:13]
	s_lshl_b64 s[2:3], s[2:3], 3
	s_delay_alu instid0(VALU_DEP_1)
	v_mov_b32_e32 v12, v1
	s_wait_kmcnt 0x0
	s_add_nc_u64 s[2:3], s[8:9], s[2:3]
	s_load_b128 s[8:11], s[0:1], 0x38
	s_load_b64 s[20:21], s[2:3], 0x0
	s_wait_kmcnt 0x0
	s_lshl_b64 s[2:3], s[20:21], 3
	s_delay_alu instid0(SALU_CYCLE_1)
	s_add_nc_u64 s[2:3], s[16:17], s[2:3]
	s_load_b128 s[16:19], s[2:3], 0x0
	s_wait_xcnt 0x0
	s_lshl_b64 s[2:3], s[22:23], 10
	s_mul_u64 s[22:23], s[20:21], s[10:11]
	v_dual_mov_b32 v3, s3 :: v_dual_bitop2_b32 v2, s2, v0 bitop3:0x54
	s_delay_alu instid0(VALU_DEP_1)
	v_cmp_gt_i64_e64 s2, s[14:15], v[2:3]
	s_and_saveexec_b32 s3, s2
	s_cbranch_execz .LBB92_7
; %bb.6:
	v_add_nc_u64_e32 v[4:5], s[22:23], v[2:3]
	s_delay_alu instid0(VALU_DEP_1)
	v_lshl_add_u64 v[4:5], v[4:5], 2, s[8:9]
	global_load_b32 v4, v[4:5], off
	s_wait_loadcnt 0x0
	v_mul_f32_e32 v12, s24, v4
.LBB92_7:
	s_or_b32 exec_lo, exec_lo, s3
	s_load_b64 s[14:15], s[0:1], 0x48
	s_wait_kmcnt 0x0
	v_cmp_ge_i64_e64 s3, s[16:17], s[18:19]
	v_lshl_add_u64 v[2:3], v[2:3], 2, s[8:9]
	v_mov_b32_e32 v11, 1.0
	s_and_b32 vcc_lo, exec_lo, s3
	v_cmp_eq_u32_e64 s3, 0, v0
	s_cbranch_vccnz .LBB92_46
; %bb.8:
	s_clause 0x1
	s_load_b128 s[28:31], s[0:1], 0x28
	s_load_b64 s[8:9], s[0:1], 0x58
	v_dual_mov_b32 v5, 0 :: v_dual_lshlrev_b32 v4, 3, v0
	v_lshlrev_b32_e32 v8, 2, v0
	s_wait_xcnt 0x0
	s_lshl_b64 s[0:1], s[12:13], 2
	s_mov_b32 s25, 0
	s_mov_b32 s24, s4
	v_mov_b32_e32 v9, v5
	v_or_b32_e32 v13, 0x2000, v8
	s_cmp_lg_u32 s6, 0
	s_add_nc_u64 s[26:27], s[14:15], s[0:1]
	v_cmp_ne_u32_e64 s0, 0, v0
	v_mov_b32_e32 v14, 1.0
	s_sub_nc_u64 s[16:17], s[16:17], s[24:25]
	s_cselect_b32 s4, -1, 0
	s_cmp_eq_u32 s6, 0
	s_sub_nc_u64 s[18:19], s[18:19], s[24:25]
	s_cselect_b32 s1, -1, 0
	s_wait_kmcnt 0x0
	v_add_nc_u64_e32 v[6:7], s[28:29], v[4:5]
	v_add_nc_u64_e32 v[8:9], s[30:31], v[8:9]
	s_add_nc_u64 s[28:29], s[20:21], s[24:25]
	s_mov_b64 s[30:31], s[16:17]
	s_delay_alu instid0(SALU_CYCLE_1) | instskip(NEXT) | instid1(SALU_CYCLE_1)
	s_sub_co_i32 s7, s30, s16
	s_and_b32 s7, s7, 0x3ff
	s_delay_alu instid0(SALU_CYCLE_1)
	s_cmp_lg_u32 s7, 0
	s_cbranch_scc1 .LBB92_12
.LBB92_9:
	v_mov_b64_e32 v[10:11], -1
	v_mov_b32_e32 v15, -1.0
	s_sub_nc_u64 s[34:35], s[18:19], s[30:31]
	s_mov_b32 s17, exec_lo
	v_cmpx_gt_i64_e64 s[34:35], v[0:1]
	s_cbranch_execz .LBB92_11
; %bb.10:
	v_lshl_add_u64 v[10:11], s[30:31], 3, v[6:7]
	v_lshl_add_u64 v[16:17], s[30:31], 2, v[8:9]
	global_load_b64 v[10:11], v[10:11], off
	global_load_b32 v15, v[16:17], off
	s_wait_loadcnt 0x1
	s_wait_xcnt 0x1
	v_sub_nc_u64_e64 v[10:11], v[10:11], s[24:25]
.LBB92_11:
	s_wait_xcnt 0x0
	s_or_b32 exec_lo, exec_lo, s17
	ds_store_b64 v4, v[10:11]
	s_wait_loadcnt 0x0
	ds_store_b32 v13, v15
.LBB92_12:                              ; =>This Loop Header: Depth=1
                                        ;     Child Loop BB92_44 Depth 2
                                        ;       Child Loop BB92_45 Depth 3
	s_lshl_b32 s17, s7, 3
	s_lshl_b32 s7, s7, 2
	s_delay_alu instid0(SALU_CYCLE_1)
	v_dual_mov_b32 v10, s17 :: v_dual_mov_b32 v15, s7
	s_wait_dscnt 0x0
	s_barrier_signal -1
	s_barrier_wait -1
	ds_load_b64 v[10:11], v10
	ds_load_b32 v15, v15 offset:8192
	s_wait_dscnt 0x1
	v_readfirstlane_b32 s34, v10
	v_readfirstlane_b32 s35, v11
	s_wait_dscnt 0x0
	v_cmp_neq_f32_e32 vcc_lo, 0, v15
	s_cmp_lg_u64 s[34:35], s[20:21]
	s_cselect_b32 s7, -1, 0
	s_delay_alu instid0(SALU_CYCLE_1) | instskip(NEXT) | instid1(SALU_CYCLE_1)
	s_or_b32 s7, s4, s7
	s_or_b32 vcc_lo, vcc_lo, s7
	v_cndmask_b32_e32 v10, 1.0, v15, vcc_lo
	s_nor_b32 s17, s0, vcc_lo
	s_delay_alu instid0(SALU_CYCLE_1)
	s_and_saveexec_b32 s7, s17
	s_cbranch_execz .LBB92_16
; %bb.13:                               ;   in Loop: Header=BB92_12 Depth=1
	v_mbcnt_lo_u32_b32 v10, exec_lo, 0
	s_mov_b32 s17, exec_lo
	s_delay_alu instid0(VALU_DEP_1)
	v_cmpx_eq_u32_e32 0, v10
	s_cbranch_execz .LBB92_15
; %bb.14:                               ;   in Loop: Header=BB92_12 Depth=1
	v_mov_b64_e32 v[10:11], s[28:29]
	global_atomic_min_u64 v5, v[10:11], s[8:9] scope:SCOPE_DEV
.LBB92_15:                              ;   in Loop: Header=BB92_12 Depth=1
	s_wait_xcnt 0x0
	s_or_b32 exec_lo, exec_lo, s17
	v_mov_b32_e32 v10, 1.0
.LBB92_16:                              ;   in Loop: Header=BB92_12 Depth=1
	s_or_b32 exec_lo, exec_lo, s7
	s_mov_b32 s33, -1
	s_mov_b32 s7, 0
	s_cmp_lt_i32 s5, 1
	s_mov_b32 s17, 0
                                        ; implicit-def: $vgpr11
	s_cbranch_scc0 .LBB92_23
; %bb.17:                               ;   in Loop: Header=BB92_12 Depth=1
	s_and_b32 vcc_lo, exec_lo, s33
	s_mov_b32 s33, 4
	s_cbranch_vccnz .LBB92_28
.LBB92_18:                              ;   in Loop: Header=BB92_12 Depth=1
	v_mov_b32_e32 v15, v12
	s_and_b32 vcc_lo, exec_lo, s17
	s_cbranch_vccnz .LBB92_33
.LBB92_19:                              ;   in Loop: Header=BB92_12 Depth=1
	s_and_b32 vcc_lo, exec_lo, s7
	s_cbranch_vccnz .LBB92_38
.LBB92_20:                              ;   in Loop: Header=BB92_12 Depth=1
	s_mov_b32 s7, -1
	s_cmp_gt_i32 s33, 3
	s_mov_b32 s17, -1
	s_cbranch_scc0 .LBB92_39
.LBB92_21:                              ;   in Loop: Header=BB92_12 Depth=1
	s_and_not1_b32 vcc_lo, exec_lo, s17
	s_cbranch_vccz .LBB92_40
.LBB92_22:                              ;   in Loop: Header=BB92_12 Depth=1
	s_and_not1_b32 vcc_lo, exec_lo, s7
	s_cbranch_vccnz .LBB92_41
	s_branch .LBB92_47
.LBB92_23:                              ;   in Loop: Header=BB92_12 Depth=1
	s_cmp_eq_u32 s5, 1
	s_mov_b32 s17, -1
                                        ; implicit-def: $vgpr11
	s_cbranch_scc0 .LBB92_27
; %bb.24:                               ;   in Loop: Header=BB92_12 Depth=1
	v_cmp_ge_i64_e64 s17, s[34:35], s[20:21]
	v_mov_b32_e32 v11, v14
	s_and_b32 vcc_lo, exec_lo, s17
	s_mov_b32 s17, 0
	s_cbranch_vccz .LBB92_27
; %bb.25:                               ;   in Loop: Header=BB92_12 Depth=1
	s_cmp_eq_u64 s[34:35], s[20:21]
	s_mov_b32 s17, -1
                                        ; implicit-def: $vgpr11
	s_cbranch_scc0 .LBB92_27
; %bb.26:                               ;   in Loop: Header=BB92_12 Depth=1
	v_div_scale_f32 v11, null, v10, v10, 1.0
	s_mov_b32 s17, 0
	v_rcp_f32_e32 v15, v11
	v_nop
	s_delay_alu instid0(TRANS32_DEP_1) | instskip(NEXT) | instid1(VALU_DEP_1)
	v_fma_f32 v16, -v11, v15, 1.0
	v_fmac_f32_e32 v15, v16, v15
	v_div_scale_f32 v16, vcc_lo, 1.0, v10, 1.0
	s_delay_alu instid0(VALU_DEP_1) | instskip(NEXT) | instid1(VALU_DEP_1)
	v_mul_f32_e32 v17, v16, v15
	v_fma_f32 v18, -v11, v17, v16
	s_delay_alu instid0(VALU_DEP_1) | instskip(NEXT) | instid1(VALU_DEP_1)
	v_fmac_f32_e32 v17, v18, v15
	v_fma_f32 v11, -v11, v17, v16
	s_delay_alu instid0(VALU_DEP_1) | instskip(NEXT) | instid1(VALU_DEP_1)
	v_div_fmas_f32 v11, v11, v15, v17
	v_div_fixup_f32 v11, v11, v10, 1.0
	s_delay_alu instid0(VALU_DEP_1)
	v_cndmask_b32_e64 v11, v14, v11, s1
.LBB92_27:                              ;   in Loop: Header=BB92_12 Depth=1
	s_mov_b32 s33, 4
	s_branch .LBB92_18
.LBB92_28:                              ;   in Loop: Header=BB92_12 Depth=1
	s_cmp_eq_u32 s5, 0
	s_cbranch_scc1 .LBB92_30
; %bb.29:                               ;   in Loop: Header=BB92_12 Depth=1
	s_mov_b32 s17, -1
	s_branch .LBB92_32
.LBB92_30:                              ;   in Loop: Header=BB92_12 Depth=1
	v_cmp_le_i64_e64 s17, s[34:35], s[20:21]
	s_and_b32 vcc_lo, exec_lo, s17
	s_mov_b32 s17, 0
	s_cbranch_vccz .LBB92_32
; %bb.31:                               ;   in Loop: Header=BB92_12 Depth=1
	s_cmp_lg_u64 s[34:35], s[20:21]
	s_mov_b32 s7, -1
	s_cselect_b32 s17, -1, 0
.LBB92_32:                              ;   in Loop: Header=BB92_12 Depth=1
	v_mov_b32_e32 v11, v14
	s_mov_b32 s33, 2
	v_mov_b32_e32 v15, v12
	s_and_b32 vcc_lo, exec_lo, s17
	s_cbranch_vccz .LBB92_19
.LBB92_33:                              ;   in Loop: Header=BB92_12 Depth=1
	s_and_saveexec_b32 s7, s3
	s_cbranch_execz .LBB92_35
; %bb.34:                               ;   in Loop: Header=BB92_12 Depth=1
	s_lshl_b64 s[36:37], s[34:35], 2
	s_delay_alu instid0(SALU_CYCLE_1)
	s_add_nc_u64 s[36:37], s[26:27], s[36:37]
	global_load_b32 v11, v5, s[36:37] scope:SCOPE_DEV
	s_wait_loadcnt 0x0
	v_cmp_ne_u32_e32 vcc_lo, 0, v11
	s_cbranch_vccz .LBB92_42
.LBB92_35:                              ;   in Loop: Header=BB92_12 Depth=1
	s_wait_xcnt 0x0
	s_or_b32 exec_lo, exec_lo, s7
	v_mov_b32_e32 v15, 0
	s_wait_storecnt 0x0
	s_barrier_signal -1
	s_barrier_wait -1
	global_inv scope:SCOPE_DEV
	s_and_saveexec_b32 s7, s2
	s_cbranch_execz .LBB92_37
; %bb.36:                               ;   in Loop: Header=BB92_12 Depth=1
	s_mul_u64 s[34:35], s[34:35], s[10:11]
	s_delay_alu instid0(SALU_CYCLE_1)
	v_lshl_add_u64 v[16:17], s[34:35], 2, v[2:3]
	global_load_b32 v11, v[16:17], off
	s_wait_loadcnt 0x0
	v_fma_f32 v15, -v10, v11, v12
.LBB92_37:                              ;   in Loop: Header=BB92_12 Depth=1
	s_or_b32 exec_lo, exec_lo, s7
	v_mov_b32_e32 v11, v14
	s_mov_b32 s33, 0
	s_branch .LBB92_20
.LBB92_38:                              ;   in Loop: Header=BB92_12 Depth=1
	v_div_scale_f32 v11, null, v10, v10, 1.0
	v_div_scale_f32 v17, vcc_lo, 1.0, v10, 1.0
	s_mov_b32 s33, 2
	v_rcp_f32_e32 v15, v11
	v_nop
	s_delay_alu instid0(TRANS32_DEP_1) | instskip(NEXT) | instid1(VALU_DEP_1)
	v_fma_f32 v16, -v11, v15, 1.0
	v_fmac_f32_e32 v15, v16, v15
	s_delay_alu instid0(VALU_DEP_1) | instskip(NEXT) | instid1(VALU_DEP_1)
	v_mul_f32_e32 v16, v17, v15
	v_fma_f32 v18, -v11, v16, v17
	s_delay_alu instid0(VALU_DEP_1) | instskip(NEXT) | instid1(VALU_DEP_1)
	v_fmac_f32_e32 v16, v18, v15
	v_fma_f32 v11, -v11, v16, v17
	s_delay_alu instid0(VALU_DEP_1) | instskip(SKIP_1) | instid1(VALU_DEP_2)
	v_div_fmas_f32 v11, v11, v15, v16
	v_mov_b32_e32 v15, v12
	v_div_fixup_f32 v10, v11, v10, 1.0
	s_delay_alu instid0(VALU_DEP_1)
	v_cndmask_b32_e64 v11, v14, v10, s1
	s_mov_b32 s7, -1
	s_cmp_gt_i32 s33, 3
	s_mov_b32 s17, -1
	s_cbranch_scc1 .LBB92_21
.LBB92_39:                              ;   in Loop: Header=BB92_12 Depth=1
	s_cmp_eq_u32 s33, 0
	s_cselect_b32 s17, -1, 0
	s_delay_alu instid0(SALU_CYCLE_1)
	s_and_not1_b32 vcc_lo, exec_lo, s17
	s_cbranch_vccnz .LBB92_22
.LBB92_40:                              ;   in Loop: Header=BB92_12 Depth=1
	s_add_nc_u64 s[30:31], s[30:31], 1
	s_delay_alu instid0(SALU_CYCLE_1)
	v_cmp_ge_i64_e64 s7, s[30:31], s[18:19]
	s_and_not1_b32 vcc_lo, exec_lo, s7
	s_cbranch_vccz .LBB92_47
.LBB92_41:                              ;   in Loop: Header=BB92_12 Depth=1
	v_dual_mov_b32 v12, v15 :: v_dual_mov_b32 v14, v11
	s_sub_co_i32 s7, s30, s16
	s_delay_alu instid0(SALU_CYCLE_1) | instskip(NEXT) | instid1(SALU_CYCLE_1)
	s_and_b32 s7, s7, 0x3ff
	s_cmp_lg_u32 s7, 0
	s_cbranch_scc1 .LBB92_12
	s_branch .LBB92_9
.LBB92_42:                              ;   in Loop: Header=BB92_12 Depth=1
	s_mov_b32 s17, 0
	s_branch .LBB92_44
.LBB92_43:                              ;   in Loop: Header=BB92_44 Depth=2
	global_load_b32 v11, v5, s[36:37] scope:SCOPE_DEV
	s_cmp_lt_u32 s17, 0xf43
	s_cselect_b32 s33, -1, 0
	s_delay_alu instid0(SALU_CYCLE_1)
	s_cmp_lg_u32 s33, 0
	s_add_co_ci_u32 s17, s17, 0
	s_wait_loadcnt 0x0
	v_cmp_ne_u32_e32 vcc_lo, 0, v11
	s_cbranch_vccnz .LBB92_35
.LBB92_44:                              ;   Parent Loop BB92_12 Depth=1
                                        ; =>  This Loop Header: Depth=2
                                        ;       Child Loop BB92_45 Depth 3
	s_cmp_eq_u32 s17, 0
	s_mov_b32 s33, s17
	s_cbranch_scc1 .LBB92_43
.LBB92_45:                              ;   Parent Loop BB92_12 Depth=1
                                        ;     Parent Loop BB92_44 Depth=2
                                        ; =>    This Inner Loop Header: Depth=3
	s_add_co_i32 s33, s33, -1
	s_sleep 1
	s_cmp_eq_u32 s33, 0
	s_cbranch_scc0 .LBB92_45
	s_branch .LBB92_43
.LBB92_46:
	v_mov_b32_e32 v15, v12
.LBB92_47:
	s_and_saveexec_b32 s0, s2
	s_cbranch_execz .LBB92_49
; %bb.48:
	s_delay_alu instid0(VALU_DEP_1) | instskip(SKIP_3) | instid1(VALU_DEP_2)
	v_mul_f32_e32 v1, v11, v15
	s_cmp_eq_u32 s6, 0
	v_lshl_add_u64 v[2:3], s[22:23], 2, v[2:3]
	s_cselect_b32 vcc_lo, -1, 0
	v_cndmask_b32_e32 v1, v15, v1, vcc_lo
	global_store_b32 v[2:3], v1, off
.LBB92_49:
	s_wait_xcnt 0x0
	s_or_b32 exec_lo, exec_lo, s0
	global_wb scope:SCOPE_DEV
	s_wait_loadcnt 0x0
	s_wait_storecnt 0x0
	global_inv scope:SCOPE_DEV
	s_wait_loadcnt 0x0
	s_barrier_signal -1
	s_barrier_wait -1
	s_mov_b32 s0, exec_lo
	v_cmpx_eq_u32_e32 0, v0
	s_cbranch_execz .LBB92_51
; %bb.50:
	s_lshl_b64 s[0:1], s[20:21], 2
	v_dual_mov_b32 v0, 0 :: v_dual_mov_b32 v1, 1
	s_add_nc_u64 s[0:1], s[14:15], s[0:1]
	s_lshl_b64 s[2:3], s[12:13], 2
	s_delay_alu instid0(SALU_CYCLE_1)
	s_add_nc_u64 s[0:1], s[0:1], s[2:3]
	global_store_b32 v0, v1, s[0:1] scope:SCOPE_DEV
.LBB92_51:
	s_endpgm
.LBB92_52:
                                        ; implicit-def: $sgpr22_sgpr23
	s_clause 0x1
	s_load_b64 s[8:9], s[0:1], 0x50
	s_load_b64 s[16:17], s[0:1], 0x20
	s_branch .LBB92_4
	.section	.rodata,"a",@progbits
	.p2align	6, 0x0
	.amdhsa_kernel _ZN9rocsparseL5csrsmILj1024ELj64ELb1EllfEEv20rocsparse_operation_T3_S2_NS_24const_host_device_scalarIT4_EEPKT2_PKS2_PKS4_PS4_lPiSA_PS2_21rocsparse_index_base_20rocsparse_fill_mode_20rocsparse_diag_type_b
		.amdhsa_group_segment_fixed_size 12288
		.amdhsa_private_segment_fixed_size 0
		.amdhsa_kernarg_size 112
		.amdhsa_user_sgpr_count 2
		.amdhsa_user_sgpr_dispatch_ptr 0
		.amdhsa_user_sgpr_queue_ptr 0
		.amdhsa_user_sgpr_kernarg_segment_ptr 1
		.amdhsa_user_sgpr_dispatch_id 0
		.amdhsa_user_sgpr_kernarg_preload_length 0
		.amdhsa_user_sgpr_kernarg_preload_offset 0
		.amdhsa_user_sgpr_private_segment_size 0
		.amdhsa_wavefront_size32 1
		.amdhsa_uses_dynamic_stack 0
		.amdhsa_enable_private_segment 0
		.amdhsa_system_sgpr_workgroup_id_x 1
		.amdhsa_system_sgpr_workgroup_id_y 0
		.amdhsa_system_sgpr_workgroup_id_z 0
		.amdhsa_system_sgpr_workgroup_info 0
		.amdhsa_system_vgpr_workitem_id 0
		.amdhsa_next_free_vgpr 19
		.amdhsa_next_free_sgpr 38
		.amdhsa_named_barrier_count 0
		.amdhsa_reserve_vcc 1
		.amdhsa_float_round_mode_32 0
		.amdhsa_float_round_mode_16_64 0
		.amdhsa_float_denorm_mode_32 3
		.amdhsa_float_denorm_mode_16_64 3
		.amdhsa_fp16_overflow 0
		.amdhsa_memory_ordered 1
		.amdhsa_forward_progress 1
		.amdhsa_inst_pref_size 19
		.amdhsa_round_robin_scheduling 0
		.amdhsa_exception_fp_ieee_invalid_op 0
		.amdhsa_exception_fp_denorm_src 0
		.amdhsa_exception_fp_ieee_div_zero 0
		.amdhsa_exception_fp_ieee_overflow 0
		.amdhsa_exception_fp_ieee_underflow 0
		.amdhsa_exception_fp_ieee_inexact 0
		.amdhsa_exception_int_div_zero 0
	.end_amdhsa_kernel
	.section	.text._ZN9rocsparseL5csrsmILj1024ELj64ELb1EllfEEv20rocsparse_operation_T3_S2_NS_24const_host_device_scalarIT4_EEPKT2_PKS2_PKS4_PS4_lPiSA_PS2_21rocsparse_index_base_20rocsparse_fill_mode_20rocsparse_diag_type_b,"axG",@progbits,_ZN9rocsparseL5csrsmILj1024ELj64ELb1EllfEEv20rocsparse_operation_T3_S2_NS_24const_host_device_scalarIT4_EEPKT2_PKS2_PKS4_PS4_lPiSA_PS2_21rocsparse_index_base_20rocsparse_fill_mode_20rocsparse_diag_type_b,comdat
.Lfunc_end92:
	.size	_ZN9rocsparseL5csrsmILj1024ELj64ELb1EllfEEv20rocsparse_operation_T3_S2_NS_24const_host_device_scalarIT4_EEPKT2_PKS2_PKS4_PS4_lPiSA_PS2_21rocsparse_index_base_20rocsparse_fill_mode_20rocsparse_diag_type_b, .Lfunc_end92-_ZN9rocsparseL5csrsmILj1024ELj64ELb1EllfEEv20rocsparse_operation_T3_S2_NS_24const_host_device_scalarIT4_EEPKT2_PKS2_PKS4_PS4_lPiSA_PS2_21rocsparse_index_base_20rocsparse_fill_mode_20rocsparse_diag_type_b
                                        ; -- End function
	.set _ZN9rocsparseL5csrsmILj1024ELj64ELb1EllfEEv20rocsparse_operation_T3_S2_NS_24const_host_device_scalarIT4_EEPKT2_PKS2_PKS4_PS4_lPiSA_PS2_21rocsparse_index_base_20rocsparse_fill_mode_20rocsparse_diag_type_b.num_vgpr, 19
	.set _ZN9rocsparseL5csrsmILj1024ELj64ELb1EllfEEv20rocsparse_operation_T3_S2_NS_24const_host_device_scalarIT4_EEPKT2_PKS2_PKS4_PS4_lPiSA_PS2_21rocsparse_index_base_20rocsparse_fill_mode_20rocsparse_diag_type_b.num_agpr, 0
	.set _ZN9rocsparseL5csrsmILj1024ELj64ELb1EllfEEv20rocsparse_operation_T3_S2_NS_24const_host_device_scalarIT4_EEPKT2_PKS2_PKS4_PS4_lPiSA_PS2_21rocsparse_index_base_20rocsparse_fill_mode_20rocsparse_diag_type_b.numbered_sgpr, 38
	.set _ZN9rocsparseL5csrsmILj1024ELj64ELb1EllfEEv20rocsparse_operation_T3_S2_NS_24const_host_device_scalarIT4_EEPKT2_PKS2_PKS4_PS4_lPiSA_PS2_21rocsparse_index_base_20rocsparse_fill_mode_20rocsparse_diag_type_b.num_named_barrier, 0
	.set _ZN9rocsparseL5csrsmILj1024ELj64ELb1EllfEEv20rocsparse_operation_T3_S2_NS_24const_host_device_scalarIT4_EEPKT2_PKS2_PKS4_PS4_lPiSA_PS2_21rocsparse_index_base_20rocsparse_fill_mode_20rocsparse_diag_type_b.private_seg_size, 0
	.set _ZN9rocsparseL5csrsmILj1024ELj64ELb1EllfEEv20rocsparse_operation_T3_S2_NS_24const_host_device_scalarIT4_EEPKT2_PKS2_PKS4_PS4_lPiSA_PS2_21rocsparse_index_base_20rocsparse_fill_mode_20rocsparse_diag_type_b.uses_vcc, 1
	.set _ZN9rocsparseL5csrsmILj1024ELj64ELb1EllfEEv20rocsparse_operation_T3_S2_NS_24const_host_device_scalarIT4_EEPKT2_PKS2_PKS4_PS4_lPiSA_PS2_21rocsparse_index_base_20rocsparse_fill_mode_20rocsparse_diag_type_b.uses_flat_scratch, 0
	.set _ZN9rocsparseL5csrsmILj1024ELj64ELb1EllfEEv20rocsparse_operation_T3_S2_NS_24const_host_device_scalarIT4_EEPKT2_PKS2_PKS4_PS4_lPiSA_PS2_21rocsparse_index_base_20rocsparse_fill_mode_20rocsparse_diag_type_b.has_dyn_sized_stack, 0
	.set _ZN9rocsparseL5csrsmILj1024ELj64ELb1EllfEEv20rocsparse_operation_T3_S2_NS_24const_host_device_scalarIT4_EEPKT2_PKS2_PKS4_PS4_lPiSA_PS2_21rocsparse_index_base_20rocsparse_fill_mode_20rocsparse_diag_type_b.has_recursion, 0
	.set _ZN9rocsparseL5csrsmILj1024ELj64ELb1EllfEEv20rocsparse_operation_T3_S2_NS_24const_host_device_scalarIT4_EEPKT2_PKS2_PKS4_PS4_lPiSA_PS2_21rocsparse_index_base_20rocsparse_fill_mode_20rocsparse_diag_type_b.has_indirect_call, 0
	.section	.AMDGPU.csdata,"",@progbits
; Kernel info:
; codeLenInByte = 2364
; TotalNumSgprs: 40
; NumVgprs: 19
; ScratchSize: 0
; MemoryBound: 0
; FloatMode: 240
; IeeeMode: 1
; LDSByteSize: 12288 bytes/workgroup (compile time only)
; SGPRBlocks: 0
; VGPRBlocks: 1
; NumSGPRsForWavesPerEU: 40
; NumVGPRsForWavesPerEU: 19
; NamedBarCnt: 0
; Occupancy: 16
; WaveLimiterHint : 1
; COMPUTE_PGM_RSRC2:SCRATCH_EN: 0
; COMPUTE_PGM_RSRC2:USER_SGPR: 2
; COMPUTE_PGM_RSRC2:TRAP_HANDLER: 0
; COMPUTE_PGM_RSRC2:TGID_X_EN: 1
; COMPUTE_PGM_RSRC2:TGID_Y_EN: 0
; COMPUTE_PGM_RSRC2:TGID_Z_EN: 0
; COMPUTE_PGM_RSRC2:TIDIG_COMP_CNT: 0
	.section	.text._ZN9rocsparseL5csrsmILj1024ELj64ELb0EllfEEv20rocsparse_operation_T3_S2_NS_24const_host_device_scalarIT4_EEPKT2_PKS2_PKS4_PS4_lPiSA_PS2_21rocsparse_index_base_20rocsparse_fill_mode_20rocsparse_diag_type_b,"axG",@progbits,_ZN9rocsparseL5csrsmILj1024ELj64ELb0EllfEEv20rocsparse_operation_T3_S2_NS_24const_host_device_scalarIT4_EEPKT2_PKS2_PKS4_PS4_lPiSA_PS2_21rocsparse_index_base_20rocsparse_fill_mode_20rocsparse_diag_type_b,comdat
	.globl	_ZN9rocsparseL5csrsmILj1024ELj64ELb0EllfEEv20rocsparse_operation_T3_S2_NS_24const_host_device_scalarIT4_EEPKT2_PKS2_PKS4_PS4_lPiSA_PS2_21rocsparse_index_base_20rocsparse_fill_mode_20rocsparse_diag_type_b ; -- Begin function _ZN9rocsparseL5csrsmILj1024ELj64ELb0EllfEEv20rocsparse_operation_T3_S2_NS_24const_host_device_scalarIT4_EEPKT2_PKS2_PKS4_PS4_lPiSA_PS2_21rocsparse_index_base_20rocsparse_fill_mode_20rocsparse_diag_type_b
	.p2align	8
	.type	_ZN9rocsparseL5csrsmILj1024ELj64ELb0EllfEEv20rocsparse_operation_T3_S2_NS_24const_host_device_scalarIT4_EEPKT2_PKS2_PKS4_PS4_lPiSA_PS2_21rocsparse_index_base_20rocsparse_fill_mode_20rocsparse_diag_type_b,@function
_ZN9rocsparseL5csrsmILj1024ELj64ELb0EllfEEv20rocsparse_operation_T3_S2_NS_24const_host_device_scalarIT4_EEPKT2_PKS2_PKS4_PS4_lPiSA_PS2_21rocsparse_index_base_20rocsparse_fill_mode_20rocsparse_diag_type_b: ; @_ZN9rocsparseL5csrsmILj1024ELj64ELb0EllfEEv20rocsparse_operation_T3_S2_NS_24const_host_device_scalarIT4_EEPKT2_PKS2_PKS4_PS4_lPiSA_PS2_21rocsparse_index_base_20rocsparse_fill_mode_20rocsparse_diag_type_b
; %bb.0:
	s_clause 0x2
	s_load_b128 s[4:7], s[0:1], 0x60
	s_load_b128 s[12:15], s[0:1], 0x8
	s_load_b64 s[24:25], s[0:1], 0x18
	s_wait_kmcnt 0x0
	s_bitcmp1_b32 s7, 0
	s_cselect_b32 s2, -1, 0
	s_delay_alu instid0(SALU_CYCLE_1)
	s_and_b32 vcc_lo, exec_lo, s2
	s_cbranch_vccnz .LBB93_2
; %bb.1:
	s_load_b32 s24, s[24:25], 0x0
.LBB93_2:
	s_bfe_u32 s2, ttmp6, 0x4000c
	s_and_b32 s3, ttmp6, 15
	s_add_co_i32 s2, s2, 1
	s_getreg_b32 s7, hwreg(HW_REG_IB_STS2, 6, 4)
	s_mul_i32 s2, ttmp9, s2
	s_delay_alu instid0(SALU_CYCLE_1)
	s_add_co_i32 s3, s3, s2
	s_cmp_eq_u32 s7, 0
	s_cselect_b32 s2, ttmp9, s3
	s_and_b64 s[8:9], s[12:13], 0xffffffff00000000
	s_mov_b32 s3, 0
	s_cmp_lg_u64 s[8:9], 0
	s_cbranch_scc0 .LBB93_49
; %bb.3:
	s_ashr_i32 s8, s13, 31
	s_mov_b32 s21, s3
	s_mov_b32 s9, s8
	;; [unrolled: 1-line block ×3, first 2 shown]
	s_add_nc_u64 s[10:11], s[12:13], s[8:9]
	s_delay_alu instid0(SALU_CYCLE_1) | instskip(NEXT) | instid1(SALU_CYCLE_1)
	s_xor_b64 s[10:11], s[10:11], s[8:9]
	s_cvt_f32_u32 s7, s10
	s_cvt_f32_u32 s16, s11
	s_sub_nc_u64 s[18:19], 0, s[10:11]
	s_delay_alu instid0(SALU_CYCLE_2) | instskip(NEXT) | instid1(SALU_CYCLE_3)
	s_fmamk_f32 s7, s16, 0x4f800000, s7
	v_s_rcp_f32 s7, s7
	s_delay_alu instid0(TRANS32_DEP_1) | instskip(NEXT) | instid1(SALU_CYCLE_3)
	s_mul_f32 s7, s7, 0x5f7ffffc
	s_mul_f32 s16, s7, 0x2f800000
	s_delay_alu instid0(SALU_CYCLE_3) | instskip(NEXT) | instid1(SALU_CYCLE_3)
	s_trunc_f32 s16, s16
	s_fmamk_f32 s7, s16, 0xcf800000, s7
	s_cvt_u32_f32 s17, s16
	s_delay_alu instid0(SALU_CYCLE_2) | instskip(NEXT) | instid1(SALU_CYCLE_3)
	s_cvt_u32_f32 s16, s7
	s_mul_u64 s[22:23], s[18:19], s[16:17]
	s_delay_alu instid0(SALU_CYCLE_1)
	s_mul_hi_u32 s29, s16, s23
	s_mul_i32 s28, s16, s23
	s_mul_hi_u32 s20, s16, s22
	s_wait_xcnt 0x0
	s_mul_i32 s25, s17, s22
	s_add_nc_u64 s[20:21], s[20:21], s[28:29]
	s_mul_hi_u32 s7, s17, s22
	s_mul_hi_u32 s30, s17, s23
	s_add_co_u32 s20, s20, s25
	s_add_co_ci_u32 s26, s21, s7
	s_mul_i32 s22, s17, s23
	s_add_co_ci_u32 s23, s30, 0
	s_delay_alu instid0(SALU_CYCLE_1) | instskip(SKIP_3) | instid1(SALU_CYCLE_1)
	s_add_nc_u64 s[20:21], s[26:27], s[22:23]
	s_mov_b32 s23, s3
	s_add_co_u32 s16, s16, s20
	s_cselect_b32 s7, -1, 0
	s_cmp_lg_u32 s7, 0
	s_add_co_ci_u32 s17, s17, s21
	s_mov_b32 s21, s3
	s_mul_u64 s[18:19], s[18:19], s[16:17]
	s_delay_alu instid0(SALU_CYCLE_1)
	s_mul_hi_u32 s27, s16, s19
	s_mul_i32 s26, s16, s19
	s_mul_hi_u32 s20, s16, s18
	s_mul_i32 s22, s17, s18
	s_add_nc_u64 s[20:21], s[20:21], s[26:27]
	s_mul_hi_u32 s7, s17, s18
	s_mul_hi_u32 s25, s17, s19
	s_mul_i32 s18, s17, s19
	s_add_co_u32 s19, s20, s22
	s_add_co_ci_u32 s22, s21, s7
	s_add_co_ci_u32 s19, s25, 0
	s_add_nc_u64 s[20:21], s[2:3], 0
	s_add_nc_u64 s[18:19], s[22:23], s[18:19]
	s_delay_alu instid0(SALU_CYCLE_1) | instskip(SKIP_1) | instid1(SALU_CYCLE_1)
	s_add_co_u32 s7, s16, s18
	s_cselect_b32 s16, -1, 0
	s_cmp_lg_u32 s16, 0
	s_add_co_ci_u32 s18, s17, s19
	s_xor_b64 s[16:17], s[20:21], 0
	s_mov_b32 s19, s3
	s_mul_hi_u32 s21, s16, s18
	s_mul_i32 s20, s16, s18
	s_mul_hi_u32 s22, s16, s7
	s_mul_hi_u32 s26, s17, s7
	s_mul_i32 s7, s17, s7
	s_add_nc_u64 s[20:21], s[22:23], s[20:21]
	s_mul_hi_u32 s25, s17, s18
	s_add_co_u32 s7, s20, s7
	s_mul_i32 s22, s17, s18
	s_add_co_ci_u32 s18, s21, s26
	s_add_co_ci_u32 s23, s25, 0
	s_delay_alu instid0(SALU_CYCLE_1) | instskip(NEXT) | instid1(SALU_CYCLE_1)
	s_add_nc_u64 s[18:19], s[18:19], s[22:23]
	s_and_b64 s[20:21], s[18:19], 0xffffffff00000000
	s_delay_alu instid0(SALU_CYCLE_1) | instskip(NEXT) | instid1(SALU_CYCLE_1)
	s_or_b32 s20, s20, s18
	s_mul_u64 s[18:19], s[10:11], s[20:21]
	s_delay_alu instid0(SALU_CYCLE_1)
	s_sub_co_u32 s7, s16, s18
	s_cselect_b32 s16, -1, 0
	s_sub_co_i32 s18, s17, s19
	s_cmp_lg_u32 s16, 0
	s_sub_co_ci_u32 s18, s18, s11
	s_sub_co_u32 s22, s7, s10
	s_cselect_b32 s23, -1, 0
	s_delay_alu instid0(SALU_CYCLE_1) | instskip(SKIP_1) | instid1(SALU_CYCLE_1)
	s_cmp_lg_u32 s23, 0
	s_sub_co_ci_u32 s18, s18, 0
	s_cmp_ge_u32 s18, s11
	s_cselect_b32 s25, -1, 0
	s_cmp_ge_u32 s22, s10
	s_add_nc_u64 s[22:23], s[20:21], 1
	s_cselect_b32 s26, -1, 0
	s_cmp_eq_u32 s18, s11
	s_cselect_b32 s18, s26, s25
	s_add_nc_u64 s[26:27], s[20:21], 2
	s_cmp_lg_u32 s18, 0
	s_cselect_b32 s18, s26, s22
	s_cselect_b32 s22, s27, s23
	s_cmp_lg_u32 s16, 0
	s_sub_co_ci_u32 s16, s17, s19
	s_delay_alu instid0(SALU_CYCLE_1)
	s_cmp_ge_u32 s16, s11
	s_cselect_b32 s17, -1, 0
	s_cmp_ge_u32 s7, s10
	s_cselect_b32 s7, -1, 0
	s_cmp_eq_u32 s16, s11
	s_cselect_b32 s7, s7, s17
	s_delay_alu instid0(SALU_CYCLE_1) | instskip(SKIP_4) | instid1(SALU_CYCLE_1)
	s_cmp_lg_u32 s7, 0
	s_mov_b32 s7, s3
	s_cselect_b32 s11, s22, s21
	s_cselect_b32 s10, s18, s20
	s_xor_b64 s[8:9], 0, s[8:9]
	s_xor_b64 s[10:11], s[10:11], s[8:9]
	s_delay_alu instid0(SALU_CYCLE_1)
	s_sub_nc_u64 s[22:23], s[10:11], s[8:9]
	s_clause 0x1
	s_load_b64 s[8:9], s[0:1], 0x50
	s_load_b64 s[16:17], s[0:1], 0x20
	s_and_not1_b32 vcc_lo, exec_lo, s7
	s_cbranch_vccnz .LBB93_5
.LBB93_4:
	v_cvt_f32_u32_e32 v1, s12
	s_sub_co_i32 s10, 0, s12
	s_mov_b32 s23, 0
	s_delay_alu instid0(VALU_DEP_1) | instskip(SKIP_1) | instid1(TRANS32_DEP_1)
	v_rcp_iflag_f32_e32 v1, v1
	v_nop
	v_mul_f32_e32 v1, 0x4f7ffffe, v1
	s_delay_alu instid0(VALU_DEP_1) | instskip(NEXT) | instid1(VALU_DEP_1)
	v_cvt_u32_f32_e32 v1, v1
	v_readfirstlane_b32 s7, v1
	s_mul_i32 s10, s10, s7
	s_delay_alu instid0(SALU_CYCLE_1) | instskip(NEXT) | instid1(SALU_CYCLE_1)
	s_mul_hi_u32 s10, s7, s10
	s_add_co_i32 s7, s7, s10
	s_delay_alu instid0(SALU_CYCLE_1) | instskip(NEXT) | instid1(SALU_CYCLE_1)
	s_mul_hi_u32 s7, s2, s7
	s_mul_i32 s10, s7, s12
	s_add_co_i32 s11, s7, 1
	s_sub_co_i32 s10, s2, s10
	s_delay_alu instid0(SALU_CYCLE_1)
	s_sub_co_i32 s18, s10, s12
	s_cmp_ge_u32 s10, s12
	s_cselect_b32 s7, s11, s7
	s_cselect_b32 s10, s18, s10
	s_add_co_i32 s11, s7, 1
	s_cmp_ge_u32 s10, s12
	s_cselect_b32 s22, s11, s7
.LBB93_5:
	s_delay_alu instid0(SALU_CYCLE_1) | instskip(SKIP_2) | instid1(SALU_CYCLE_1)
	s_mul_u64 s[12:13], s[22:23], s[12:13]
	v_mov_b32_e32 v1, 0
	s_sub_nc_u64 s[2:3], s[2:3], s[12:13]
	s_lshl_b64 s[2:3], s[2:3], 3
	s_delay_alu instid0(VALU_DEP_1)
	v_mov_b32_e32 v12, v1
	s_wait_kmcnt 0x0
	s_add_nc_u64 s[2:3], s[8:9], s[2:3]
	s_load_b128 s[8:11], s[0:1], 0x38
	s_load_b64 s[20:21], s[2:3], 0x0
	s_wait_kmcnt 0x0
	s_lshl_b64 s[2:3], s[20:21], 3
	s_delay_alu instid0(SALU_CYCLE_1)
	s_add_nc_u64 s[2:3], s[16:17], s[2:3]
	s_load_b128 s[16:19], s[2:3], 0x0
	s_wait_xcnt 0x0
	s_lshl_b64 s[2:3], s[22:23], 10
	s_mul_u64 s[22:23], s[20:21], s[10:11]
	v_dual_mov_b32 v3, s3 :: v_dual_bitop2_b32 v2, s2, v0 bitop3:0x54
	s_delay_alu instid0(VALU_DEP_1)
	v_cmp_gt_i64_e64 s2, s[14:15], v[2:3]
	s_and_saveexec_b32 s3, s2
	s_cbranch_execz .LBB93_7
; %bb.6:
	v_add_nc_u64_e32 v[4:5], s[22:23], v[2:3]
	s_delay_alu instid0(VALU_DEP_1)
	v_lshl_add_u64 v[4:5], v[4:5], 2, s[8:9]
	global_load_b32 v4, v[4:5], off
	s_wait_loadcnt 0x0
	v_mul_f32_e32 v12, s24, v4
.LBB93_7:
	s_or_b32 exec_lo, exec_lo, s3
	s_load_b64 s[14:15], s[0:1], 0x48
	s_wait_kmcnt 0x0
	v_cmp_ge_i64_e64 s3, s[16:17], s[18:19]
	v_lshl_add_u64 v[2:3], v[2:3], 2, s[8:9]
	v_mov_b32_e32 v11, 1.0
	s_and_b32 vcc_lo, exec_lo, s3
	v_cmp_eq_u32_e64 s3, 0, v0
	s_cbranch_vccnz .LBB93_43
; %bb.8:
	s_clause 0x1
	s_load_b128 s[28:31], s[0:1], 0x28
	s_load_b64 s[8:9], s[0:1], 0x58
	v_dual_mov_b32 v5, 0 :: v_dual_lshlrev_b32 v4, 3, v0
	v_lshlrev_b32_e32 v8, 2, v0
	s_wait_xcnt 0x0
	s_lshl_b64 s[0:1], s[12:13], 2
	s_mov_b32 s25, 0
	s_mov_b32 s24, s4
	v_mov_b32_e32 v9, v5
	v_or_b32_e32 v13, 0x2000, v8
	s_cmp_lg_u32 s6, 0
	s_add_nc_u64 s[26:27], s[14:15], s[0:1]
	v_cmp_ne_u32_e64 s0, 0, v0
	v_mov_b32_e32 v14, 1.0
	s_sub_nc_u64 s[16:17], s[16:17], s[24:25]
	s_cselect_b32 s4, -1, 0
	s_cmp_eq_u32 s6, 0
	s_sub_nc_u64 s[18:19], s[18:19], s[24:25]
	s_cselect_b32 s1, -1, 0
	s_wait_kmcnt 0x0
	v_add_nc_u64_e32 v[6:7], s[28:29], v[4:5]
	v_add_nc_u64_e32 v[8:9], s[30:31], v[8:9]
	s_add_nc_u64 s[28:29], s[20:21], s[24:25]
	s_mov_b64 s[30:31], s[16:17]
	s_delay_alu instid0(SALU_CYCLE_1) | instskip(NEXT) | instid1(SALU_CYCLE_1)
	s_sub_co_i32 s7, s30, s16
	s_and_b32 s7, s7, 0x3ff
	s_delay_alu instid0(SALU_CYCLE_1)
	s_cmp_lg_u32 s7, 0
	s_cbranch_scc1 .LBB93_12
.LBB93_9:
	v_mov_b64_e32 v[10:11], -1
	v_mov_b32_e32 v15, -1.0
	s_sub_nc_u64 s[34:35], s[18:19], s[30:31]
	s_mov_b32 s17, exec_lo
	v_cmpx_gt_i64_e64 s[34:35], v[0:1]
	s_cbranch_execz .LBB93_11
; %bb.10:
	v_lshl_add_u64 v[10:11], s[30:31], 3, v[6:7]
	v_lshl_add_u64 v[16:17], s[30:31], 2, v[8:9]
	global_load_b64 v[10:11], v[10:11], off
	global_load_b32 v15, v[16:17], off
	s_wait_loadcnt 0x1
	s_wait_xcnt 0x1
	v_sub_nc_u64_e64 v[10:11], v[10:11], s[24:25]
.LBB93_11:
	s_wait_xcnt 0x0
	s_or_b32 exec_lo, exec_lo, s17
	ds_store_b64 v4, v[10:11]
	s_wait_loadcnt 0x0
	ds_store_b32 v13, v15
.LBB93_12:                              ; =>This Loop Header: Depth=1
                                        ;     Child Loop BB93_35 Depth 2
	s_lshl_b32 s17, s7, 3
	s_lshl_b32 s7, s7, 2
	s_delay_alu instid0(SALU_CYCLE_1)
	v_dual_mov_b32 v10, s17 :: v_dual_mov_b32 v15, s7
	s_wait_dscnt 0x0
	s_barrier_signal -1
	s_barrier_wait -1
	ds_load_b64 v[10:11], v10
	ds_load_b32 v15, v15 offset:8192
	s_wait_dscnt 0x1
	v_readfirstlane_b32 s34, v10
	v_readfirstlane_b32 s35, v11
	s_wait_dscnt 0x0
	v_cmp_neq_f32_e32 vcc_lo, 0, v15
	s_cmp_lg_u64 s[34:35], s[20:21]
	s_cselect_b32 s7, -1, 0
	s_delay_alu instid0(SALU_CYCLE_1) | instskip(NEXT) | instid1(SALU_CYCLE_1)
	s_or_b32 s7, s4, s7
	s_or_b32 vcc_lo, vcc_lo, s7
	v_cndmask_b32_e32 v10, 1.0, v15, vcc_lo
	s_nor_b32 s17, s0, vcc_lo
	s_delay_alu instid0(SALU_CYCLE_1)
	s_and_saveexec_b32 s7, s17
	s_cbranch_execz .LBB93_16
; %bb.13:                               ;   in Loop: Header=BB93_12 Depth=1
	v_mbcnt_lo_u32_b32 v10, exec_lo, 0
	s_mov_b32 s17, exec_lo
	s_delay_alu instid0(VALU_DEP_1)
	v_cmpx_eq_u32_e32 0, v10
	s_cbranch_execz .LBB93_15
; %bb.14:                               ;   in Loop: Header=BB93_12 Depth=1
	v_mov_b64_e32 v[10:11], s[28:29]
	global_atomic_min_u64 v5, v[10:11], s[8:9] scope:SCOPE_DEV
.LBB93_15:                              ;   in Loop: Header=BB93_12 Depth=1
	s_wait_xcnt 0x0
	s_or_b32 exec_lo, exec_lo, s17
	v_mov_b32_e32 v10, 1.0
.LBB93_16:                              ;   in Loop: Header=BB93_12 Depth=1
	s_or_b32 exec_lo, exec_lo, s7
	s_mov_b32 s33, -1
	s_mov_b32 s7, 0
	s_cmp_lt_i32 s5, 1
	s_mov_b32 s17, 0
                                        ; implicit-def: $vgpr11
	s_cbranch_scc0 .LBB93_23
; %bb.17:                               ;   in Loop: Header=BB93_12 Depth=1
	s_and_b32 vcc_lo, exec_lo, s33
	s_mov_b32 s33, 4
	s_cbranch_vccnz .LBB93_28
.LBB93_18:                              ;   in Loop: Header=BB93_12 Depth=1
	v_mov_b32_e32 v15, v12
	s_and_b32 vcc_lo, exec_lo, s17
	s_cbranch_vccnz .LBB93_33
.LBB93_19:                              ;   in Loop: Header=BB93_12 Depth=1
	s_and_b32 vcc_lo, exec_lo, s7
	s_cbranch_vccnz .LBB93_39
.LBB93_20:                              ;   in Loop: Header=BB93_12 Depth=1
	s_mov_b32 s7, -1
	s_cmp_gt_i32 s33, 3
	s_mov_b32 s17, -1
	s_cbranch_scc0 .LBB93_40
.LBB93_21:                              ;   in Loop: Header=BB93_12 Depth=1
	s_and_not1_b32 vcc_lo, exec_lo, s17
	s_cbranch_vccz .LBB93_41
.LBB93_22:                              ;   in Loop: Header=BB93_12 Depth=1
	s_and_not1_b32 vcc_lo, exec_lo, s7
	s_cbranch_vccnz .LBB93_42
	s_branch .LBB93_44
.LBB93_23:                              ;   in Loop: Header=BB93_12 Depth=1
	s_cmp_eq_u32 s5, 1
	s_mov_b32 s17, -1
                                        ; implicit-def: $vgpr11
	s_cbranch_scc0 .LBB93_27
; %bb.24:                               ;   in Loop: Header=BB93_12 Depth=1
	v_cmp_ge_i64_e64 s17, s[34:35], s[20:21]
	v_mov_b32_e32 v11, v14
	s_and_b32 vcc_lo, exec_lo, s17
	s_mov_b32 s17, 0
	s_cbranch_vccz .LBB93_27
; %bb.25:                               ;   in Loop: Header=BB93_12 Depth=1
	s_cmp_eq_u64 s[34:35], s[20:21]
	s_mov_b32 s17, -1
                                        ; implicit-def: $vgpr11
	s_cbranch_scc0 .LBB93_27
; %bb.26:                               ;   in Loop: Header=BB93_12 Depth=1
	v_div_scale_f32 v11, null, v10, v10, 1.0
	s_mov_b32 s17, 0
	v_rcp_f32_e32 v15, v11
	v_nop
	s_delay_alu instid0(TRANS32_DEP_1) | instskip(NEXT) | instid1(VALU_DEP_1)
	v_fma_f32 v16, -v11, v15, 1.0
	v_fmac_f32_e32 v15, v16, v15
	v_div_scale_f32 v16, vcc_lo, 1.0, v10, 1.0
	s_delay_alu instid0(VALU_DEP_1) | instskip(NEXT) | instid1(VALU_DEP_1)
	v_mul_f32_e32 v17, v16, v15
	v_fma_f32 v18, -v11, v17, v16
	s_delay_alu instid0(VALU_DEP_1) | instskip(NEXT) | instid1(VALU_DEP_1)
	v_fmac_f32_e32 v17, v18, v15
	v_fma_f32 v11, -v11, v17, v16
	s_delay_alu instid0(VALU_DEP_1) | instskip(NEXT) | instid1(VALU_DEP_1)
	v_div_fmas_f32 v11, v11, v15, v17
	v_div_fixup_f32 v11, v11, v10, 1.0
	s_delay_alu instid0(VALU_DEP_1)
	v_cndmask_b32_e64 v11, v14, v11, s1
.LBB93_27:                              ;   in Loop: Header=BB93_12 Depth=1
	s_mov_b32 s33, 4
	s_branch .LBB93_18
.LBB93_28:                              ;   in Loop: Header=BB93_12 Depth=1
	s_cmp_eq_u32 s5, 0
	s_cbranch_scc1 .LBB93_30
; %bb.29:                               ;   in Loop: Header=BB93_12 Depth=1
	s_mov_b32 s17, -1
	s_branch .LBB93_32
.LBB93_30:                              ;   in Loop: Header=BB93_12 Depth=1
	v_cmp_le_i64_e64 s17, s[34:35], s[20:21]
	s_and_b32 vcc_lo, exec_lo, s17
	s_mov_b32 s17, 0
	s_cbranch_vccz .LBB93_32
; %bb.31:                               ;   in Loop: Header=BB93_12 Depth=1
	s_cmp_lg_u64 s[34:35], s[20:21]
	s_mov_b32 s7, -1
	s_cselect_b32 s17, -1, 0
.LBB93_32:                              ;   in Loop: Header=BB93_12 Depth=1
	v_mov_b32_e32 v11, v14
	s_mov_b32 s33, 2
	v_mov_b32_e32 v15, v12
	s_and_b32 vcc_lo, exec_lo, s17
	s_cbranch_vccz .LBB93_19
.LBB93_33:                              ;   in Loop: Header=BB93_12 Depth=1
	s_and_saveexec_b32 s7, s3
	s_cbranch_execz .LBB93_36
; %bb.34:                               ;   in Loop: Header=BB93_12 Depth=1
	s_lshl_b64 s[36:37], s[34:35], 2
	s_delay_alu instid0(SALU_CYCLE_1)
	s_add_nc_u64 s[36:37], s[26:27], s[36:37]
	global_load_b32 v11, v5, s[36:37] scope:SCOPE_DEV
	s_wait_loadcnt 0x0
	v_cmp_ne_u32_e32 vcc_lo, 0, v11
	s_cbranch_vccnz .LBB93_36
.LBB93_35:                              ;   Parent Loop BB93_12 Depth=1
                                        ; =>  This Inner Loop Header: Depth=2
	global_load_b32 v11, v5, s[36:37] scope:SCOPE_DEV
	s_wait_loadcnt 0x0
	v_cmp_eq_u32_e32 vcc_lo, 0, v11
	s_cbranch_vccnz .LBB93_35
.LBB93_36:                              ;   in Loop: Header=BB93_12 Depth=1
	s_wait_xcnt 0x0
	s_or_b32 exec_lo, exec_lo, s7
	v_mov_b32_e32 v15, 0
	s_wait_storecnt 0x0
	s_barrier_signal -1
	s_barrier_wait -1
	global_inv scope:SCOPE_DEV
	s_and_saveexec_b32 s7, s2
	s_cbranch_execz .LBB93_38
; %bb.37:                               ;   in Loop: Header=BB93_12 Depth=1
	s_mul_u64 s[34:35], s[34:35], s[10:11]
	s_delay_alu instid0(SALU_CYCLE_1)
	v_lshl_add_u64 v[16:17], s[34:35], 2, v[2:3]
	global_load_b32 v11, v[16:17], off
	s_wait_loadcnt 0x0
	v_fma_f32 v15, -v10, v11, v12
.LBB93_38:                              ;   in Loop: Header=BB93_12 Depth=1
	s_or_b32 exec_lo, exec_lo, s7
	v_mov_b32_e32 v11, v14
	s_mov_b32 s33, 0
	s_branch .LBB93_20
.LBB93_39:                              ;   in Loop: Header=BB93_12 Depth=1
	v_div_scale_f32 v11, null, v10, v10, 1.0
	v_div_scale_f32 v17, vcc_lo, 1.0, v10, 1.0
	s_mov_b32 s33, 2
	v_rcp_f32_e32 v15, v11
	v_nop
	s_delay_alu instid0(TRANS32_DEP_1) | instskip(NEXT) | instid1(VALU_DEP_1)
	v_fma_f32 v16, -v11, v15, 1.0
	v_fmac_f32_e32 v15, v16, v15
	s_delay_alu instid0(VALU_DEP_1) | instskip(NEXT) | instid1(VALU_DEP_1)
	v_mul_f32_e32 v16, v17, v15
	v_fma_f32 v18, -v11, v16, v17
	s_delay_alu instid0(VALU_DEP_1) | instskip(NEXT) | instid1(VALU_DEP_1)
	v_fmac_f32_e32 v16, v18, v15
	v_fma_f32 v11, -v11, v16, v17
	s_delay_alu instid0(VALU_DEP_1) | instskip(SKIP_1) | instid1(VALU_DEP_2)
	v_div_fmas_f32 v11, v11, v15, v16
	v_mov_b32_e32 v15, v12
	v_div_fixup_f32 v10, v11, v10, 1.0
	s_delay_alu instid0(VALU_DEP_1)
	v_cndmask_b32_e64 v11, v14, v10, s1
	s_mov_b32 s7, -1
	s_cmp_gt_i32 s33, 3
	s_mov_b32 s17, -1
	s_cbranch_scc1 .LBB93_21
.LBB93_40:                              ;   in Loop: Header=BB93_12 Depth=1
	s_cmp_eq_u32 s33, 0
	s_cselect_b32 s17, -1, 0
	s_delay_alu instid0(SALU_CYCLE_1)
	s_and_not1_b32 vcc_lo, exec_lo, s17
	s_cbranch_vccnz .LBB93_22
.LBB93_41:                              ;   in Loop: Header=BB93_12 Depth=1
	s_add_nc_u64 s[30:31], s[30:31], 1
	s_delay_alu instid0(SALU_CYCLE_1)
	v_cmp_ge_i64_e64 s7, s[30:31], s[18:19]
	s_and_not1_b32 vcc_lo, exec_lo, s7
	s_cbranch_vccz .LBB93_44
.LBB93_42:                              ;   in Loop: Header=BB93_12 Depth=1
	v_dual_mov_b32 v12, v15 :: v_dual_mov_b32 v14, v11
	s_sub_co_i32 s7, s30, s16
	s_delay_alu instid0(SALU_CYCLE_1) | instskip(NEXT) | instid1(SALU_CYCLE_1)
	s_and_b32 s7, s7, 0x3ff
	s_cmp_lg_u32 s7, 0
	s_cbranch_scc1 .LBB93_12
	s_branch .LBB93_9
.LBB93_43:
	v_mov_b32_e32 v15, v12
.LBB93_44:
	s_and_saveexec_b32 s0, s2
	s_cbranch_execz .LBB93_46
; %bb.45:
	s_delay_alu instid0(VALU_DEP_1) | instskip(SKIP_3) | instid1(VALU_DEP_2)
	v_mul_f32_e32 v1, v11, v15
	s_cmp_eq_u32 s6, 0
	v_lshl_add_u64 v[2:3], s[22:23], 2, v[2:3]
	s_cselect_b32 vcc_lo, -1, 0
	v_cndmask_b32_e32 v1, v15, v1, vcc_lo
	global_store_b32 v[2:3], v1, off
.LBB93_46:
	s_wait_xcnt 0x0
	s_or_b32 exec_lo, exec_lo, s0
	global_wb scope:SCOPE_DEV
	s_wait_loadcnt 0x0
	s_wait_storecnt 0x0
	global_inv scope:SCOPE_DEV
	s_wait_loadcnt 0x0
	s_barrier_signal -1
	s_barrier_wait -1
	s_mov_b32 s0, exec_lo
	v_cmpx_eq_u32_e32 0, v0
	s_cbranch_execz .LBB93_48
; %bb.47:
	s_lshl_b64 s[0:1], s[20:21], 2
	v_dual_mov_b32 v0, 0 :: v_dual_mov_b32 v1, 1
	s_add_nc_u64 s[0:1], s[14:15], s[0:1]
	s_lshl_b64 s[2:3], s[12:13], 2
	s_delay_alu instid0(SALU_CYCLE_1)
	s_add_nc_u64 s[0:1], s[0:1], s[2:3]
	global_store_b32 v0, v1, s[0:1] scope:SCOPE_DEV
.LBB93_48:
	s_endpgm
.LBB93_49:
                                        ; implicit-def: $sgpr22_sgpr23
	s_clause 0x1
	s_load_b64 s[8:9], s[0:1], 0x50
	s_load_b64 s[16:17], s[0:1], 0x20
	s_branch .LBB93_4
	.section	.rodata,"a",@progbits
	.p2align	6, 0x0
	.amdhsa_kernel _ZN9rocsparseL5csrsmILj1024ELj64ELb0EllfEEv20rocsparse_operation_T3_S2_NS_24const_host_device_scalarIT4_EEPKT2_PKS2_PKS4_PS4_lPiSA_PS2_21rocsparse_index_base_20rocsparse_fill_mode_20rocsparse_diag_type_b
		.amdhsa_group_segment_fixed_size 12288
		.amdhsa_private_segment_fixed_size 0
		.amdhsa_kernarg_size 112
		.amdhsa_user_sgpr_count 2
		.amdhsa_user_sgpr_dispatch_ptr 0
		.amdhsa_user_sgpr_queue_ptr 0
		.amdhsa_user_sgpr_kernarg_segment_ptr 1
		.amdhsa_user_sgpr_dispatch_id 0
		.amdhsa_user_sgpr_kernarg_preload_length 0
		.amdhsa_user_sgpr_kernarg_preload_offset 0
		.amdhsa_user_sgpr_private_segment_size 0
		.amdhsa_wavefront_size32 1
		.amdhsa_uses_dynamic_stack 0
		.amdhsa_enable_private_segment 0
		.amdhsa_system_sgpr_workgroup_id_x 1
		.amdhsa_system_sgpr_workgroup_id_y 0
		.amdhsa_system_sgpr_workgroup_id_z 0
		.amdhsa_system_sgpr_workgroup_info 0
		.amdhsa_system_vgpr_workitem_id 0
		.amdhsa_next_free_vgpr 19
		.amdhsa_next_free_sgpr 38
		.amdhsa_named_barrier_count 0
		.amdhsa_reserve_vcc 1
		.amdhsa_float_round_mode_32 0
		.amdhsa_float_round_mode_16_64 0
		.amdhsa_float_denorm_mode_32 3
		.amdhsa_float_denorm_mode_16_64 3
		.amdhsa_fp16_overflow 0
		.amdhsa_memory_ordered 1
		.amdhsa_forward_progress 1
		.amdhsa_inst_pref_size 18
		.amdhsa_round_robin_scheduling 0
		.amdhsa_exception_fp_ieee_invalid_op 0
		.amdhsa_exception_fp_denorm_src 0
		.amdhsa_exception_fp_ieee_div_zero 0
		.amdhsa_exception_fp_ieee_overflow 0
		.amdhsa_exception_fp_ieee_underflow 0
		.amdhsa_exception_fp_ieee_inexact 0
		.amdhsa_exception_int_div_zero 0
	.end_amdhsa_kernel
	.section	.text._ZN9rocsparseL5csrsmILj1024ELj64ELb0EllfEEv20rocsparse_operation_T3_S2_NS_24const_host_device_scalarIT4_EEPKT2_PKS2_PKS4_PS4_lPiSA_PS2_21rocsparse_index_base_20rocsparse_fill_mode_20rocsparse_diag_type_b,"axG",@progbits,_ZN9rocsparseL5csrsmILj1024ELj64ELb0EllfEEv20rocsparse_operation_T3_S2_NS_24const_host_device_scalarIT4_EEPKT2_PKS2_PKS4_PS4_lPiSA_PS2_21rocsparse_index_base_20rocsparse_fill_mode_20rocsparse_diag_type_b,comdat
.Lfunc_end93:
	.size	_ZN9rocsparseL5csrsmILj1024ELj64ELb0EllfEEv20rocsparse_operation_T3_S2_NS_24const_host_device_scalarIT4_EEPKT2_PKS2_PKS4_PS4_lPiSA_PS2_21rocsparse_index_base_20rocsparse_fill_mode_20rocsparse_diag_type_b, .Lfunc_end93-_ZN9rocsparseL5csrsmILj1024ELj64ELb0EllfEEv20rocsparse_operation_T3_S2_NS_24const_host_device_scalarIT4_EEPKT2_PKS2_PKS4_PS4_lPiSA_PS2_21rocsparse_index_base_20rocsparse_fill_mode_20rocsparse_diag_type_b
                                        ; -- End function
	.set _ZN9rocsparseL5csrsmILj1024ELj64ELb0EllfEEv20rocsparse_operation_T3_S2_NS_24const_host_device_scalarIT4_EEPKT2_PKS2_PKS4_PS4_lPiSA_PS2_21rocsparse_index_base_20rocsparse_fill_mode_20rocsparse_diag_type_b.num_vgpr, 19
	.set _ZN9rocsparseL5csrsmILj1024ELj64ELb0EllfEEv20rocsparse_operation_T3_S2_NS_24const_host_device_scalarIT4_EEPKT2_PKS2_PKS4_PS4_lPiSA_PS2_21rocsparse_index_base_20rocsparse_fill_mode_20rocsparse_diag_type_b.num_agpr, 0
	.set _ZN9rocsparseL5csrsmILj1024ELj64ELb0EllfEEv20rocsparse_operation_T3_S2_NS_24const_host_device_scalarIT4_EEPKT2_PKS2_PKS4_PS4_lPiSA_PS2_21rocsparse_index_base_20rocsparse_fill_mode_20rocsparse_diag_type_b.numbered_sgpr, 38
	.set _ZN9rocsparseL5csrsmILj1024ELj64ELb0EllfEEv20rocsparse_operation_T3_S2_NS_24const_host_device_scalarIT4_EEPKT2_PKS2_PKS4_PS4_lPiSA_PS2_21rocsparse_index_base_20rocsparse_fill_mode_20rocsparse_diag_type_b.num_named_barrier, 0
	.set _ZN9rocsparseL5csrsmILj1024ELj64ELb0EllfEEv20rocsparse_operation_T3_S2_NS_24const_host_device_scalarIT4_EEPKT2_PKS2_PKS4_PS4_lPiSA_PS2_21rocsparse_index_base_20rocsparse_fill_mode_20rocsparse_diag_type_b.private_seg_size, 0
	.set _ZN9rocsparseL5csrsmILj1024ELj64ELb0EllfEEv20rocsparse_operation_T3_S2_NS_24const_host_device_scalarIT4_EEPKT2_PKS2_PKS4_PS4_lPiSA_PS2_21rocsparse_index_base_20rocsparse_fill_mode_20rocsparse_diag_type_b.uses_vcc, 1
	.set _ZN9rocsparseL5csrsmILj1024ELj64ELb0EllfEEv20rocsparse_operation_T3_S2_NS_24const_host_device_scalarIT4_EEPKT2_PKS2_PKS4_PS4_lPiSA_PS2_21rocsparse_index_base_20rocsparse_fill_mode_20rocsparse_diag_type_b.uses_flat_scratch, 0
	.set _ZN9rocsparseL5csrsmILj1024ELj64ELb0EllfEEv20rocsparse_operation_T3_S2_NS_24const_host_device_scalarIT4_EEPKT2_PKS2_PKS4_PS4_lPiSA_PS2_21rocsparse_index_base_20rocsparse_fill_mode_20rocsparse_diag_type_b.has_dyn_sized_stack, 0
	.set _ZN9rocsparseL5csrsmILj1024ELj64ELb0EllfEEv20rocsparse_operation_T3_S2_NS_24const_host_device_scalarIT4_EEPKT2_PKS2_PKS4_PS4_lPiSA_PS2_21rocsparse_index_base_20rocsparse_fill_mode_20rocsparse_diag_type_b.has_recursion, 0
	.set _ZN9rocsparseL5csrsmILj1024ELj64ELb0EllfEEv20rocsparse_operation_T3_S2_NS_24const_host_device_scalarIT4_EEPKT2_PKS2_PKS4_PS4_lPiSA_PS2_21rocsparse_index_base_20rocsparse_fill_mode_20rocsparse_diag_type_b.has_indirect_call, 0
	.section	.AMDGPU.csdata,"",@progbits
; Kernel info:
; codeLenInByte = 2300
; TotalNumSgprs: 40
; NumVgprs: 19
; ScratchSize: 0
; MemoryBound: 0
; FloatMode: 240
; IeeeMode: 1
; LDSByteSize: 12288 bytes/workgroup (compile time only)
; SGPRBlocks: 0
; VGPRBlocks: 1
; NumSGPRsForWavesPerEU: 40
; NumVGPRsForWavesPerEU: 19
; NamedBarCnt: 0
; Occupancy: 16
; WaveLimiterHint : 1
; COMPUTE_PGM_RSRC2:SCRATCH_EN: 0
; COMPUTE_PGM_RSRC2:USER_SGPR: 2
; COMPUTE_PGM_RSRC2:TRAP_HANDLER: 0
; COMPUTE_PGM_RSRC2:TGID_X_EN: 1
; COMPUTE_PGM_RSRC2:TGID_Y_EN: 0
; COMPUTE_PGM_RSRC2:TGID_Z_EN: 0
; COMPUTE_PGM_RSRC2:TIDIG_COMP_CNT: 0
	.section	.text._ZN9rocsparseL5csrsmILj64ELj64ELb1ElldEEv20rocsparse_operation_T3_S2_NS_24const_host_device_scalarIT4_EEPKT2_PKS2_PKS4_PS4_lPiSA_PS2_21rocsparse_index_base_20rocsparse_fill_mode_20rocsparse_diag_type_b,"axG",@progbits,_ZN9rocsparseL5csrsmILj64ELj64ELb1ElldEEv20rocsparse_operation_T3_S2_NS_24const_host_device_scalarIT4_EEPKT2_PKS2_PKS4_PS4_lPiSA_PS2_21rocsparse_index_base_20rocsparse_fill_mode_20rocsparse_diag_type_b,comdat
	.globl	_ZN9rocsparseL5csrsmILj64ELj64ELb1ElldEEv20rocsparse_operation_T3_S2_NS_24const_host_device_scalarIT4_EEPKT2_PKS2_PKS4_PS4_lPiSA_PS2_21rocsparse_index_base_20rocsparse_fill_mode_20rocsparse_diag_type_b ; -- Begin function _ZN9rocsparseL5csrsmILj64ELj64ELb1ElldEEv20rocsparse_operation_T3_S2_NS_24const_host_device_scalarIT4_EEPKT2_PKS2_PKS4_PS4_lPiSA_PS2_21rocsparse_index_base_20rocsparse_fill_mode_20rocsparse_diag_type_b
	.p2align	8
	.type	_ZN9rocsparseL5csrsmILj64ELj64ELb1ElldEEv20rocsparse_operation_T3_S2_NS_24const_host_device_scalarIT4_EEPKT2_PKS2_PKS4_PS4_lPiSA_PS2_21rocsparse_index_base_20rocsparse_fill_mode_20rocsparse_diag_type_b,@function
_ZN9rocsparseL5csrsmILj64ELj64ELb1ElldEEv20rocsparse_operation_T3_S2_NS_24const_host_device_scalarIT4_EEPKT2_PKS2_PKS4_PS4_lPiSA_PS2_21rocsparse_index_base_20rocsparse_fill_mode_20rocsparse_diag_type_b: ; @_ZN9rocsparseL5csrsmILj64ELj64ELb1ElldEEv20rocsparse_operation_T3_S2_NS_24const_host_device_scalarIT4_EEPKT2_PKS2_PKS4_PS4_lPiSA_PS2_21rocsparse_index_base_20rocsparse_fill_mode_20rocsparse_diag_type_b
; %bb.0:
	s_clause 0x2
	s_load_b128 s[4:7], s[0:1], 0x60
	s_load_b64 s[2:3], s[0:1], 0x18
	s_load_b128 s[12:15], s[0:1], 0x8
	s_wait_kmcnt 0x0
	s_bitcmp1_b32 s7, 0
	v_mov_b64_e32 v[2:3], s[2:3]
	s_cselect_b32 s7, -1, 0
	s_delay_alu instid0(SALU_CYCLE_1)
	s_and_b32 vcc_lo, exec_lo, s7
	s_cbranch_vccnz .LBB94_2
; %bb.1:
	v_mov_b32_e32 v1, 0
	flat_load_b64 v[2:3], v1, s[2:3]
.LBB94_2:
	s_wait_xcnt 0x0
	s_bfe_u32 s2, ttmp6, 0x4000c
	s_and_b32 s3, ttmp6, 15
	s_add_co_i32 s2, s2, 1
	s_getreg_b32 s7, hwreg(HW_REG_IB_STS2, 6, 4)
	s_mul_i32 s2, ttmp9, s2
	s_delay_alu instid0(SALU_CYCLE_1)
	s_add_co_i32 s3, s3, s2
	s_cmp_eq_u32 s7, 0
	s_cselect_b32 s2, ttmp9, s3
	s_and_b64 s[8:9], s[12:13], 0xffffffff00000000
	s_mov_b32 s3, 0
	s_cmp_lg_u64 s[8:9], 0
	s_cbranch_scc0 .LBB94_52
; %bb.3:
	s_ashr_i32 s8, s13, 31
	s_mov_b32 s21, s3
	s_mov_b32 s9, s8
	;; [unrolled: 1-line block ×3, first 2 shown]
	s_add_nc_u64 s[10:11], s[12:13], s[8:9]
	s_delay_alu instid0(SALU_CYCLE_1) | instskip(NEXT) | instid1(SALU_CYCLE_1)
	s_xor_b64 s[10:11], s[10:11], s[8:9]
	s_cvt_f32_u32 s7, s10
	s_cvt_f32_u32 s16, s11
	s_sub_nc_u64 s[18:19], 0, s[10:11]
	s_delay_alu instid0(SALU_CYCLE_2) | instskip(NEXT) | instid1(SALU_CYCLE_3)
	s_fmamk_f32 s7, s16, 0x4f800000, s7
	v_s_rcp_f32 s7, s7
	s_delay_alu instid0(TRANS32_DEP_1) | instskip(NEXT) | instid1(SALU_CYCLE_3)
	s_mul_f32 s7, s7, 0x5f7ffffc
	s_mul_f32 s16, s7, 0x2f800000
	s_delay_alu instid0(SALU_CYCLE_3) | instskip(NEXT) | instid1(SALU_CYCLE_3)
	s_trunc_f32 s16, s16
	s_fmamk_f32 s7, s16, 0xcf800000, s7
	s_cvt_u32_f32 s17, s16
	s_delay_alu instid0(SALU_CYCLE_2) | instskip(NEXT) | instid1(SALU_CYCLE_3)
	s_cvt_u32_f32 s16, s7
	s_mul_u64 s[22:23], s[18:19], s[16:17]
	s_delay_alu instid0(SALU_CYCLE_1)
	s_mul_hi_u32 s27, s16, s23
	s_mul_i32 s26, s16, s23
	s_mul_hi_u32 s20, s16, s22
	s_mul_i32 s24, s17, s22
	s_add_nc_u64 s[20:21], s[20:21], s[26:27]
	s_mul_hi_u32 s7, s17, s22
	s_mul_hi_u32 s28, s17, s23
	s_add_co_u32 s20, s20, s24
	s_add_co_ci_u32 s24, s21, s7
	s_mul_i32 s22, s17, s23
	s_add_co_ci_u32 s23, s28, 0
	s_delay_alu instid0(SALU_CYCLE_1) | instskip(SKIP_3) | instid1(SALU_CYCLE_1)
	s_add_nc_u64 s[20:21], s[24:25], s[22:23]
	s_mov_b32 s23, s3
	s_add_co_u32 s16, s16, s20
	s_cselect_b32 s7, -1, 0
	s_cmp_lg_u32 s7, 0
	s_add_co_ci_u32 s17, s17, s21
	s_mov_b32 s21, s3
	s_mul_u64 s[18:19], s[18:19], s[16:17]
	s_delay_alu instid0(SALU_CYCLE_1)
	s_mul_hi_u32 s25, s16, s19
	s_mul_i32 s24, s16, s19
	s_mul_hi_u32 s20, s16, s18
	s_mul_i32 s22, s17, s18
	s_add_nc_u64 s[20:21], s[20:21], s[24:25]
	s_mul_hi_u32 s7, s17, s18
	s_mul_hi_u32 s26, s17, s19
	s_mul_i32 s18, s17, s19
	s_add_co_u32 s19, s20, s22
	s_add_co_ci_u32 s22, s21, s7
	s_add_co_ci_u32 s19, s26, 0
	s_add_nc_u64 s[20:21], s[2:3], 0
	s_add_nc_u64 s[18:19], s[22:23], s[18:19]
	s_delay_alu instid0(SALU_CYCLE_1) | instskip(SKIP_1) | instid1(SALU_CYCLE_1)
	s_add_co_u32 s7, s16, s18
	s_cselect_b32 s16, -1, 0
	s_cmp_lg_u32 s16, 0
	s_add_co_ci_u32 s18, s17, s19
	s_xor_b64 s[16:17], s[20:21], 0
	s_mov_b32 s19, s3
	s_mul_hi_u32 s21, s16, s18
	s_mul_i32 s20, s16, s18
	s_mul_hi_u32 s22, s16, s7
	s_mul_hi_u32 s25, s17, s7
	s_mul_i32 s7, s17, s7
	s_add_nc_u64 s[20:21], s[22:23], s[20:21]
	s_mul_hi_u32 s24, s17, s18
	s_add_co_u32 s7, s20, s7
	s_mul_i32 s22, s17, s18
	s_add_co_ci_u32 s18, s21, s25
	s_add_co_ci_u32 s23, s24, 0
	s_delay_alu instid0(SALU_CYCLE_1) | instskip(NEXT) | instid1(SALU_CYCLE_1)
	s_add_nc_u64 s[18:19], s[18:19], s[22:23]
	s_and_b64 s[20:21], s[18:19], 0xffffffff00000000
	s_delay_alu instid0(SALU_CYCLE_1) | instskip(NEXT) | instid1(SALU_CYCLE_1)
	s_or_b32 s20, s20, s18
	s_mul_u64 s[18:19], s[10:11], s[20:21]
	s_delay_alu instid0(SALU_CYCLE_1)
	s_sub_co_u32 s7, s16, s18
	s_cselect_b32 s16, -1, 0
	s_sub_co_i32 s18, s17, s19
	s_cmp_lg_u32 s16, 0
	s_sub_co_ci_u32 s18, s18, s11
	s_sub_co_u32 s22, s7, s10
	s_cselect_b32 s23, -1, 0
	s_delay_alu instid0(SALU_CYCLE_1) | instskip(SKIP_1) | instid1(SALU_CYCLE_1)
	s_cmp_lg_u32 s23, 0
	s_sub_co_ci_u32 s18, s18, 0
	s_cmp_ge_u32 s18, s11
	s_cselect_b32 s24, -1, 0
	s_cmp_ge_u32 s22, s10
	s_add_nc_u64 s[22:23], s[20:21], 1
	s_cselect_b32 s25, -1, 0
	s_cmp_eq_u32 s18, s11
	s_cselect_b32 s18, s25, s24
	s_add_nc_u64 s[24:25], s[20:21], 2
	s_cmp_lg_u32 s18, 0
	s_cselect_b32 s18, s24, s22
	s_cselect_b32 s22, s25, s23
	s_cmp_lg_u32 s16, 0
	s_sub_co_ci_u32 s16, s17, s19
	s_delay_alu instid0(SALU_CYCLE_1)
	s_cmp_ge_u32 s16, s11
	s_cselect_b32 s17, -1, 0
	s_cmp_ge_u32 s7, s10
	s_cselect_b32 s7, -1, 0
	s_cmp_eq_u32 s16, s11
	s_cselect_b32 s7, s7, s17
	s_delay_alu instid0(SALU_CYCLE_1) | instskip(SKIP_4) | instid1(SALU_CYCLE_1)
	s_cmp_lg_u32 s7, 0
	s_mov_b32 s7, s3
	s_cselect_b32 s11, s22, s21
	s_cselect_b32 s10, s18, s20
	s_xor_b64 s[8:9], 0, s[8:9]
	s_xor_b64 s[10:11], s[10:11], s[8:9]
	s_delay_alu instid0(SALU_CYCLE_1)
	s_sub_nc_u64 s[22:23], s[10:11], s[8:9]
	s_clause 0x1
	s_load_b64 s[8:9], s[0:1], 0x50
	s_load_b64 s[16:17], s[0:1], 0x20
	s_and_not1_b32 vcc_lo, exec_lo, s7
	s_cbranch_vccnz .LBB94_5
.LBB94_4:
	v_cvt_f32_u32_e32 v1, s12
	s_sub_co_i32 s10, 0, s12
	s_mov_b32 s23, 0
	s_delay_alu instid0(VALU_DEP_1) | instskip(SKIP_1) | instid1(TRANS32_DEP_1)
	v_rcp_iflag_f32_e32 v1, v1
	v_nop
	v_mul_f32_e32 v1, 0x4f7ffffe, v1
	s_delay_alu instid0(VALU_DEP_1) | instskip(NEXT) | instid1(VALU_DEP_1)
	v_cvt_u32_f32_e32 v1, v1
	v_readfirstlane_b32 s7, v1
	s_mul_i32 s10, s10, s7
	s_delay_alu instid0(SALU_CYCLE_1) | instskip(NEXT) | instid1(SALU_CYCLE_1)
	s_mul_hi_u32 s10, s7, s10
	s_add_co_i32 s7, s7, s10
	s_delay_alu instid0(SALU_CYCLE_1) | instskip(NEXT) | instid1(SALU_CYCLE_1)
	s_mul_hi_u32 s7, s2, s7
	s_mul_i32 s10, s7, s12
	s_add_co_i32 s11, s7, 1
	s_sub_co_i32 s10, s2, s10
	s_delay_alu instid0(SALU_CYCLE_1)
	s_sub_co_i32 s18, s10, s12
	s_cmp_ge_u32 s10, s12
	s_cselect_b32 s7, s11, s7
	s_cselect_b32 s10, s18, s10
	s_add_co_i32 s11, s7, 1
	s_cmp_ge_u32 s10, s12
	s_cselect_b32 s22, s11, s7
.LBB94_5:
	s_delay_alu instid0(SALU_CYCLE_1)
	s_mul_u64 s[12:13], s[22:23], s[12:13]
	v_mov_b64_e32 v[6:7], 0
	s_sub_nc_u64 s[2:3], s[2:3], s[12:13]
	v_mov_b32_e32 v1, 0
	s_lshl_b64 s[2:3], s[2:3], 3
	s_wait_kmcnt 0x0
	s_add_nc_u64 s[2:3], s[8:9], s[2:3]
	s_load_b128 s[8:11], s[0:1], 0x38
	s_load_b64 s[20:21], s[2:3], 0x0
	s_wait_kmcnt 0x0
	s_lshl_b64 s[2:3], s[20:21], 3
	s_delay_alu instid0(SALU_CYCLE_1)
	s_add_nc_u64 s[2:3], s[16:17], s[2:3]
	s_load_b128 s[16:19], s[2:3], 0x0
	s_wait_xcnt 0x0
	s_lshl_b64 s[2:3], s[22:23], 6
	s_mul_u64 s[22:23], s[20:21], s[10:11]
	v_dual_mov_b32 v5, s3 :: v_dual_bitop2_b32 v4, s2, v0 bitop3:0x54
	s_delay_alu instid0(VALU_DEP_1)
	v_cmp_gt_i64_e64 s2, s[14:15], v[4:5]
	s_and_saveexec_b32 s3, s2
	s_cbranch_execz .LBB94_7
; %bb.6:
	v_add_nc_u64_e32 v[6:7], s[22:23], v[4:5]
	s_delay_alu instid0(VALU_DEP_1)
	v_lshl_add_u64 v[6:7], v[6:7], 3, s[8:9]
	global_load_b64 v[6:7], v[6:7], off
	s_wait_loadcnt_dscnt 0x0
	v_mul_f64_e32 v[6:7], v[2:3], v[6:7]
.LBB94_7:
	s_or_b32 exec_lo, exec_lo, s3
	s_load_b64 s[14:15], s[0:1], 0x48
	s_wait_kmcnt 0x0
	v_cmp_ge_i64_e64 s3, s[16:17], s[18:19]
	v_mov_b64_e32 v[16:17], 1.0
	s_wait_loadcnt_dscnt 0x0
	v_lshl_add_u64 v[2:3], v[4:5], 3, s[8:9]
	s_and_b32 vcc_lo, exec_lo, s3
	v_cmp_eq_u32_e64 s3, 0, v0
	s_cbranch_vccnz .LBB94_46
; %bb.8:
	s_clause 0x1
	s_load_b128 s[28:31], s[0:1], 0x28
	s_load_b64 s[8:9], s[0:1], 0x58
	v_dual_mov_b32 v5, 0 :: v_dual_lshlrev_b32 v4, 3, v0
	s_wait_xcnt 0x0
	s_lshl_b64 s[0:1], s[12:13], 2
	v_mov_b64_e32 v[12:13], 1.0
	s_mov_b32 s25, 0
	s_mov_b32 s24, s4
	s_cmp_lg_u32 s6, 0
	s_add_nc_u64 s[26:27], s[14:15], s[0:1]
	v_or_b32_e32 v20, 0x200, v4
	v_cmp_ne_u32_e64 s0, 0, v0
	s_sub_nc_u64 s[16:17], s[16:17], s[24:25]
	s_cselect_b32 s4, -1, 0
	s_cmp_eq_u32 s6, 0
	s_sub_nc_u64 s[18:19], s[18:19], s[24:25]
	s_cselect_b32 s1, -1, 0
	s_wait_kmcnt 0x0
	v_add_nc_u64_e32 v[8:9], s[28:29], v[4:5]
	v_add_nc_u64_e32 v[10:11], s[30:31], v[4:5]
	s_add_nc_u64 s[28:29], s[20:21], s[24:25]
	s_mov_b64 s[30:31], s[16:17]
	s_delay_alu instid0(SALU_CYCLE_1) | instskip(NEXT) | instid1(SALU_CYCLE_1)
	s_sub_co_i32 s7, s30, s16
	s_and_b32 s7, s7, 63
	s_delay_alu instid0(SALU_CYCLE_1)
	s_cmp_lg_u32 s7, 0
	s_cbranch_scc1 .LBB94_12
.LBB94_9:
	v_mov_b64_e32 v[14:15], -1.0
	v_mov_b64_e32 v[16:17], -1
	s_sub_nc_u64 s[34:35], s[18:19], s[30:31]
	s_mov_b32 s17, exec_lo
	v_cmpx_gt_i64_e64 s[34:35], v[0:1]
	s_cbranch_execz .LBB94_11
; %bb.10:
	s_lshl_b64 s[34:35], s[30:31], 3
	s_delay_alu instid0(SALU_CYCLE_1)
	v_add_nc_u64_e32 v[14:15], s[34:35], v[8:9]
	global_load_b64 v[16:17], v[14:15], off
	s_wait_xcnt 0x0
	v_add_nc_u64_e32 v[14:15], s[34:35], v[10:11]
	global_load_b64 v[14:15], v[14:15], off
	s_wait_loadcnt 0x1
	v_sub_nc_u64_e64 v[16:17], v[16:17], s[24:25]
.LBB94_11:
	s_wait_xcnt 0x0
	s_or_b32 exec_lo, exec_lo, s17
	ds_store_b64 v4, v[16:17]
	s_wait_loadcnt 0x0
	ds_store_b64 v20, v[14:15]
.LBB94_12:                              ; =>This Loop Header: Depth=1
                                        ;     Child Loop BB94_44 Depth 2
                                        ;       Child Loop BB94_45 Depth 3
	s_lshl_b32 s7, s7, 3
	s_wait_dscnt 0x0
	v_mov_b32_e32 v14, s7
	s_barrier_signal -1
	s_barrier_wait -1
	ds_load_2addr_stride64_b64 v[14:17], v14 offset1:1
	s_wait_dscnt 0x0
	v_cmp_neq_f64_e32 vcc_lo, 0, v[16:17]
	v_readfirstlane_b32 s34, v14
	v_readfirstlane_b32 s35, v15
	s_cmp_lg_u64 s[34:35], s[20:21]
	s_cselect_b32 s7, -1, 0
	s_delay_alu instid0(SALU_CYCLE_1) | instskip(NEXT) | instid1(SALU_CYCLE_1)
	s_or_b32 s7, s4, s7
	s_or_b32 vcc_lo, vcc_lo, s7
	v_cndmask_b32_e32 v15, 0x3ff00000, v17, vcc_lo
	v_cndmask_b32_e32 v14, 0, v16, vcc_lo
	s_nor_b32 s17, s0, vcc_lo
	s_delay_alu instid0(SALU_CYCLE_1)
	s_and_saveexec_b32 s7, s17
	s_cbranch_execz .LBB94_16
; %bb.13:                               ;   in Loop: Header=BB94_12 Depth=1
	v_mbcnt_lo_u32_b32 v14, exec_lo, 0
	s_mov_b32 s17, exec_lo
	s_delay_alu instid0(VALU_DEP_1)
	v_cmpx_eq_u32_e32 0, v14
	s_cbranch_execz .LBB94_15
; %bb.14:                               ;   in Loop: Header=BB94_12 Depth=1
	v_mov_b64_e32 v[14:15], s[28:29]
	global_atomic_min_u64 v5, v[14:15], s[8:9] scope:SCOPE_DEV
.LBB94_15:                              ;   in Loop: Header=BB94_12 Depth=1
	s_wait_xcnt 0x0
	s_or_b32 exec_lo, exec_lo, s17
	v_mov_b64_e32 v[14:15], 1.0
.LBB94_16:                              ;   in Loop: Header=BB94_12 Depth=1
	s_or_b32 exec_lo, exec_lo, s7
	s_mov_b32 s33, -1
	s_mov_b32 s7, 0
	s_cmp_lt_i32 s5, 1
	s_mov_b32 s17, 0
                                        ; implicit-def: $vgpr16_vgpr17
	s_cbranch_scc0 .LBB94_23
; %bb.17:                               ;   in Loop: Header=BB94_12 Depth=1
	s_and_b32 vcc_lo, exec_lo, s33
	s_mov_b32 s33, 4
	s_cbranch_vccnz .LBB94_28
.LBB94_18:                              ;   in Loop: Header=BB94_12 Depth=1
	v_mov_b64_e32 v[18:19], v[6:7]
	s_and_b32 vcc_lo, exec_lo, s17
	s_cbranch_vccnz .LBB94_33
.LBB94_19:                              ;   in Loop: Header=BB94_12 Depth=1
	s_and_b32 vcc_lo, exec_lo, s7
	s_cbranch_vccnz .LBB94_38
.LBB94_20:                              ;   in Loop: Header=BB94_12 Depth=1
	s_mov_b32 s7, -1
	s_cmp_gt_i32 s33, 3
	s_mov_b32 s17, -1
	s_cbranch_scc0 .LBB94_39
.LBB94_21:                              ;   in Loop: Header=BB94_12 Depth=1
	s_and_not1_b32 vcc_lo, exec_lo, s17
	s_cbranch_vccz .LBB94_40
.LBB94_22:                              ;   in Loop: Header=BB94_12 Depth=1
	s_and_not1_b32 vcc_lo, exec_lo, s7
	s_cbranch_vccnz .LBB94_41
	s_branch .LBB94_47
.LBB94_23:                              ;   in Loop: Header=BB94_12 Depth=1
	s_cmp_eq_u32 s5, 1
	s_mov_b32 s17, -1
                                        ; implicit-def: $vgpr16_vgpr17
	s_cbranch_scc0 .LBB94_27
; %bb.24:                               ;   in Loop: Header=BB94_12 Depth=1
	v_cmp_ge_i64_e64 s17, s[34:35], s[20:21]
	v_mov_b64_e32 v[16:17], v[12:13]
	s_and_b32 vcc_lo, exec_lo, s17
	s_mov_b32 s17, 0
	s_cbranch_vccz .LBB94_27
; %bb.25:                               ;   in Loop: Header=BB94_12 Depth=1
	s_cmp_eq_u64 s[34:35], s[20:21]
	s_mov_b32 s17, -1
                                        ; implicit-def: $vgpr16_vgpr17
	s_cbranch_scc0 .LBB94_27
; %bb.26:                               ;   in Loop: Header=BB94_12 Depth=1
	v_div_scale_f64 v[16:17], null, v[14:15], v[14:15], 1.0
	v_div_scale_f64 v[24:25], vcc_lo, 1.0, v[14:15], 1.0
	s_mov_b32 s17, 0
	v_rcp_f64_e32 v[18:19], v[16:17]
	v_nop
	s_delay_alu instid0(TRANS32_DEP_1) | instskip(NEXT) | instid1(VALU_DEP_1)
	v_fma_f64 v[22:23], -v[16:17], v[18:19], 1.0
	v_fmac_f64_e32 v[18:19], v[18:19], v[22:23]
	s_delay_alu instid0(VALU_DEP_1) | instskip(NEXT) | instid1(VALU_DEP_1)
	v_fma_f64 v[22:23], -v[16:17], v[18:19], 1.0
	v_fmac_f64_e32 v[18:19], v[18:19], v[22:23]
	s_delay_alu instid0(VALU_DEP_1) | instskip(NEXT) | instid1(VALU_DEP_1)
	v_mul_f64_e32 v[22:23], v[24:25], v[18:19]
	v_fma_f64 v[16:17], -v[16:17], v[22:23], v[24:25]
	s_delay_alu instid0(VALU_DEP_1) | instskip(NEXT) | instid1(VALU_DEP_1)
	v_div_fmas_f64 v[16:17], v[16:17], v[18:19], v[22:23]
	v_div_fixup_f64 v[16:17], v[16:17], v[14:15], 1.0
	s_delay_alu instid0(VALU_DEP_1)
	v_dual_cndmask_b32 v17, v13, v17, s1 :: v_dual_cndmask_b32 v16, v12, v16, s1
.LBB94_27:                              ;   in Loop: Header=BB94_12 Depth=1
	s_mov_b32 s33, 4
	s_branch .LBB94_18
.LBB94_28:                              ;   in Loop: Header=BB94_12 Depth=1
	s_cmp_eq_u32 s5, 0
	s_cbranch_scc1 .LBB94_30
; %bb.29:                               ;   in Loop: Header=BB94_12 Depth=1
	s_mov_b32 s17, -1
	s_branch .LBB94_32
.LBB94_30:                              ;   in Loop: Header=BB94_12 Depth=1
	v_cmp_le_i64_e64 s17, s[34:35], s[20:21]
	s_and_b32 vcc_lo, exec_lo, s17
	s_mov_b32 s17, 0
	s_cbranch_vccz .LBB94_32
; %bb.31:                               ;   in Loop: Header=BB94_12 Depth=1
	s_cmp_lg_u64 s[34:35], s[20:21]
	s_mov_b32 s7, -1
	s_cselect_b32 s17, -1, 0
.LBB94_32:                              ;   in Loop: Header=BB94_12 Depth=1
	v_mov_b64_e32 v[16:17], v[12:13]
	s_mov_b32 s33, 2
	v_mov_b64_e32 v[18:19], v[6:7]
	s_and_b32 vcc_lo, exec_lo, s17
	s_cbranch_vccz .LBB94_19
.LBB94_33:                              ;   in Loop: Header=BB94_12 Depth=1
	s_and_saveexec_b32 s7, s3
	s_cbranch_execz .LBB94_35
; %bb.34:                               ;   in Loop: Header=BB94_12 Depth=1
	s_lshl_b64 s[36:37], s[34:35], 2
	s_delay_alu instid0(SALU_CYCLE_1)
	s_add_nc_u64 s[36:37], s[26:27], s[36:37]
	global_load_b32 v16, v5, s[36:37] scope:SCOPE_DEV
	s_wait_loadcnt 0x0
	v_cmp_ne_u32_e32 vcc_lo, 0, v16
	s_cbranch_vccz .LBB94_42
.LBB94_35:                              ;   in Loop: Header=BB94_12 Depth=1
	s_wait_xcnt 0x0
	s_or_b32 exec_lo, exec_lo, s7
	v_mov_b64_e32 v[18:19], 0
	s_wait_storecnt 0x0
	s_barrier_signal -1
	s_barrier_wait -1
	global_inv scope:SCOPE_DEV
	s_and_saveexec_b32 s7, s2
	s_cbranch_execz .LBB94_37
; %bb.36:                               ;   in Loop: Header=BB94_12 Depth=1
	s_mul_u64 s[34:35], s[34:35], s[10:11]
	s_delay_alu instid0(SALU_CYCLE_1)
	v_lshl_add_u64 v[16:17], s[34:35], 3, v[2:3]
	global_load_b64 v[16:17], v[16:17], off
	s_wait_loadcnt 0x0
	v_fma_f64 v[18:19], -v[14:15], v[16:17], v[6:7]
.LBB94_37:                              ;   in Loop: Header=BB94_12 Depth=1
	s_or_b32 exec_lo, exec_lo, s7
	v_mov_b64_e32 v[16:17], v[12:13]
	s_mov_b32 s33, 0
	s_branch .LBB94_20
.LBB94_38:                              ;   in Loop: Header=BB94_12 Depth=1
	v_div_scale_f64 v[16:17], null, v[14:15], v[14:15], 1.0
	v_div_scale_f64 v[24:25], vcc_lo, 1.0, v[14:15], 1.0
	s_mov_b32 s33, 2
	v_rcp_f64_e32 v[18:19], v[16:17]
	v_nop
	s_delay_alu instid0(TRANS32_DEP_1) | instskip(NEXT) | instid1(VALU_DEP_1)
	v_fma_f64 v[22:23], -v[16:17], v[18:19], 1.0
	v_fmac_f64_e32 v[18:19], v[18:19], v[22:23]
	s_delay_alu instid0(VALU_DEP_1) | instskip(NEXT) | instid1(VALU_DEP_1)
	v_fma_f64 v[22:23], -v[16:17], v[18:19], 1.0
	v_fmac_f64_e32 v[18:19], v[18:19], v[22:23]
	s_delay_alu instid0(VALU_DEP_1) | instskip(NEXT) | instid1(VALU_DEP_1)
	v_mul_f64_e32 v[22:23], v[24:25], v[18:19]
	v_fma_f64 v[16:17], -v[16:17], v[22:23], v[24:25]
	s_delay_alu instid0(VALU_DEP_1) | instskip(SKIP_1) | instid1(VALU_DEP_2)
	v_div_fmas_f64 v[16:17], v[16:17], v[18:19], v[22:23]
	v_mov_b64_e32 v[18:19], v[6:7]
	v_div_fixup_f64 v[14:15], v[16:17], v[14:15], 1.0
	s_delay_alu instid0(VALU_DEP_1)
	v_dual_cndmask_b32 v17, v13, v15, s1 :: v_dual_cndmask_b32 v16, v12, v14, s1
	s_mov_b32 s7, -1
	s_cmp_gt_i32 s33, 3
	s_mov_b32 s17, -1
	s_cbranch_scc1 .LBB94_21
.LBB94_39:                              ;   in Loop: Header=BB94_12 Depth=1
	s_cmp_eq_u32 s33, 0
	s_cselect_b32 s17, -1, 0
	s_delay_alu instid0(SALU_CYCLE_1)
	s_and_not1_b32 vcc_lo, exec_lo, s17
	s_cbranch_vccnz .LBB94_22
.LBB94_40:                              ;   in Loop: Header=BB94_12 Depth=1
	s_add_nc_u64 s[30:31], s[30:31], 1
	s_delay_alu instid0(SALU_CYCLE_1)
	v_cmp_ge_i64_e64 s7, s[30:31], s[18:19]
	s_and_not1_b32 vcc_lo, exec_lo, s7
	s_cbranch_vccz .LBB94_47
.LBB94_41:                              ;   in Loop: Header=BB94_12 Depth=1
	s_delay_alu instid0(VALU_DEP_1) | instskip(SKIP_2) | instid1(SALU_CYCLE_1)
	v_mov_b64_e32 v[6:7], v[18:19]
	v_mov_b64_e32 v[12:13], v[16:17]
	s_sub_co_i32 s7, s30, s16
	s_and_b32 s7, s7, 63
	s_delay_alu instid0(SALU_CYCLE_1)
	s_cmp_lg_u32 s7, 0
	s_cbranch_scc1 .LBB94_12
	s_branch .LBB94_9
.LBB94_42:                              ;   in Loop: Header=BB94_12 Depth=1
	s_mov_b32 s17, 0
	s_branch .LBB94_44
.LBB94_43:                              ;   in Loop: Header=BB94_44 Depth=2
	global_load_b32 v16, v5, s[36:37] scope:SCOPE_DEV
	s_cmp_lt_u32 s17, 0xf43
	s_cselect_b32 s33, -1, 0
	s_delay_alu instid0(SALU_CYCLE_1)
	s_cmp_lg_u32 s33, 0
	s_add_co_ci_u32 s17, s17, 0
	s_wait_loadcnt 0x0
	v_cmp_ne_u32_e32 vcc_lo, 0, v16
	s_cbranch_vccnz .LBB94_35
.LBB94_44:                              ;   Parent Loop BB94_12 Depth=1
                                        ; =>  This Loop Header: Depth=2
                                        ;       Child Loop BB94_45 Depth 3
	s_cmp_eq_u32 s17, 0
	s_mov_b32 s33, s17
	s_cbranch_scc1 .LBB94_43
.LBB94_45:                              ;   Parent Loop BB94_12 Depth=1
                                        ;     Parent Loop BB94_44 Depth=2
                                        ; =>    This Inner Loop Header: Depth=3
	s_add_co_i32 s33, s33, -1
	s_sleep 1
	s_cmp_eq_u32 s33, 0
	s_cbranch_scc0 .LBB94_45
	s_branch .LBB94_43
.LBB94_46:
	v_mov_b64_e32 v[18:19], v[6:7]
.LBB94_47:
	s_and_saveexec_b32 s0, s2
	s_cbranch_execz .LBB94_49
; %bb.48:
	s_delay_alu instid0(VALU_DEP_1) | instskip(SKIP_3) | instid1(VALU_DEP_2)
	v_mul_f64_e32 v[4:5], v[16:17], v[18:19]
	s_cmp_eq_u32 s6, 0
	v_lshl_add_u64 v[2:3], s[22:23], 3, v[2:3]
	s_cselect_b32 vcc_lo, -1, 0
	v_dual_cndmask_b32 v5, v19, v5 :: v_dual_cndmask_b32 v4, v18, v4
	global_store_b64 v[2:3], v[4:5], off
.LBB94_49:
	s_wait_xcnt 0x0
	s_or_b32 exec_lo, exec_lo, s0
	global_wb scope:SCOPE_DEV
	s_wait_loadcnt 0x0
	s_wait_storecnt 0x0
	global_inv scope:SCOPE_DEV
	s_wait_loadcnt 0x0
	s_barrier_signal -1
	s_barrier_wait -1
	s_mov_b32 s0, exec_lo
	v_cmpx_eq_u32_e32 0, v0
	s_cbranch_execz .LBB94_51
; %bb.50:
	s_lshl_b64 s[0:1], s[20:21], 2
	v_dual_mov_b32 v0, 0 :: v_dual_mov_b32 v1, 1
	s_add_nc_u64 s[0:1], s[14:15], s[0:1]
	s_lshl_b64 s[2:3], s[12:13], 2
	s_delay_alu instid0(SALU_CYCLE_1)
	s_add_nc_u64 s[0:1], s[0:1], s[2:3]
	global_store_b32 v0, v1, s[0:1] scope:SCOPE_DEV
.LBB94_51:
	s_endpgm
.LBB94_52:
                                        ; implicit-def: $sgpr22_sgpr23
	s_clause 0x1
	s_load_b64 s[8:9], s[0:1], 0x50
	s_load_b64 s[16:17], s[0:1], 0x20
	s_branch .LBB94_4
	.section	.rodata,"a",@progbits
	.p2align	6, 0x0
	.amdhsa_kernel _ZN9rocsparseL5csrsmILj64ELj64ELb1ElldEEv20rocsparse_operation_T3_S2_NS_24const_host_device_scalarIT4_EEPKT2_PKS2_PKS4_PS4_lPiSA_PS2_21rocsparse_index_base_20rocsparse_fill_mode_20rocsparse_diag_type_b
		.amdhsa_group_segment_fixed_size 1024
		.amdhsa_private_segment_fixed_size 0
		.amdhsa_kernarg_size 112
		.amdhsa_user_sgpr_count 2
		.amdhsa_user_sgpr_dispatch_ptr 0
		.amdhsa_user_sgpr_queue_ptr 0
		.amdhsa_user_sgpr_kernarg_segment_ptr 1
		.amdhsa_user_sgpr_dispatch_id 0
		.amdhsa_user_sgpr_kernarg_preload_length 0
		.amdhsa_user_sgpr_kernarg_preload_offset 0
		.amdhsa_user_sgpr_private_segment_size 0
		.amdhsa_wavefront_size32 1
		.amdhsa_uses_dynamic_stack 0
		.amdhsa_enable_private_segment 0
		.amdhsa_system_sgpr_workgroup_id_x 1
		.amdhsa_system_sgpr_workgroup_id_y 0
		.amdhsa_system_sgpr_workgroup_id_z 0
		.amdhsa_system_sgpr_workgroup_info 0
		.amdhsa_system_vgpr_workitem_id 0
		.amdhsa_next_free_vgpr 26
		.amdhsa_next_free_sgpr 38
		.amdhsa_named_barrier_count 0
		.amdhsa_reserve_vcc 1
		.amdhsa_float_round_mode_32 0
		.amdhsa_float_round_mode_16_64 0
		.amdhsa_float_denorm_mode_32 3
		.amdhsa_float_denorm_mode_16_64 3
		.amdhsa_fp16_overflow 0
		.amdhsa_memory_ordered 1
		.amdhsa_forward_progress 1
		.amdhsa_inst_pref_size 19
		.amdhsa_round_robin_scheduling 0
		.amdhsa_exception_fp_ieee_invalid_op 0
		.amdhsa_exception_fp_denorm_src 0
		.amdhsa_exception_fp_ieee_div_zero 0
		.amdhsa_exception_fp_ieee_overflow 0
		.amdhsa_exception_fp_ieee_underflow 0
		.amdhsa_exception_fp_ieee_inexact 0
		.amdhsa_exception_int_div_zero 0
	.end_amdhsa_kernel
	.section	.text._ZN9rocsparseL5csrsmILj64ELj64ELb1ElldEEv20rocsparse_operation_T3_S2_NS_24const_host_device_scalarIT4_EEPKT2_PKS2_PKS4_PS4_lPiSA_PS2_21rocsparse_index_base_20rocsparse_fill_mode_20rocsparse_diag_type_b,"axG",@progbits,_ZN9rocsparseL5csrsmILj64ELj64ELb1ElldEEv20rocsparse_operation_T3_S2_NS_24const_host_device_scalarIT4_EEPKT2_PKS2_PKS4_PS4_lPiSA_PS2_21rocsparse_index_base_20rocsparse_fill_mode_20rocsparse_diag_type_b,comdat
.Lfunc_end94:
	.size	_ZN9rocsparseL5csrsmILj64ELj64ELb1ElldEEv20rocsparse_operation_T3_S2_NS_24const_host_device_scalarIT4_EEPKT2_PKS2_PKS4_PS4_lPiSA_PS2_21rocsparse_index_base_20rocsparse_fill_mode_20rocsparse_diag_type_b, .Lfunc_end94-_ZN9rocsparseL5csrsmILj64ELj64ELb1ElldEEv20rocsparse_operation_T3_S2_NS_24const_host_device_scalarIT4_EEPKT2_PKS2_PKS4_PS4_lPiSA_PS2_21rocsparse_index_base_20rocsparse_fill_mode_20rocsparse_diag_type_b
                                        ; -- End function
	.set _ZN9rocsparseL5csrsmILj64ELj64ELb1ElldEEv20rocsparse_operation_T3_S2_NS_24const_host_device_scalarIT4_EEPKT2_PKS2_PKS4_PS4_lPiSA_PS2_21rocsparse_index_base_20rocsparse_fill_mode_20rocsparse_diag_type_b.num_vgpr, 26
	.set _ZN9rocsparseL5csrsmILj64ELj64ELb1ElldEEv20rocsparse_operation_T3_S2_NS_24const_host_device_scalarIT4_EEPKT2_PKS2_PKS4_PS4_lPiSA_PS2_21rocsparse_index_base_20rocsparse_fill_mode_20rocsparse_diag_type_b.num_agpr, 0
	.set _ZN9rocsparseL5csrsmILj64ELj64ELb1ElldEEv20rocsparse_operation_T3_S2_NS_24const_host_device_scalarIT4_EEPKT2_PKS2_PKS4_PS4_lPiSA_PS2_21rocsparse_index_base_20rocsparse_fill_mode_20rocsparse_diag_type_b.numbered_sgpr, 38
	.set _ZN9rocsparseL5csrsmILj64ELj64ELb1ElldEEv20rocsparse_operation_T3_S2_NS_24const_host_device_scalarIT4_EEPKT2_PKS2_PKS4_PS4_lPiSA_PS2_21rocsparse_index_base_20rocsparse_fill_mode_20rocsparse_diag_type_b.num_named_barrier, 0
	.set _ZN9rocsparseL5csrsmILj64ELj64ELb1ElldEEv20rocsparse_operation_T3_S2_NS_24const_host_device_scalarIT4_EEPKT2_PKS2_PKS4_PS4_lPiSA_PS2_21rocsparse_index_base_20rocsparse_fill_mode_20rocsparse_diag_type_b.private_seg_size, 0
	.set _ZN9rocsparseL5csrsmILj64ELj64ELb1ElldEEv20rocsparse_operation_T3_S2_NS_24const_host_device_scalarIT4_EEPKT2_PKS2_PKS4_PS4_lPiSA_PS2_21rocsparse_index_base_20rocsparse_fill_mode_20rocsparse_diag_type_b.uses_vcc, 1
	.set _ZN9rocsparseL5csrsmILj64ELj64ELb1ElldEEv20rocsparse_operation_T3_S2_NS_24const_host_device_scalarIT4_EEPKT2_PKS2_PKS4_PS4_lPiSA_PS2_21rocsparse_index_base_20rocsparse_fill_mode_20rocsparse_diag_type_b.uses_flat_scratch, 0
	.set _ZN9rocsparseL5csrsmILj64ELj64ELb1ElldEEv20rocsparse_operation_T3_S2_NS_24const_host_device_scalarIT4_EEPKT2_PKS2_PKS4_PS4_lPiSA_PS2_21rocsparse_index_base_20rocsparse_fill_mode_20rocsparse_diag_type_b.has_dyn_sized_stack, 0
	.set _ZN9rocsparseL5csrsmILj64ELj64ELb1ElldEEv20rocsparse_operation_T3_S2_NS_24const_host_device_scalarIT4_EEPKT2_PKS2_PKS4_PS4_lPiSA_PS2_21rocsparse_index_base_20rocsparse_fill_mode_20rocsparse_diag_type_b.has_recursion, 0
	.set _ZN9rocsparseL5csrsmILj64ELj64ELb1ElldEEv20rocsparse_operation_T3_S2_NS_24const_host_device_scalarIT4_EEPKT2_PKS2_PKS4_PS4_lPiSA_PS2_21rocsparse_index_base_20rocsparse_fill_mode_20rocsparse_diag_type_b.has_indirect_call, 0
	.section	.AMDGPU.csdata,"",@progbits
; Kernel info:
; codeLenInByte = 2356
; TotalNumSgprs: 40
; NumVgprs: 26
; ScratchSize: 0
; MemoryBound: 0
; FloatMode: 240
; IeeeMode: 1
; LDSByteSize: 1024 bytes/workgroup (compile time only)
; SGPRBlocks: 0
; VGPRBlocks: 1
; NumSGPRsForWavesPerEU: 40
; NumVGPRsForWavesPerEU: 26
; NamedBarCnt: 0
; Occupancy: 16
; WaveLimiterHint : 1
; COMPUTE_PGM_RSRC2:SCRATCH_EN: 0
; COMPUTE_PGM_RSRC2:USER_SGPR: 2
; COMPUTE_PGM_RSRC2:TRAP_HANDLER: 0
; COMPUTE_PGM_RSRC2:TGID_X_EN: 1
; COMPUTE_PGM_RSRC2:TGID_Y_EN: 0
; COMPUTE_PGM_RSRC2:TGID_Z_EN: 0
; COMPUTE_PGM_RSRC2:TIDIG_COMP_CNT: 0
	.section	.text._ZN9rocsparseL5csrsmILj64ELj64ELb0ElldEEv20rocsparse_operation_T3_S2_NS_24const_host_device_scalarIT4_EEPKT2_PKS2_PKS4_PS4_lPiSA_PS2_21rocsparse_index_base_20rocsparse_fill_mode_20rocsparse_diag_type_b,"axG",@progbits,_ZN9rocsparseL5csrsmILj64ELj64ELb0ElldEEv20rocsparse_operation_T3_S2_NS_24const_host_device_scalarIT4_EEPKT2_PKS2_PKS4_PS4_lPiSA_PS2_21rocsparse_index_base_20rocsparse_fill_mode_20rocsparse_diag_type_b,comdat
	.globl	_ZN9rocsparseL5csrsmILj64ELj64ELb0ElldEEv20rocsparse_operation_T3_S2_NS_24const_host_device_scalarIT4_EEPKT2_PKS2_PKS4_PS4_lPiSA_PS2_21rocsparse_index_base_20rocsparse_fill_mode_20rocsparse_diag_type_b ; -- Begin function _ZN9rocsparseL5csrsmILj64ELj64ELb0ElldEEv20rocsparse_operation_T3_S2_NS_24const_host_device_scalarIT4_EEPKT2_PKS2_PKS4_PS4_lPiSA_PS2_21rocsparse_index_base_20rocsparse_fill_mode_20rocsparse_diag_type_b
	.p2align	8
	.type	_ZN9rocsparseL5csrsmILj64ELj64ELb0ElldEEv20rocsparse_operation_T3_S2_NS_24const_host_device_scalarIT4_EEPKT2_PKS2_PKS4_PS4_lPiSA_PS2_21rocsparse_index_base_20rocsparse_fill_mode_20rocsparse_diag_type_b,@function
_ZN9rocsparseL5csrsmILj64ELj64ELb0ElldEEv20rocsparse_operation_T3_S2_NS_24const_host_device_scalarIT4_EEPKT2_PKS2_PKS4_PS4_lPiSA_PS2_21rocsparse_index_base_20rocsparse_fill_mode_20rocsparse_diag_type_b: ; @_ZN9rocsparseL5csrsmILj64ELj64ELb0ElldEEv20rocsparse_operation_T3_S2_NS_24const_host_device_scalarIT4_EEPKT2_PKS2_PKS4_PS4_lPiSA_PS2_21rocsparse_index_base_20rocsparse_fill_mode_20rocsparse_diag_type_b
; %bb.0:
	s_clause 0x2
	s_load_b128 s[4:7], s[0:1], 0x60
	s_load_b64 s[2:3], s[0:1], 0x18
	s_load_b128 s[12:15], s[0:1], 0x8
	s_wait_kmcnt 0x0
	s_bitcmp1_b32 s7, 0
	v_mov_b64_e32 v[2:3], s[2:3]
	s_cselect_b32 s7, -1, 0
	s_delay_alu instid0(SALU_CYCLE_1)
	s_and_b32 vcc_lo, exec_lo, s7
	s_cbranch_vccnz .LBB95_2
; %bb.1:
	v_mov_b32_e32 v1, 0
	flat_load_b64 v[2:3], v1, s[2:3]
.LBB95_2:
	s_wait_xcnt 0x0
	s_bfe_u32 s2, ttmp6, 0x4000c
	s_and_b32 s3, ttmp6, 15
	s_add_co_i32 s2, s2, 1
	s_getreg_b32 s7, hwreg(HW_REG_IB_STS2, 6, 4)
	s_mul_i32 s2, ttmp9, s2
	s_delay_alu instid0(SALU_CYCLE_1)
	s_add_co_i32 s3, s3, s2
	s_cmp_eq_u32 s7, 0
	s_cselect_b32 s2, ttmp9, s3
	s_and_b64 s[8:9], s[12:13], 0xffffffff00000000
	s_mov_b32 s3, 0
	s_cmp_lg_u64 s[8:9], 0
	s_cbranch_scc0 .LBB95_49
; %bb.3:
	s_ashr_i32 s8, s13, 31
	s_mov_b32 s21, s3
	s_mov_b32 s9, s8
	;; [unrolled: 1-line block ×3, first 2 shown]
	s_add_nc_u64 s[10:11], s[12:13], s[8:9]
	s_delay_alu instid0(SALU_CYCLE_1) | instskip(NEXT) | instid1(SALU_CYCLE_1)
	s_xor_b64 s[10:11], s[10:11], s[8:9]
	s_cvt_f32_u32 s7, s10
	s_cvt_f32_u32 s16, s11
	s_sub_nc_u64 s[18:19], 0, s[10:11]
	s_delay_alu instid0(SALU_CYCLE_2) | instskip(NEXT) | instid1(SALU_CYCLE_3)
	s_fmamk_f32 s7, s16, 0x4f800000, s7
	v_s_rcp_f32 s7, s7
	s_delay_alu instid0(TRANS32_DEP_1) | instskip(NEXT) | instid1(SALU_CYCLE_3)
	s_mul_f32 s7, s7, 0x5f7ffffc
	s_mul_f32 s16, s7, 0x2f800000
	s_delay_alu instid0(SALU_CYCLE_3) | instskip(NEXT) | instid1(SALU_CYCLE_3)
	s_trunc_f32 s16, s16
	s_fmamk_f32 s7, s16, 0xcf800000, s7
	s_cvt_u32_f32 s17, s16
	s_delay_alu instid0(SALU_CYCLE_2) | instskip(NEXT) | instid1(SALU_CYCLE_3)
	s_cvt_u32_f32 s16, s7
	s_mul_u64 s[22:23], s[18:19], s[16:17]
	s_delay_alu instid0(SALU_CYCLE_1)
	s_mul_hi_u32 s27, s16, s23
	s_mul_i32 s26, s16, s23
	s_mul_hi_u32 s20, s16, s22
	s_mul_i32 s24, s17, s22
	s_add_nc_u64 s[20:21], s[20:21], s[26:27]
	s_mul_hi_u32 s7, s17, s22
	s_mul_hi_u32 s28, s17, s23
	s_add_co_u32 s20, s20, s24
	s_add_co_ci_u32 s24, s21, s7
	s_mul_i32 s22, s17, s23
	s_add_co_ci_u32 s23, s28, 0
	s_delay_alu instid0(SALU_CYCLE_1) | instskip(SKIP_3) | instid1(SALU_CYCLE_1)
	s_add_nc_u64 s[20:21], s[24:25], s[22:23]
	s_mov_b32 s23, s3
	s_add_co_u32 s16, s16, s20
	s_cselect_b32 s7, -1, 0
	s_cmp_lg_u32 s7, 0
	s_add_co_ci_u32 s17, s17, s21
	s_mov_b32 s21, s3
	s_mul_u64 s[18:19], s[18:19], s[16:17]
	s_delay_alu instid0(SALU_CYCLE_1)
	s_mul_hi_u32 s25, s16, s19
	s_mul_i32 s24, s16, s19
	s_mul_hi_u32 s20, s16, s18
	s_mul_i32 s22, s17, s18
	s_add_nc_u64 s[20:21], s[20:21], s[24:25]
	s_mul_hi_u32 s7, s17, s18
	s_mul_hi_u32 s26, s17, s19
	s_mul_i32 s18, s17, s19
	s_add_co_u32 s19, s20, s22
	s_add_co_ci_u32 s22, s21, s7
	s_add_co_ci_u32 s19, s26, 0
	s_add_nc_u64 s[20:21], s[2:3], 0
	s_add_nc_u64 s[18:19], s[22:23], s[18:19]
	s_delay_alu instid0(SALU_CYCLE_1) | instskip(SKIP_1) | instid1(SALU_CYCLE_1)
	s_add_co_u32 s7, s16, s18
	s_cselect_b32 s16, -1, 0
	s_cmp_lg_u32 s16, 0
	s_add_co_ci_u32 s18, s17, s19
	s_xor_b64 s[16:17], s[20:21], 0
	s_mov_b32 s19, s3
	s_mul_hi_u32 s21, s16, s18
	s_mul_i32 s20, s16, s18
	s_mul_hi_u32 s22, s16, s7
	s_mul_hi_u32 s25, s17, s7
	s_mul_i32 s7, s17, s7
	s_add_nc_u64 s[20:21], s[22:23], s[20:21]
	s_mul_hi_u32 s24, s17, s18
	s_add_co_u32 s7, s20, s7
	s_mul_i32 s22, s17, s18
	s_add_co_ci_u32 s18, s21, s25
	s_add_co_ci_u32 s23, s24, 0
	s_delay_alu instid0(SALU_CYCLE_1) | instskip(NEXT) | instid1(SALU_CYCLE_1)
	s_add_nc_u64 s[18:19], s[18:19], s[22:23]
	s_and_b64 s[20:21], s[18:19], 0xffffffff00000000
	s_delay_alu instid0(SALU_CYCLE_1) | instskip(NEXT) | instid1(SALU_CYCLE_1)
	s_or_b32 s20, s20, s18
	s_mul_u64 s[18:19], s[10:11], s[20:21]
	s_delay_alu instid0(SALU_CYCLE_1)
	s_sub_co_u32 s7, s16, s18
	s_cselect_b32 s16, -1, 0
	s_sub_co_i32 s18, s17, s19
	s_cmp_lg_u32 s16, 0
	s_sub_co_ci_u32 s18, s18, s11
	s_sub_co_u32 s22, s7, s10
	s_cselect_b32 s23, -1, 0
	s_delay_alu instid0(SALU_CYCLE_1) | instskip(SKIP_1) | instid1(SALU_CYCLE_1)
	s_cmp_lg_u32 s23, 0
	s_sub_co_ci_u32 s18, s18, 0
	s_cmp_ge_u32 s18, s11
	s_cselect_b32 s24, -1, 0
	s_cmp_ge_u32 s22, s10
	s_add_nc_u64 s[22:23], s[20:21], 1
	s_cselect_b32 s25, -1, 0
	s_cmp_eq_u32 s18, s11
	s_cselect_b32 s18, s25, s24
	s_add_nc_u64 s[24:25], s[20:21], 2
	s_cmp_lg_u32 s18, 0
	s_cselect_b32 s18, s24, s22
	s_cselect_b32 s22, s25, s23
	s_cmp_lg_u32 s16, 0
	s_sub_co_ci_u32 s16, s17, s19
	s_delay_alu instid0(SALU_CYCLE_1)
	s_cmp_ge_u32 s16, s11
	s_cselect_b32 s17, -1, 0
	s_cmp_ge_u32 s7, s10
	s_cselect_b32 s7, -1, 0
	s_cmp_eq_u32 s16, s11
	s_cselect_b32 s7, s7, s17
	s_delay_alu instid0(SALU_CYCLE_1) | instskip(SKIP_4) | instid1(SALU_CYCLE_1)
	s_cmp_lg_u32 s7, 0
	s_mov_b32 s7, s3
	s_cselect_b32 s11, s22, s21
	s_cselect_b32 s10, s18, s20
	s_xor_b64 s[8:9], 0, s[8:9]
	s_xor_b64 s[10:11], s[10:11], s[8:9]
	s_delay_alu instid0(SALU_CYCLE_1)
	s_sub_nc_u64 s[22:23], s[10:11], s[8:9]
	s_clause 0x1
	s_load_b64 s[8:9], s[0:1], 0x50
	s_load_b64 s[16:17], s[0:1], 0x20
	s_and_not1_b32 vcc_lo, exec_lo, s7
	s_cbranch_vccnz .LBB95_5
.LBB95_4:
	v_cvt_f32_u32_e32 v1, s12
	s_sub_co_i32 s10, 0, s12
	s_mov_b32 s23, 0
	s_delay_alu instid0(VALU_DEP_1) | instskip(SKIP_1) | instid1(TRANS32_DEP_1)
	v_rcp_iflag_f32_e32 v1, v1
	v_nop
	v_mul_f32_e32 v1, 0x4f7ffffe, v1
	s_delay_alu instid0(VALU_DEP_1) | instskip(NEXT) | instid1(VALU_DEP_1)
	v_cvt_u32_f32_e32 v1, v1
	v_readfirstlane_b32 s7, v1
	s_mul_i32 s10, s10, s7
	s_delay_alu instid0(SALU_CYCLE_1) | instskip(NEXT) | instid1(SALU_CYCLE_1)
	s_mul_hi_u32 s10, s7, s10
	s_add_co_i32 s7, s7, s10
	s_delay_alu instid0(SALU_CYCLE_1) | instskip(NEXT) | instid1(SALU_CYCLE_1)
	s_mul_hi_u32 s7, s2, s7
	s_mul_i32 s10, s7, s12
	s_add_co_i32 s11, s7, 1
	s_sub_co_i32 s10, s2, s10
	s_delay_alu instid0(SALU_CYCLE_1)
	s_sub_co_i32 s18, s10, s12
	s_cmp_ge_u32 s10, s12
	s_cselect_b32 s7, s11, s7
	s_cselect_b32 s10, s18, s10
	s_add_co_i32 s11, s7, 1
	s_cmp_ge_u32 s10, s12
	s_cselect_b32 s22, s11, s7
.LBB95_5:
	s_delay_alu instid0(SALU_CYCLE_1)
	s_mul_u64 s[12:13], s[22:23], s[12:13]
	v_mov_b64_e32 v[6:7], 0
	s_sub_nc_u64 s[2:3], s[2:3], s[12:13]
	v_mov_b32_e32 v1, 0
	s_lshl_b64 s[2:3], s[2:3], 3
	s_wait_kmcnt 0x0
	s_add_nc_u64 s[2:3], s[8:9], s[2:3]
	s_load_b128 s[8:11], s[0:1], 0x38
	s_load_b64 s[20:21], s[2:3], 0x0
	s_wait_kmcnt 0x0
	s_lshl_b64 s[2:3], s[20:21], 3
	s_delay_alu instid0(SALU_CYCLE_1)
	s_add_nc_u64 s[2:3], s[16:17], s[2:3]
	s_load_b128 s[16:19], s[2:3], 0x0
	s_wait_xcnt 0x0
	s_lshl_b64 s[2:3], s[22:23], 6
	s_mul_u64 s[22:23], s[20:21], s[10:11]
	v_dual_mov_b32 v5, s3 :: v_dual_bitop2_b32 v4, s2, v0 bitop3:0x54
	s_delay_alu instid0(VALU_DEP_1)
	v_cmp_gt_i64_e64 s2, s[14:15], v[4:5]
	s_and_saveexec_b32 s3, s2
	s_cbranch_execz .LBB95_7
; %bb.6:
	v_add_nc_u64_e32 v[6:7], s[22:23], v[4:5]
	s_delay_alu instid0(VALU_DEP_1)
	v_lshl_add_u64 v[6:7], v[6:7], 3, s[8:9]
	global_load_b64 v[6:7], v[6:7], off
	s_wait_loadcnt_dscnt 0x0
	v_mul_f64_e32 v[6:7], v[2:3], v[6:7]
.LBB95_7:
	s_or_b32 exec_lo, exec_lo, s3
	s_load_b64 s[14:15], s[0:1], 0x48
	s_wait_kmcnt 0x0
	v_cmp_ge_i64_e64 s3, s[16:17], s[18:19]
	v_mov_b64_e32 v[16:17], 1.0
	s_wait_loadcnt_dscnt 0x0
	v_lshl_add_u64 v[2:3], v[4:5], 3, s[8:9]
	s_and_b32 vcc_lo, exec_lo, s3
	v_cmp_eq_u32_e64 s3, 0, v0
	s_cbranch_vccnz .LBB95_43
; %bb.8:
	s_clause 0x1
	s_load_b128 s[28:31], s[0:1], 0x28
	s_load_b64 s[8:9], s[0:1], 0x58
	v_dual_mov_b32 v5, 0 :: v_dual_lshlrev_b32 v4, 3, v0
	s_wait_xcnt 0x0
	s_lshl_b64 s[0:1], s[12:13], 2
	v_mov_b64_e32 v[12:13], 1.0
	s_mov_b32 s25, 0
	s_mov_b32 s24, s4
	s_cmp_lg_u32 s6, 0
	s_add_nc_u64 s[26:27], s[14:15], s[0:1]
	v_or_b32_e32 v20, 0x200, v4
	v_cmp_ne_u32_e64 s0, 0, v0
	s_sub_nc_u64 s[16:17], s[16:17], s[24:25]
	s_cselect_b32 s4, -1, 0
	s_cmp_eq_u32 s6, 0
	s_sub_nc_u64 s[18:19], s[18:19], s[24:25]
	s_cselect_b32 s1, -1, 0
	s_wait_kmcnt 0x0
	v_add_nc_u64_e32 v[8:9], s[28:29], v[4:5]
	v_add_nc_u64_e32 v[10:11], s[30:31], v[4:5]
	s_add_nc_u64 s[28:29], s[20:21], s[24:25]
	s_mov_b64 s[30:31], s[16:17]
	s_delay_alu instid0(SALU_CYCLE_1) | instskip(NEXT) | instid1(SALU_CYCLE_1)
	s_sub_co_i32 s7, s30, s16
	s_and_b32 s7, s7, 63
	s_delay_alu instid0(SALU_CYCLE_1)
	s_cmp_lg_u32 s7, 0
	s_cbranch_scc1 .LBB95_12
.LBB95_9:
	v_mov_b64_e32 v[14:15], -1.0
	v_mov_b64_e32 v[16:17], -1
	s_sub_nc_u64 s[34:35], s[18:19], s[30:31]
	s_mov_b32 s17, exec_lo
	v_cmpx_gt_i64_e64 s[34:35], v[0:1]
	s_cbranch_execz .LBB95_11
; %bb.10:
	s_lshl_b64 s[34:35], s[30:31], 3
	s_delay_alu instid0(SALU_CYCLE_1)
	v_add_nc_u64_e32 v[14:15], s[34:35], v[8:9]
	global_load_b64 v[16:17], v[14:15], off
	s_wait_xcnt 0x0
	v_add_nc_u64_e32 v[14:15], s[34:35], v[10:11]
	global_load_b64 v[14:15], v[14:15], off
	s_wait_loadcnt 0x1
	v_sub_nc_u64_e64 v[16:17], v[16:17], s[24:25]
.LBB95_11:
	s_wait_xcnt 0x0
	s_or_b32 exec_lo, exec_lo, s17
	ds_store_b64 v4, v[16:17]
	s_wait_loadcnt 0x0
	ds_store_b64 v20, v[14:15]
.LBB95_12:                              ; =>This Loop Header: Depth=1
                                        ;     Child Loop BB95_35 Depth 2
	s_lshl_b32 s7, s7, 3
	s_wait_dscnt 0x0
	v_mov_b32_e32 v14, s7
	s_barrier_signal -1
	s_barrier_wait -1
	ds_load_2addr_stride64_b64 v[14:17], v14 offset1:1
	s_wait_dscnt 0x0
	v_cmp_neq_f64_e32 vcc_lo, 0, v[16:17]
	v_readfirstlane_b32 s34, v14
	v_readfirstlane_b32 s35, v15
	s_cmp_lg_u64 s[34:35], s[20:21]
	s_cselect_b32 s7, -1, 0
	s_delay_alu instid0(SALU_CYCLE_1) | instskip(NEXT) | instid1(SALU_CYCLE_1)
	s_or_b32 s7, s4, s7
	s_or_b32 vcc_lo, vcc_lo, s7
	v_cndmask_b32_e32 v15, 0x3ff00000, v17, vcc_lo
	v_cndmask_b32_e32 v14, 0, v16, vcc_lo
	s_nor_b32 s17, s0, vcc_lo
	s_delay_alu instid0(SALU_CYCLE_1)
	s_and_saveexec_b32 s7, s17
	s_cbranch_execz .LBB95_16
; %bb.13:                               ;   in Loop: Header=BB95_12 Depth=1
	v_mbcnt_lo_u32_b32 v14, exec_lo, 0
	s_mov_b32 s17, exec_lo
	s_delay_alu instid0(VALU_DEP_1)
	v_cmpx_eq_u32_e32 0, v14
	s_cbranch_execz .LBB95_15
; %bb.14:                               ;   in Loop: Header=BB95_12 Depth=1
	v_mov_b64_e32 v[14:15], s[28:29]
	global_atomic_min_u64 v5, v[14:15], s[8:9] scope:SCOPE_DEV
.LBB95_15:                              ;   in Loop: Header=BB95_12 Depth=1
	s_wait_xcnt 0x0
	s_or_b32 exec_lo, exec_lo, s17
	v_mov_b64_e32 v[14:15], 1.0
.LBB95_16:                              ;   in Loop: Header=BB95_12 Depth=1
	s_or_b32 exec_lo, exec_lo, s7
	s_mov_b32 s33, -1
	s_mov_b32 s7, 0
	s_cmp_lt_i32 s5, 1
	s_mov_b32 s17, 0
                                        ; implicit-def: $vgpr16_vgpr17
	s_cbranch_scc0 .LBB95_23
; %bb.17:                               ;   in Loop: Header=BB95_12 Depth=1
	s_and_b32 vcc_lo, exec_lo, s33
	s_mov_b32 s33, 4
	s_cbranch_vccnz .LBB95_28
.LBB95_18:                              ;   in Loop: Header=BB95_12 Depth=1
	v_mov_b64_e32 v[18:19], v[6:7]
	s_and_b32 vcc_lo, exec_lo, s17
	s_cbranch_vccnz .LBB95_33
.LBB95_19:                              ;   in Loop: Header=BB95_12 Depth=1
	s_and_b32 vcc_lo, exec_lo, s7
	s_cbranch_vccnz .LBB95_39
.LBB95_20:                              ;   in Loop: Header=BB95_12 Depth=1
	s_mov_b32 s7, -1
	s_cmp_gt_i32 s33, 3
	s_mov_b32 s17, -1
	s_cbranch_scc0 .LBB95_40
.LBB95_21:                              ;   in Loop: Header=BB95_12 Depth=1
	s_and_not1_b32 vcc_lo, exec_lo, s17
	s_cbranch_vccz .LBB95_41
.LBB95_22:                              ;   in Loop: Header=BB95_12 Depth=1
	s_and_not1_b32 vcc_lo, exec_lo, s7
	s_cbranch_vccnz .LBB95_42
	s_branch .LBB95_44
.LBB95_23:                              ;   in Loop: Header=BB95_12 Depth=1
	s_cmp_eq_u32 s5, 1
	s_mov_b32 s17, -1
                                        ; implicit-def: $vgpr16_vgpr17
	s_cbranch_scc0 .LBB95_27
; %bb.24:                               ;   in Loop: Header=BB95_12 Depth=1
	v_cmp_ge_i64_e64 s17, s[34:35], s[20:21]
	v_mov_b64_e32 v[16:17], v[12:13]
	s_and_b32 vcc_lo, exec_lo, s17
	s_mov_b32 s17, 0
	s_cbranch_vccz .LBB95_27
; %bb.25:                               ;   in Loop: Header=BB95_12 Depth=1
	s_cmp_eq_u64 s[34:35], s[20:21]
	s_mov_b32 s17, -1
                                        ; implicit-def: $vgpr16_vgpr17
	s_cbranch_scc0 .LBB95_27
; %bb.26:                               ;   in Loop: Header=BB95_12 Depth=1
	v_div_scale_f64 v[16:17], null, v[14:15], v[14:15], 1.0
	v_div_scale_f64 v[24:25], vcc_lo, 1.0, v[14:15], 1.0
	s_mov_b32 s17, 0
	v_rcp_f64_e32 v[18:19], v[16:17]
	v_nop
	s_delay_alu instid0(TRANS32_DEP_1) | instskip(NEXT) | instid1(VALU_DEP_1)
	v_fma_f64 v[22:23], -v[16:17], v[18:19], 1.0
	v_fmac_f64_e32 v[18:19], v[18:19], v[22:23]
	s_delay_alu instid0(VALU_DEP_1) | instskip(NEXT) | instid1(VALU_DEP_1)
	v_fma_f64 v[22:23], -v[16:17], v[18:19], 1.0
	v_fmac_f64_e32 v[18:19], v[18:19], v[22:23]
	s_delay_alu instid0(VALU_DEP_1) | instskip(NEXT) | instid1(VALU_DEP_1)
	v_mul_f64_e32 v[22:23], v[24:25], v[18:19]
	v_fma_f64 v[16:17], -v[16:17], v[22:23], v[24:25]
	s_delay_alu instid0(VALU_DEP_1) | instskip(NEXT) | instid1(VALU_DEP_1)
	v_div_fmas_f64 v[16:17], v[16:17], v[18:19], v[22:23]
	v_div_fixup_f64 v[16:17], v[16:17], v[14:15], 1.0
	s_delay_alu instid0(VALU_DEP_1)
	v_dual_cndmask_b32 v17, v13, v17, s1 :: v_dual_cndmask_b32 v16, v12, v16, s1
.LBB95_27:                              ;   in Loop: Header=BB95_12 Depth=1
	s_mov_b32 s33, 4
	s_branch .LBB95_18
.LBB95_28:                              ;   in Loop: Header=BB95_12 Depth=1
	s_cmp_eq_u32 s5, 0
	s_cbranch_scc1 .LBB95_30
; %bb.29:                               ;   in Loop: Header=BB95_12 Depth=1
	s_mov_b32 s17, -1
	s_branch .LBB95_32
.LBB95_30:                              ;   in Loop: Header=BB95_12 Depth=1
	v_cmp_le_i64_e64 s17, s[34:35], s[20:21]
	s_and_b32 vcc_lo, exec_lo, s17
	s_mov_b32 s17, 0
	s_cbranch_vccz .LBB95_32
; %bb.31:                               ;   in Loop: Header=BB95_12 Depth=1
	s_cmp_lg_u64 s[34:35], s[20:21]
	s_mov_b32 s7, -1
	s_cselect_b32 s17, -1, 0
.LBB95_32:                              ;   in Loop: Header=BB95_12 Depth=1
	v_mov_b64_e32 v[16:17], v[12:13]
	s_mov_b32 s33, 2
	v_mov_b64_e32 v[18:19], v[6:7]
	s_and_b32 vcc_lo, exec_lo, s17
	s_cbranch_vccz .LBB95_19
.LBB95_33:                              ;   in Loop: Header=BB95_12 Depth=1
	s_and_saveexec_b32 s7, s3
	s_cbranch_execz .LBB95_36
; %bb.34:                               ;   in Loop: Header=BB95_12 Depth=1
	s_lshl_b64 s[36:37], s[34:35], 2
	s_delay_alu instid0(SALU_CYCLE_1)
	s_add_nc_u64 s[36:37], s[26:27], s[36:37]
	global_load_b32 v16, v5, s[36:37] scope:SCOPE_DEV
	s_wait_loadcnt 0x0
	v_cmp_ne_u32_e32 vcc_lo, 0, v16
	s_cbranch_vccnz .LBB95_36
.LBB95_35:                              ;   Parent Loop BB95_12 Depth=1
                                        ; =>  This Inner Loop Header: Depth=2
	global_load_b32 v16, v5, s[36:37] scope:SCOPE_DEV
	s_wait_loadcnt 0x0
	v_cmp_eq_u32_e32 vcc_lo, 0, v16
	s_cbranch_vccnz .LBB95_35
.LBB95_36:                              ;   in Loop: Header=BB95_12 Depth=1
	s_wait_xcnt 0x0
	s_or_b32 exec_lo, exec_lo, s7
	v_mov_b64_e32 v[18:19], 0
	s_wait_storecnt 0x0
	s_barrier_signal -1
	s_barrier_wait -1
	global_inv scope:SCOPE_DEV
	s_and_saveexec_b32 s7, s2
	s_cbranch_execz .LBB95_38
; %bb.37:                               ;   in Loop: Header=BB95_12 Depth=1
	s_mul_u64 s[34:35], s[34:35], s[10:11]
	s_delay_alu instid0(SALU_CYCLE_1)
	v_lshl_add_u64 v[16:17], s[34:35], 3, v[2:3]
	global_load_b64 v[16:17], v[16:17], off
	s_wait_loadcnt 0x0
	v_fma_f64 v[18:19], -v[14:15], v[16:17], v[6:7]
.LBB95_38:                              ;   in Loop: Header=BB95_12 Depth=1
	s_or_b32 exec_lo, exec_lo, s7
	v_mov_b64_e32 v[16:17], v[12:13]
	s_mov_b32 s33, 0
	s_branch .LBB95_20
.LBB95_39:                              ;   in Loop: Header=BB95_12 Depth=1
	v_div_scale_f64 v[16:17], null, v[14:15], v[14:15], 1.0
	v_div_scale_f64 v[24:25], vcc_lo, 1.0, v[14:15], 1.0
	s_mov_b32 s33, 2
	v_rcp_f64_e32 v[18:19], v[16:17]
	v_nop
	s_delay_alu instid0(TRANS32_DEP_1) | instskip(NEXT) | instid1(VALU_DEP_1)
	v_fma_f64 v[22:23], -v[16:17], v[18:19], 1.0
	v_fmac_f64_e32 v[18:19], v[18:19], v[22:23]
	s_delay_alu instid0(VALU_DEP_1) | instskip(NEXT) | instid1(VALU_DEP_1)
	v_fma_f64 v[22:23], -v[16:17], v[18:19], 1.0
	v_fmac_f64_e32 v[18:19], v[18:19], v[22:23]
	s_delay_alu instid0(VALU_DEP_1) | instskip(NEXT) | instid1(VALU_DEP_1)
	v_mul_f64_e32 v[22:23], v[24:25], v[18:19]
	v_fma_f64 v[16:17], -v[16:17], v[22:23], v[24:25]
	s_delay_alu instid0(VALU_DEP_1) | instskip(SKIP_1) | instid1(VALU_DEP_2)
	v_div_fmas_f64 v[16:17], v[16:17], v[18:19], v[22:23]
	v_mov_b64_e32 v[18:19], v[6:7]
	v_div_fixup_f64 v[14:15], v[16:17], v[14:15], 1.0
	s_delay_alu instid0(VALU_DEP_1)
	v_dual_cndmask_b32 v17, v13, v15, s1 :: v_dual_cndmask_b32 v16, v12, v14, s1
	s_mov_b32 s7, -1
	s_cmp_gt_i32 s33, 3
	s_mov_b32 s17, -1
	s_cbranch_scc1 .LBB95_21
.LBB95_40:                              ;   in Loop: Header=BB95_12 Depth=1
	s_cmp_eq_u32 s33, 0
	s_cselect_b32 s17, -1, 0
	s_delay_alu instid0(SALU_CYCLE_1)
	s_and_not1_b32 vcc_lo, exec_lo, s17
	s_cbranch_vccnz .LBB95_22
.LBB95_41:                              ;   in Loop: Header=BB95_12 Depth=1
	s_add_nc_u64 s[30:31], s[30:31], 1
	s_delay_alu instid0(SALU_CYCLE_1)
	v_cmp_ge_i64_e64 s7, s[30:31], s[18:19]
	s_and_not1_b32 vcc_lo, exec_lo, s7
	s_cbranch_vccz .LBB95_44
.LBB95_42:                              ;   in Loop: Header=BB95_12 Depth=1
	s_delay_alu instid0(VALU_DEP_1) | instskip(SKIP_2) | instid1(SALU_CYCLE_1)
	v_mov_b64_e32 v[6:7], v[18:19]
	v_mov_b64_e32 v[12:13], v[16:17]
	s_sub_co_i32 s7, s30, s16
	s_and_b32 s7, s7, 63
	s_delay_alu instid0(SALU_CYCLE_1)
	s_cmp_lg_u32 s7, 0
	s_cbranch_scc1 .LBB95_12
	s_branch .LBB95_9
.LBB95_43:
	v_mov_b64_e32 v[18:19], v[6:7]
.LBB95_44:
	s_and_saveexec_b32 s0, s2
	s_cbranch_execz .LBB95_46
; %bb.45:
	s_delay_alu instid0(VALU_DEP_1) | instskip(SKIP_3) | instid1(VALU_DEP_2)
	v_mul_f64_e32 v[4:5], v[16:17], v[18:19]
	s_cmp_eq_u32 s6, 0
	v_lshl_add_u64 v[2:3], s[22:23], 3, v[2:3]
	s_cselect_b32 vcc_lo, -1, 0
	v_dual_cndmask_b32 v5, v19, v5 :: v_dual_cndmask_b32 v4, v18, v4
	global_store_b64 v[2:3], v[4:5], off
.LBB95_46:
	s_wait_xcnt 0x0
	s_or_b32 exec_lo, exec_lo, s0
	global_wb scope:SCOPE_DEV
	s_wait_loadcnt 0x0
	s_wait_storecnt 0x0
	global_inv scope:SCOPE_DEV
	s_wait_loadcnt 0x0
	s_barrier_signal -1
	s_barrier_wait -1
	s_mov_b32 s0, exec_lo
	v_cmpx_eq_u32_e32 0, v0
	s_cbranch_execz .LBB95_48
; %bb.47:
	s_lshl_b64 s[0:1], s[20:21], 2
	v_dual_mov_b32 v0, 0 :: v_dual_mov_b32 v1, 1
	s_add_nc_u64 s[0:1], s[14:15], s[0:1]
	s_lshl_b64 s[2:3], s[12:13], 2
	s_delay_alu instid0(SALU_CYCLE_1)
	s_add_nc_u64 s[0:1], s[0:1], s[2:3]
	global_store_b32 v0, v1, s[0:1] scope:SCOPE_DEV
.LBB95_48:
	s_endpgm
.LBB95_49:
                                        ; implicit-def: $sgpr22_sgpr23
	s_clause 0x1
	s_load_b64 s[8:9], s[0:1], 0x50
	s_load_b64 s[16:17], s[0:1], 0x20
	s_branch .LBB95_4
	.section	.rodata,"a",@progbits
	.p2align	6, 0x0
	.amdhsa_kernel _ZN9rocsparseL5csrsmILj64ELj64ELb0ElldEEv20rocsparse_operation_T3_S2_NS_24const_host_device_scalarIT4_EEPKT2_PKS2_PKS4_PS4_lPiSA_PS2_21rocsparse_index_base_20rocsparse_fill_mode_20rocsparse_diag_type_b
		.amdhsa_group_segment_fixed_size 1024
		.amdhsa_private_segment_fixed_size 0
		.amdhsa_kernarg_size 112
		.amdhsa_user_sgpr_count 2
		.amdhsa_user_sgpr_dispatch_ptr 0
		.amdhsa_user_sgpr_queue_ptr 0
		.amdhsa_user_sgpr_kernarg_segment_ptr 1
		.amdhsa_user_sgpr_dispatch_id 0
		.amdhsa_user_sgpr_kernarg_preload_length 0
		.amdhsa_user_sgpr_kernarg_preload_offset 0
		.amdhsa_user_sgpr_private_segment_size 0
		.amdhsa_wavefront_size32 1
		.amdhsa_uses_dynamic_stack 0
		.amdhsa_enable_private_segment 0
		.amdhsa_system_sgpr_workgroup_id_x 1
		.amdhsa_system_sgpr_workgroup_id_y 0
		.amdhsa_system_sgpr_workgroup_id_z 0
		.amdhsa_system_sgpr_workgroup_info 0
		.amdhsa_system_vgpr_workitem_id 0
		.amdhsa_next_free_vgpr 26
		.amdhsa_next_free_sgpr 38
		.amdhsa_named_barrier_count 0
		.amdhsa_reserve_vcc 1
		.amdhsa_float_round_mode_32 0
		.amdhsa_float_round_mode_16_64 0
		.amdhsa_float_denorm_mode_32 3
		.amdhsa_float_denorm_mode_16_64 3
		.amdhsa_fp16_overflow 0
		.amdhsa_memory_ordered 1
		.amdhsa_forward_progress 1
		.amdhsa_inst_pref_size 18
		.amdhsa_round_robin_scheduling 0
		.amdhsa_exception_fp_ieee_invalid_op 0
		.amdhsa_exception_fp_denorm_src 0
		.amdhsa_exception_fp_ieee_div_zero 0
		.amdhsa_exception_fp_ieee_overflow 0
		.amdhsa_exception_fp_ieee_underflow 0
		.amdhsa_exception_fp_ieee_inexact 0
		.amdhsa_exception_int_div_zero 0
	.end_amdhsa_kernel
	.section	.text._ZN9rocsparseL5csrsmILj64ELj64ELb0ElldEEv20rocsparse_operation_T3_S2_NS_24const_host_device_scalarIT4_EEPKT2_PKS2_PKS4_PS4_lPiSA_PS2_21rocsparse_index_base_20rocsparse_fill_mode_20rocsparse_diag_type_b,"axG",@progbits,_ZN9rocsparseL5csrsmILj64ELj64ELb0ElldEEv20rocsparse_operation_T3_S2_NS_24const_host_device_scalarIT4_EEPKT2_PKS2_PKS4_PS4_lPiSA_PS2_21rocsparse_index_base_20rocsparse_fill_mode_20rocsparse_diag_type_b,comdat
.Lfunc_end95:
	.size	_ZN9rocsparseL5csrsmILj64ELj64ELb0ElldEEv20rocsparse_operation_T3_S2_NS_24const_host_device_scalarIT4_EEPKT2_PKS2_PKS4_PS4_lPiSA_PS2_21rocsparse_index_base_20rocsparse_fill_mode_20rocsparse_diag_type_b, .Lfunc_end95-_ZN9rocsparseL5csrsmILj64ELj64ELb0ElldEEv20rocsparse_operation_T3_S2_NS_24const_host_device_scalarIT4_EEPKT2_PKS2_PKS4_PS4_lPiSA_PS2_21rocsparse_index_base_20rocsparse_fill_mode_20rocsparse_diag_type_b
                                        ; -- End function
	.set _ZN9rocsparseL5csrsmILj64ELj64ELb0ElldEEv20rocsparse_operation_T3_S2_NS_24const_host_device_scalarIT4_EEPKT2_PKS2_PKS4_PS4_lPiSA_PS2_21rocsparse_index_base_20rocsparse_fill_mode_20rocsparse_diag_type_b.num_vgpr, 26
	.set _ZN9rocsparseL5csrsmILj64ELj64ELb0ElldEEv20rocsparse_operation_T3_S2_NS_24const_host_device_scalarIT4_EEPKT2_PKS2_PKS4_PS4_lPiSA_PS2_21rocsparse_index_base_20rocsparse_fill_mode_20rocsparse_diag_type_b.num_agpr, 0
	.set _ZN9rocsparseL5csrsmILj64ELj64ELb0ElldEEv20rocsparse_operation_T3_S2_NS_24const_host_device_scalarIT4_EEPKT2_PKS2_PKS4_PS4_lPiSA_PS2_21rocsparse_index_base_20rocsparse_fill_mode_20rocsparse_diag_type_b.numbered_sgpr, 38
	.set _ZN9rocsparseL5csrsmILj64ELj64ELb0ElldEEv20rocsparse_operation_T3_S2_NS_24const_host_device_scalarIT4_EEPKT2_PKS2_PKS4_PS4_lPiSA_PS2_21rocsparse_index_base_20rocsparse_fill_mode_20rocsparse_diag_type_b.num_named_barrier, 0
	.set _ZN9rocsparseL5csrsmILj64ELj64ELb0ElldEEv20rocsparse_operation_T3_S2_NS_24const_host_device_scalarIT4_EEPKT2_PKS2_PKS4_PS4_lPiSA_PS2_21rocsparse_index_base_20rocsparse_fill_mode_20rocsparse_diag_type_b.private_seg_size, 0
	.set _ZN9rocsparseL5csrsmILj64ELj64ELb0ElldEEv20rocsparse_operation_T3_S2_NS_24const_host_device_scalarIT4_EEPKT2_PKS2_PKS4_PS4_lPiSA_PS2_21rocsparse_index_base_20rocsparse_fill_mode_20rocsparse_diag_type_b.uses_vcc, 1
	.set _ZN9rocsparseL5csrsmILj64ELj64ELb0ElldEEv20rocsparse_operation_T3_S2_NS_24const_host_device_scalarIT4_EEPKT2_PKS2_PKS4_PS4_lPiSA_PS2_21rocsparse_index_base_20rocsparse_fill_mode_20rocsparse_diag_type_b.uses_flat_scratch, 0
	.set _ZN9rocsparseL5csrsmILj64ELj64ELb0ElldEEv20rocsparse_operation_T3_S2_NS_24const_host_device_scalarIT4_EEPKT2_PKS2_PKS4_PS4_lPiSA_PS2_21rocsparse_index_base_20rocsparse_fill_mode_20rocsparse_diag_type_b.has_dyn_sized_stack, 0
	.set _ZN9rocsparseL5csrsmILj64ELj64ELb0ElldEEv20rocsparse_operation_T3_S2_NS_24const_host_device_scalarIT4_EEPKT2_PKS2_PKS4_PS4_lPiSA_PS2_21rocsparse_index_base_20rocsparse_fill_mode_20rocsparse_diag_type_b.has_recursion, 0
	.set _ZN9rocsparseL5csrsmILj64ELj64ELb0ElldEEv20rocsparse_operation_T3_S2_NS_24const_host_device_scalarIT4_EEPKT2_PKS2_PKS4_PS4_lPiSA_PS2_21rocsparse_index_base_20rocsparse_fill_mode_20rocsparse_diag_type_b.has_indirect_call, 0
	.section	.AMDGPU.csdata,"",@progbits
; Kernel info:
; codeLenInByte = 2292
; TotalNumSgprs: 40
; NumVgprs: 26
; ScratchSize: 0
; MemoryBound: 0
; FloatMode: 240
; IeeeMode: 1
; LDSByteSize: 1024 bytes/workgroup (compile time only)
; SGPRBlocks: 0
; VGPRBlocks: 1
; NumSGPRsForWavesPerEU: 40
; NumVGPRsForWavesPerEU: 26
; NamedBarCnt: 0
; Occupancy: 16
; WaveLimiterHint : 1
; COMPUTE_PGM_RSRC2:SCRATCH_EN: 0
; COMPUTE_PGM_RSRC2:USER_SGPR: 2
; COMPUTE_PGM_RSRC2:TRAP_HANDLER: 0
; COMPUTE_PGM_RSRC2:TGID_X_EN: 1
; COMPUTE_PGM_RSRC2:TGID_Y_EN: 0
; COMPUTE_PGM_RSRC2:TGID_Z_EN: 0
; COMPUTE_PGM_RSRC2:TIDIG_COMP_CNT: 0
	.section	.text._ZN9rocsparseL5csrsmILj128ELj64ELb1ElldEEv20rocsparse_operation_T3_S2_NS_24const_host_device_scalarIT4_EEPKT2_PKS2_PKS4_PS4_lPiSA_PS2_21rocsparse_index_base_20rocsparse_fill_mode_20rocsparse_diag_type_b,"axG",@progbits,_ZN9rocsparseL5csrsmILj128ELj64ELb1ElldEEv20rocsparse_operation_T3_S2_NS_24const_host_device_scalarIT4_EEPKT2_PKS2_PKS4_PS4_lPiSA_PS2_21rocsparse_index_base_20rocsparse_fill_mode_20rocsparse_diag_type_b,comdat
	.globl	_ZN9rocsparseL5csrsmILj128ELj64ELb1ElldEEv20rocsparse_operation_T3_S2_NS_24const_host_device_scalarIT4_EEPKT2_PKS2_PKS4_PS4_lPiSA_PS2_21rocsparse_index_base_20rocsparse_fill_mode_20rocsparse_diag_type_b ; -- Begin function _ZN9rocsparseL5csrsmILj128ELj64ELb1ElldEEv20rocsparse_operation_T3_S2_NS_24const_host_device_scalarIT4_EEPKT2_PKS2_PKS4_PS4_lPiSA_PS2_21rocsparse_index_base_20rocsparse_fill_mode_20rocsparse_diag_type_b
	.p2align	8
	.type	_ZN9rocsparseL5csrsmILj128ELj64ELb1ElldEEv20rocsparse_operation_T3_S2_NS_24const_host_device_scalarIT4_EEPKT2_PKS2_PKS4_PS4_lPiSA_PS2_21rocsparse_index_base_20rocsparse_fill_mode_20rocsparse_diag_type_b,@function
_ZN9rocsparseL5csrsmILj128ELj64ELb1ElldEEv20rocsparse_operation_T3_S2_NS_24const_host_device_scalarIT4_EEPKT2_PKS2_PKS4_PS4_lPiSA_PS2_21rocsparse_index_base_20rocsparse_fill_mode_20rocsparse_diag_type_b: ; @_ZN9rocsparseL5csrsmILj128ELj64ELb1ElldEEv20rocsparse_operation_T3_S2_NS_24const_host_device_scalarIT4_EEPKT2_PKS2_PKS4_PS4_lPiSA_PS2_21rocsparse_index_base_20rocsparse_fill_mode_20rocsparse_diag_type_b
; %bb.0:
	s_clause 0x2
	s_load_b128 s[4:7], s[0:1], 0x60
	s_load_b64 s[2:3], s[0:1], 0x18
	s_load_b128 s[12:15], s[0:1], 0x8
	s_wait_kmcnt 0x0
	s_bitcmp1_b32 s7, 0
	v_mov_b64_e32 v[2:3], s[2:3]
	s_cselect_b32 s7, -1, 0
	s_delay_alu instid0(SALU_CYCLE_1)
	s_and_b32 vcc_lo, exec_lo, s7
	s_cbranch_vccnz .LBB96_2
; %bb.1:
	v_mov_b32_e32 v1, 0
	flat_load_b64 v[2:3], v1, s[2:3]
.LBB96_2:
	s_wait_xcnt 0x0
	s_bfe_u32 s2, ttmp6, 0x4000c
	s_and_b32 s3, ttmp6, 15
	s_add_co_i32 s2, s2, 1
	s_getreg_b32 s7, hwreg(HW_REG_IB_STS2, 6, 4)
	s_mul_i32 s2, ttmp9, s2
	s_delay_alu instid0(SALU_CYCLE_1)
	s_add_co_i32 s3, s3, s2
	s_cmp_eq_u32 s7, 0
	s_cselect_b32 s2, ttmp9, s3
	s_and_b64 s[8:9], s[12:13], 0xffffffff00000000
	s_mov_b32 s3, 0
	s_cmp_lg_u64 s[8:9], 0
	s_cbranch_scc0 .LBB96_52
; %bb.3:
	s_ashr_i32 s8, s13, 31
	s_mov_b32 s21, s3
	s_mov_b32 s9, s8
	;; [unrolled: 1-line block ×3, first 2 shown]
	s_add_nc_u64 s[10:11], s[12:13], s[8:9]
	s_delay_alu instid0(SALU_CYCLE_1) | instskip(NEXT) | instid1(SALU_CYCLE_1)
	s_xor_b64 s[10:11], s[10:11], s[8:9]
	s_cvt_f32_u32 s7, s10
	s_cvt_f32_u32 s16, s11
	s_sub_nc_u64 s[18:19], 0, s[10:11]
	s_delay_alu instid0(SALU_CYCLE_2) | instskip(NEXT) | instid1(SALU_CYCLE_3)
	s_fmamk_f32 s7, s16, 0x4f800000, s7
	v_s_rcp_f32 s7, s7
	s_delay_alu instid0(TRANS32_DEP_1) | instskip(NEXT) | instid1(SALU_CYCLE_3)
	s_mul_f32 s7, s7, 0x5f7ffffc
	s_mul_f32 s16, s7, 0x2f800000
	s_delay_alu instid0(SALU_CYCLE_3) | instskip(NEXT) | instid1(SALU_CYCLE_3)
	s_trunc_f32 s16, s16
	s_fmamk_f32 s7, s16, 0xcf800000, s7
	s_cvt_u32_f32 s17, s16
	s_delay_alu instid0(SALU_CYCLE_2) | instskip(NEXT) | instid1(SALU_CYCLE_3)
	s_cvt_u32_f32 s16, s7
	s_mul_u64 s[22:23], s[18:19], s[16:17]
	s_delay_alu instid0(SALU_CYCLE_1)
	s_mul_hi_u32 s27, s16, s23
	s_mul_i32 s26, s16, s23
	s_mul_hi_u32 s20, s16, s22
	s_mul_i32 s24, s17, s22
	s_add_nc_u64 s[20:21], s[20:21], s[26:27]
	s_mul_hi_u32 s7, s17, s22
	s_mul_hi_u32 s28, s17, s23
	s_add_co_u32 s20, s20, s24
	s_add_co_ci_u32 s24, s21, s7
	s_mul_i32 s22, s17, s23
	s_add_co_ci_u32 s23, s28, 0
	s_delay_alu instid0(SALU_CYCLE_1) | instskip(SKIP_3) | instid1(SALU_CYCLE_1)
	s_add_nc_u64 s[20:21], s[24:25], s[22:23]
	s_mov_b32 s23, s3
	s_add_co_u32 s16, s16, s20
	s_cselect_b32 s7, -1, 0
	s_cmp_lg_u32 s7, 0
	s_add_co_ci_u32 s17, s17, s21
	s_mov_b32 s21, s3
	s_mul_u64 s[18:19], s[18:19], s[16:17]
	s_delay_alu instid0(SALU_CYCLE_1)
	s_mul_hi_u32 s25, s16, s19
	s_mul_i32 s24, s16, s19
	s_mul_hi_u32 s20, s16, s18
	s_mul_i32 s22, s17, s18
	s_add_nc_u64 s[20:21], s[20:21], s[24:25]
	s_mul_hi_u32 s7, s17, s18
	s_mul_hi_u32 s26, s17, s19
	s_mul_i32 s18, s17, s19
	s_add_co_u32 s19, s20, s22
	s_add_co_ci_u32 s22, s21, s7
	s_add_co_ci_u32 s19, s26, 0
	s_add_nc_u64 s[20:21], s[2:3], 0
	s_add_nc_u64 s[18:19], s[22:23], s[18:19]
	s_delay_alu instid0(SALU_CYCLE_1) | instskip(SKIP_1) | instid1(SALU_CYCLE_1)
	s_add_co_u32 s7, s16, s18
	s_cselect_b32 s16, -1, 0
	s_cmp_lg_u32 s16, 0
	s_add_co_ci_u32 s18, s17, s19
	s_xor_b64 s[16:17], s[20:21], 0
	s_mov_b32 s19, s3
	s_mul_hi_u32 s21, s16, s18
	s_mul_i32 s20, s16, s18
	s_mul_hi_u32 s22, s16, s7
	s_mul_hi_u32 s25, s17, s7
	s_mul_i32 s7, s17, s7
	s_add_nc_u64 s[20:21], s[22:23], s[20:21]
	s_mul_hi_u32 s24, s17, s18
	s_add_co_u32 s7, s20, s7
	s_mul_i32 s22, s17, s18
	s_add_co_ci_u32 s18, s21, s25
	s_add_co_ci_u32 s23, s24, 0
	s_delay_alu instid0(SALU_CYCLE_1) | instskip(NEXT) | instid1(SALU_CYCLE_1)
	s_add_nc_u64 s[18:19], s[18:19], s[22:23]
	s_and_b64 s[20:21], s[18:19], 0xffffffff00000000
	s_delay_alu instid0(SALU_CYCLE_1) | instskip(NEXT) | instid1(SALU_CYCLE_1)
	s_or_b32 s20, s20, s18
	s_mul_u64 s[18:19], s[10:11], s[20:21]
	s_delay_alu instid0(SALU_CYCLE_1)
	s_sub_co_u32 s7, s16, s18
	s_cselect_b32 s16, -1, 0
	s_sub_co_i32 s18, s17, s19
	s_cmp_lg_u32 s16, 0
	s_sub_co_ci_u32 s18, s18, s11
	s_sub_co_u32 s22, s7, s10
	s_cselect_b32 s23, -1, 0
	s_delay_alu instid0(SALU_CYCLE_1) | instskip(SKIP_1) | instid1(SALU_CYCLE_1)
	s_cmp_lg_u32 s23, 0
	s_sub_co_ci_u32 s18, s18, 0
	s_cmp_ge_u32 s18, s11
	s_cselect_b32 s24, -1, 0
	s_cmp_ge_u32 s22, s10
	s_add_nc_u64 s[22:23], s[20:21], 1
	s_cselect_b32 s25, -1, 0
	s_cmp_eq_u32 s18, s11
	s_cselect_b32 s18, s25, s24
	s_add_nc_u64 s[24:25], s[20:21], 2
	s_cmp_lg_u32 s18, 0
	s_cselect_b32 s18, s24, s22
	s_cselect_b32 s22, s25, s23
	s_cmp_lg_u32 s16, 0
	s_sub_co_ci_u32 s16, s17, s19
	s_delay_alu instid0(SALU_CYCLE_1)
	s_cmp_ge_u32 s16, s11
	s_cselect_b32 s17, -1, 0
	s_cmp_ge_u32 s7, s10
	s_cselect_b32 s7, -1, 0
	s_cmp_eq_u32 s16, s11
	s_cselect_b32 s7, s7, s17
	s_delay_alu instid0(SALU_CYCLE_1) | instskip(SKIP_4) | instid1(SALU_CYCLE_1)
	s_cmp_lg_u32 s7, 0
	s_mov_b32 s7, s3
	s_cselect_b32 s11, s22, s21
	s_cselect_b32 s10, s18, s20
	s_xor_b64 s[8:9], 0, s[8:9]
	s_xor_b64 s[10:11], s[10:11], s[8:9]
	s_delay_alu instid0(SALU_CYCLE_1)
	s_sub_nc_u64 s[22:23], s[10:11], s[8:9]
	s_clause 0x1
	s_load_b64 s[8:9], s[0:1], 0x50
	s_load_b64 s[16:17], s[0:1], 0x20
	s_and_not1_b32 vcc_lo, exec_lo, s7
	s_cbranch_vccnz .LBB96_5
.LBB96_4:
	v_cvt_f32_u32_e32 v1, s12
	s_sub_co_i32 s10, 0, s12
	s_mov_b32 s23, 0
	s_delay_alu instid0(VALU_DEP_1) | instskip(SKIP_1) | instid1(TRANS32_DEP_1)
	v_rcp_iflag_f32_e32 v1, v1
	v_nop
	v_mul_f32_e32 v1, 0x4f7ffffe, v1
	s_delay_alu instid0(VALU_DEP_1) | instskip(NEXT) | instid1(VALU_DEP_1)
	v_cvt_u32_f32_e32 v1, v1
	v_readfirstlane_b32 s7, v1
	s_mul_i32 s10, s10, s7
	s_delay_alu instid0(SALU_CYCLE_1) | instskip(NEXT) | instid1(SALU_CYCLE_1)
	s_mul_hi_u32 s10, s7, s10
	s_add_co_i32 s7, s7, s10
	s_delay_alu instid0(SALU_CYCLE_1) | instskip(NEXT) | instid1(SALU_CYCLE_1)
	s_mul_hi_u32 s7, s2, s7
	s_mul_i32 s10, s7, s12
	s_add_co_i32 s11, s7, 1
	s_sub_co_i32 s10, s2, s10
	s_delay_alu instid0(SALU_CYCLE_1)
	s_sub_co_i32 s18, s10, s12
	s_cmp_ge_u32 s10, s12
	s_cselect_b32 s7, s11, s7
	s_cselect_b32 s10, s18, s10
	s_add_co_i32 s11, s7, 1
	s_cmp_ge_u32 s10, s12
	s_cselect_b32 s22, s11, s7
.LBB96_5:
	s_delay_alu instid0(SALU_CYCLE_1)
	s_mul_u64 s[12:13], s[22:23], s[12:13]
	v_mov_b64_e32 v[6:7], 0
	s_sub_nc_u64 s[2:3], s[2:3], s[12:13]
	v_mov_b32_e32 v1, 0
	s_lshl_b64 s[2:3], s[2:3], 3
	s_wait_kmcnt 0x0
	s_add_nc_u64 s[2:3], s[8:9], s[2:3]
	s_load_b128 s[8:11], s[0:1], 0x38
	s_load_b64 s[20:21], s[2:3], 0x0
	s_wait_kmcnt 0x0
	s_lshl_b64 s[2:3], s[20:21], 3
	s_delay_alu instid0(SALU_CYCLE_1)
	s_add_nc_u64 s[2:3], s[16:17], s[2:3]
	s_load_b128 s[16:19], s[2:3], 0x0
	s_wait_xcnt 0x0
	s_lshl_b64 s[2:3], s[22:23], 7
	s_mul_u64 s[22:23], s[20:21], s[10:11]
	v_dual_mov_b32 v5, s3 :: v_dual_bitop2_b32 v4, s2, v0 bitop3:0x54
	s_delay_alu instid0(VALU_DEP_1)
	v_cmp_gt_i64_e64 s2, s[14:15], v[4:5]
	s_and_saveexec_b32 s3, s2
	s_cbranch_execz .LBB96_7
; %bb.6:
	v_add_nc_u64_e32 v[6:7], s[22:23], v[4:5]
	s_delay_alu instid0(VALU_DEP_1)
	v_lshl_add_u64 v[6:7], v[6:7], 3, s[8:9]
	global_load_b64 v[6:7], v[6:7], off
	s_wait_loadcnt_dscnt 0x0
	v_mul_f64_e32 v[6:7], v[2:3], v[6:7]
.LBB96_7:
	s_or_b32 exec_lo, exec_lo, s3
	s_load_b64 s[14:15], s[0:1], 0x48
	s_wait_kmcnt 0x0
	v_cmp_ge_i64_e64 s3, s[16:17], s[18:19]
	v_mov_b64_e32 v[16:17], 1.0
	s_wait_loadcnt_dscnt 0x0
	v_lshl_add_u64 v[2:3], v[4:5], 3, s[8:9]
	s_and_b32 vcc_lo, exec_lo, s3
	v_cmp_eq_u32_e64 s3, 0, v0
	s_cbranch_vccnz .LBB96_46
; %bb.8:
	s_clause 0x1
	s_load_b128 s[28:31], s[0:1], 0x28
	s_load_b64 s[8:9], s[0:1], 0x58
	v_dual_mov_b32 v5, 0 :: v_dual_lshlrev_b32 v4, 3, v0
	s_wait_xcnt 0x0
	s_lshl_b64 s[0:1], s[12:13], 2
	v_mov_b64_e32 v[12:13], 1.0
	s_mov_b32 s25, 0
	s_mov_b32 s24, s4
	s_cmp_lg_u32 s6, 0
	s_add_nc_u64 s[26:27], s[14:15], s[0:1]
	v_or_b32_e32 v20, 0x400, v4
	v_cmp_ne_u32_e64 s0, 0, v0
	s_sub_nc_u64 s[16:17], s[16:17], s[24:25]
	s_cselect_b32 s4, -1, 0
	s_cmp_eq_u32 s6, 0
	s_sub_nc_u64 s[18:19], s[18:19], s[24:25]
	s_cselect_b32 s1, -1, 0
	s_wait_kmcnt 0x0
	v_add_nc_u64_e32 v[8:9], s[28:29], v[4:5]
	v_add_nc_u64_e32 v[10:11], s[30:31], v[4:5]
	s_add_nc_u64 s[28:29], s[20:21], s[24:25]
	s_mov_b64 s[30:31], s[16:17]
	s_delay_alu instid0(SALU_CYCLE_1) | instskip(NEXT) | instid1(SALU_CYCLE_1)
	s_sub_co_i32 s7, s30, s16
	s_and_b32 s7, s7, 0x7f
	s_delay_alu instid0(SALU_CYCLE_1)
	s_cmp_lg_u32 s7, 0
	s_cbranch_scc1 .LBB96_12
.LBB96_9:
	v_mov_b64_e32 v[14:15], -1.0
	v_mov_b64_e32 v[16:17], -1
	s_sub_nc_u64 s[34:35], s[18:19], s[30:31]
	s_mov_b32 s17, exec_lo
	v_cmpx_gt_i64_e64 s[34:35], v[0:1]
	s_cbranch_execz .LBB96_11
; %bb.10:
	s_lshl_b64 s[34:35], s[30:31], 3
	s_delay_alu instid0(SALU_CYCLE_1)
	v_add_nc_u64_e32 v[14:15], s[34:35], v[8:9]
	global_load_b64 v[16:17], v[14:15], off
	s_wait_xcnt 0x0
	v_add_nc_u64_e32 v[14:15], s[34:35], v[10:11]
	global_load_b64 v[14:15], v[14:15], off
	s_wait_loadcnt 0x1
	v_sub_nc_u64_e64 v[16:17], v[16:17], s[24:25]
.LBB96_11:
	s_wait_xcnt 0x0
	s_or_b32 exec_lo, exec_lo, s17
	ds_store_b64 v4, v[16:17]
	s_wait_loadcnt 0x0
	ds_store_b64 v20, v[14:15]
.LBB96_12:                              ; =>This Loop Header: Depth=1
                                        ;     Child Loop BB96_44 Depth 2
                                        ;       Child Loop BB96_45 Depth 3
	s_lshl_b32 s7, s7, 3
	s_wait_dscnt 0x0
	v_mov_b32_e32 v14, s7
	s_barrier_signal -1
	s_barrier_wait -1
	ds_load_2addr_stride64_b64 v[14:17], v14 offset1:2
	s_wait_dscnt 0x0
	v_cmp_neq_f64_e32 vcc_lo, 0, v[16:17]
	v_readfirstlane_b32 s34, v14
	v_readfirstlane_b32 s35, v15
	s_cmp_lg_u64 s[34:35], s[20:21]
	s_cselect_b32 s7, -1, 0
	s_delay_alu instid0(SALU_CYCLE_1) | instskip(NEXT) | instid1(SALU_CYCLE_1)
	s_or_b32 s7, s4, s7
	s_or_b32 vcc_lo, vcc_lo, s7
	v_cndmask_b32_e32 v15, 0x3ff00000, v17, vcc_lo
	v_cndmask_b32_e32 v14, 0, v16, vcc_lo
	s_nor_b32 s17, s0, vcc_lo
	s_delay_alu instid0(SALU_CYCLE_1)
	s_and_saveexec_b32 s7, s17
	s_cbranch_execz .LBB96_16
; %bb.13:                               ;   in Loop: Header=BB96_12 Depth=1
	v_mbcnt_lo_u32_b32 v14, exec_lo, 0
	s_mov_b32 s17, exec_lo
	s_delay_alu instid0(VALU_DEP_1)
	v_cmpx_eq_u32_e32 0, v14
	s_cbranch_execz .LBB96_15
; %bb.14:                               ;   in Loop: Header=BB96_12 Depth=1
	v_mov_b64_e32 v[14:15], s[28:29]
	global_atomic_min_u64 v5, v[14:15], s[8:9] scope:SCOPE_DEV
.LBB96_15:                              ;   in Loop: Header=BB96_12 Depth=1
	s_wait_xcnt 0x0
	s_or_b32 exec_lo, exec_lo, s17
	v_mov_b64_e32 v[14:15], 1.0
.LBB96_16:                              ;   in Loop: Header=BB96_12 Depth=1
	s_or_b32 exec_lo, exec_lo, s7
	s_mov_b32 s33, -1
	s_mov_b32 s7, 0
	s_cmp_lt_i32 s5, 1
	s_mov_b32 s17, 0
                                        ; implicit-def: $vgpr16_vgpr17
	s_cbranch_scc0 .LBB96_23
; %bb.17:                               ;   in Loop: Header=BB96_12 Depth=1
	s_and_b32 vcc_lo, exec_lo, s33
	s_mov_b32 s33, 4
	s_cbranch_vccnz .LBB96_28
.LBB96_18:                              ;   in Loop: Header=BB96_12 Depth=1
	v_mov_b64_e32 v[18:19], v[6:7]
	s_and_b32 vcc_lo, exec_lo, s17
	s_cbranch_vccnz .LBB96_33
.LBB96_19:                              ;   in Loop: Header=BB96_12 Depth=1
	s_and_b32 vcc_lo, exec_lo, s7
	s_cbranch_vccnz .LBB96_38
.LBB96_20:                              ;   in Loop: Header=BB96_12 Depth=1
	s_mov_b32 s7, -1
	s_cmp_gt_i32 s33, 3
	s_mov_b32 s17, -1
	s_cbranch_scc0 .LBB96_39
.LBB96_21:                              ;   in Loop: Header=BB96_12 Depth=1
	s_and_not1_b32 vcc_lo, exec_lo, s17
	s_cbranch_vccz .LBB96_40
.LBB96_22:                              ;   in Loop: Header=BB96_12 Depth=1
	s_and_not1_b32 vcc_lo, exec_lo, s7
	s_cbranch_vccnz .LBB96_41
	s_branch .LBB96_47
.LBB96_23:                              ;   in Loop: Header=BB96_12 Depth=1
	s_cmp_eq_u32 s5, 1
	s_mov_b32 s17, -1
                                        ; implicit-def: $vgpr16_vgpr17
	s_cbranch_scc0 .LBB96_27
; %bb.24:                               ;   in Loop: Header=BB96_12 Depth=1
	v_cmp_ge_i64_e64 s17, s[34:35], s[20:21]
	v_mov_b64_e32 v[16:17], v[12:13]
	s_and_b32 vcc_lo, exec_lo, s17
	s_mov_b32 s17, 0
	s_cbranch_vccz .LBB96_27
; %bb.25:                               ;   in Loop: Header=BB96_12 Depth=1
	s_cmp_eq_u64 s[34:35], s[20:21]
	s_mov_b32 s17, -1
                                        ; implicit-def: $vgpr16_vgpr17
	s_cbranch_scc0 .LBB96_27
; %bb.26:                               ;   in Loop: Header=BB96_12 Depth=1
	v_div_scale_f64 v[16:17], null, v[14:15], v[14:15], 1.0
	v_div_scale_f64 v[24:25], vcc_lo, 1.0, v[14:15], 1.0
	s_mov_b32 s17, 0
	v_rcp_f64_e32 v[18:19], v[16:17]
	v_nop
	s_delay_alu instid0(TRANS32_DEP_1) | instskip(NEXT) | instid1(VALU_DEP_1)
	v_fma_f64 v[22:23], -v[16:17], v[18:19], 1.0
	v_fmac_f64_e32 v[18:19], v[18:19], v[22:23]
	s_delay_alu instid0(VALU_DEP_1) | instskip(NEXT) | instid1(VALU_DEP_1)
	v_fma_f64 v[22:23], -v[16:17], v[18:19], 1.0
	v_fmac_f64_e32 v[18:19], v[18:19], v[22:23]
	s_delay_alu instid0(VALU_DEP_1) | instskip(NEXT) | instid1(VALU_DEP_1)
	v_mul_f64_e32 v[22:23], v[24:25], v[18:19]
	v_fma_f64 v[16:17], -v[16:17], v[22:23], v[24:25]
	s_delay_alu instid0(VALU_DEP_1) | instskip(NEXT) | instid1(VALU_DEP_1)
	v_div_fmas_f64 v[16:17], v[16:17], v[18:19], v[22:23]
	v_div_fixup_f64 v[16:17], v[16:17], v[14:15], 1.0
	s_delay_alu instid0(VALU_DEP_1)
	v_dual_cndmask_b32 v17, v13, v17, s1 :: v_dual_cndmask_b32 v16, v12, v16, s1
.LBB96_27:                              ;   in Loop: Header=BB96_12 Depth=1
	s_mov_b32 s33, 4
	s_branch .LBB96_18
.LBB96_28:                              ;   in Loop: Header=BB96_12 Depth=1
	s_cmp_eq_u32 s5, 0
	s_cbranch_scc1 .LBB96_30
; %bb.29:                               ;   in Loop: Header=BB96_12 Depth=1
	s_mov_b32 s17, -1
	s_branch .LBB96_32
.LBB96_30:                              ;   in Loop: Header=BB96_12 Depth=1
	v_cmp_le_i64_e64 s17, s[34:35], s[20:21]
	s_and_b32 vcc_lo, exec_lo, s17
	s_mov_b32 s17, 0
	s_cbranch_vccz .LBB96_32
; %bb.31:                               ;   in Loop: Header=BB96_12 Depth=1
	s_cmp_lg_u64 s[34:35], s[20:21]
	s_mov_b32 s7, -1
	s_cselect_b32 s17, -1, 0
.LBB96_32:                              ;   in Loop: Header=BB96_12 Depth=1
	v_mov_b64_e32 v[16:17], v[12:13]
	s_mov_b32 s33, 2
	v_mov_b64_e32 v[18:19], v[6:7]
	s_and_b32 vcc_lo, exec_lo, s17
	s_cbranch_vccz .LBB96_19
.LBB96_33:                              ;   in Loop: Header=BB96_12 Depth=1
	s_and_saveexec_b32 s7, s3
	s_cbranch_execz .LBB96_35
; %bb.34:                               ;   in Loop: Header=BB96_12 Depth=1
	s_lshl_b64 s[36:37], s[34:35], 2
	s_delay_alu instid0(SALU_CYCLE_1)
	s_add_nc_u64 s[36:37], s[26:27], s[36:37]
	global_load_b32 v16, v5, s[36:37] scope:SCOPE_DEV
	s_wait_loadcnt 0x0
	v_cmp_ne_u32_e32 vcc_lo, 0, v16
	s_cbranch_vccz .LBB96_42
.LBB96_35:                              ;   in Loop: Header=BB96_12 Depth=1
	s_wait_xcnt 0x0
	s_or_b32 exec_lo, exec_lo, s7
	v_mov_b64_e32 v[18:19], 0
	s_wait_storecnt 0x0
	s_barrier_signal -1
	s_barrier_wait -1
	global_inv scope:SCOPE_DEV
	s_and_saveexec_b32 s7, s2
	s_cbranch_execz .LBB96_37
; %bb.36:                               ;   in Loop: Header=BB96_12 Depth=1
	s_mul_u64 s[34:35], s[34:35], s[10:11]
	s_delay_alu instid0(SALU_CYCLE_1)
	v_lshl_add_u64 v[16:17], s[34:35], 3, v[2:3]
	global_load_b64 v[16:17], v[16:17], off
	s_wait_loadcnt 0x0
	v_fma_f64 v[18:19], -v[14:15], v[16:17], v[6:7]
.LBB96_37:                              ;   in Loop: Header=BB96_12 Depth=1
	s_or_b32 exec_lo, exec_lo, s7
	v_mov_b64_e32 v[16:17], v[12:13]
	s_mov_b32 s33, 0
	s_branch .LBB96_20
.LBB96_38:                              ;   in Loop: Header=BB96_12 Depth=1
	v_div_scale_f64 v[16:17], null, v[14:15], v[14:15], 1.0
	v_div_scale_f64 v[24:25], vcc_lo, 1.0, v[14:15], 1.0
	s_mov_b32 s33, 2
	v_rcp_f64_e32 v[18:19], v[16:17]
	v_nop
	s_delay_alu instid0(TRANS32_DEP_1) | instskip(NEXT) | instid1(VALU_DEP_1)
	v_fma_f64 v[22:23], -v[16:17], v[18:19], 1.0
	v_fmac_f64_e32 v[18:19], v[18:19], v[22:23]
	s_delay_alu instid0(VALU_DEP_1) | instskip(NEXT) | instid1(VALU_DEP_1)
	v_fma_f64 v[22:23], -v[16:17], v[18:19], 1.0
	v_fmac_f64_e32 v[18:19], v[18:19], v[22:23]
	s_delay_alu instid0(VALU_DEP_1) | instskip(NEXT) | instid1(VALU_DEP_1)
	v_mul_f64_e32 v[22:23], v[24:25], v[18:19]
	v_fma_f64 v[16:17], -v[16:17], v[22:23], v[24:25]
	s_delay_alu instid0(VALU_DEP_1) | instskip(SKIP_1) | instid1(VALU_DEP_2)
	v_div_fmas_f64 v[16:17], v[16:17], v[18:19], v[22:23]
	v_mov_b64_e32 v[18:19], v[6:7]
	v_div_fixup_f64 v[14:15], v[16:17], v[14:15], 1.0
	s_delay_alu instid0(VALU_DEP_1)
	v_dual_cndmask_b32 v17, v13, v15, s1 :: v_dual_cndmask_b32 v16, v12, v14, s1
	s_mov_b32 s7, -1
	s_cmp_gt_i32 s33, 3
	s_mov_b32 s17, -1
	s_cbranch_scc1 .LBB96_21
.LBB96_39:                              ;   in Loop: Header=BB96_12 Depth=1
	s_cmp_eq_u32 s33, 0
	s_cselect_b32 s17, -1, 0
	s_delay_alu instid0(SALU_CYCLE_1)
	s_and_not1_b32 vcc_lo, exec_lo, s17
	s_cbranch_vccnz .LBB96_22
.LBB96_40:                              ;   in Loop: Header=BB96_12 Depth=1
	s_add_nc_u64 s[30:31], s[30:31], 1
	s_delay_alu instid0(SALU_CYCLE_1)
	v_cmp_ge_i64_e64 s7, s[30:31], s[18:19]
	s_and_not1_b32 vcc_lo, exec_lo, s7
	s_cbranch_vccz .LBB96_47
.LBB96_41:                              ;   in Loop: Header=BB96_12 Depth=1
	s_delay_alu instid0(VALU_DEP_1) | instskip(SKIP_2) | instid1(SALU_CYCLE_1)
	v_mov_b64_e32 v[6:7], v[18:19]
	v_mov_b64_e32 v[12:13], v[16:17]
	s_sub_co_i32 s7, s30, s16
	s_and_b32 s7, s7, 0x7f
	s_delay_alu instid0(SALU_CYCLE_1)
	s_cmp_lg_u32 s7, 0
	s_cbranch_scc1 .LBB96_12
	s_branch .LBB96_9
.LBB96_42:                              ;   in Loop: Header=BB96_12 Depth=1
	s_mov_b32 s17, 0
	s_branch .LBB96_44
.LBB96_43:                              ;   in Loop: Header=BB96_44 Depth=2
	global_load_b32 v16, v5, s[36:37] scope:SCOPE_DEV
	s_cmp_lt_u32 s17, 0xf43
	s_cselect_b32 s33, -1, 0
	s_delay_alu instid0(SALU_CYCLE_1)
	s_cmp_lg_u32 s33, 0
	s_add_co_ci_u32 s17, s17, 0
	s_wait_loadcnt 0x0
	v_cmp_ne_u32_e32 vcc_lo, 0, v16
	s_cbranch_vccnz .LBB96_35
.LBB96_44:                              ;   Parent Loop BB96_12 Depth=1
                                        ; =>  This Loop Header: Depth=2
                                        ;       Child Loop BB96_45 Depth 3
	s_cmp_eq_u32 s17, 0
	s_mov_b32 s33, s17
	s_cbranch_scc1 .LBB96_43
.LBB96_45:                              ;   Parent Loop BB96_12 Depth=1
                                        ;     Parent Loop BB96_44 Depth=2
                                        ; =>    This Inner Loop Header: Depth=3
	s_add_co_i32 s33, s33, -1
	s_sleep 1
	s_cmp_eq_u32 s33, 0
	s_cbranch_scc0 .LBB96_45
	s_branch .LBB96_43
.LBB96_46:
	v_mov_b64_e32 v[18:19], v[6:7]
.LBB96_47:
	s_and_saveexec_b32 s0, s2
	s_cbranch_execz .LBB96_49
; %bb.48:
	s_delay_alu instid0(VALU_DEP_1) | instskip(SKIP_3) | instid1(VALU_DEP_2)
	v_mul_f64_e32 v[4:5], v[16:17], v[18:19]
	s_cmp_eq_u32 s6, 0
	v_lshl_add_u64 v[2:3], s[22:23], 3, v[2:3]
	s_cselect_b32 vcc_lo, -1, 0
	v_dual_cndmask_b32 v5, v19, v5 :: v_dual_cndmask_b32 v4, v18, v4
	global_store_b64 v[2:3], v[4:5], off
.LBB96_49:
	s_wait_xcnt 0x0
	s_or_b32 exec_lo, exec_lo, s0
	global_wb scope:SCOPE_DEV
	s_wait_loadcnt 0x0
	s_wait_storecnt 0x0
	global_inv scope:SCOPE_DEV
	s_wait_loadcnt 0x0
	s_barrier_signal -1
	s_barrier_wait -1
	s_mov_b32 s0, exec_lo
	v_cmpx_eq_u32_e32 0, v0
	s_cbranch_execz .LBB96_51
; %bb.50:
	s_lshl_b64 s[0:1], s[20:21], 2
	v_dual_mov_b32 v0, 0 :: v_dual_mov_b32 v1, 1
	s_add_nc_u64 s[0:1], s[14:15], s[0:1]
	s_lshl_b64 s[2:3], s[12:13], 2
	s_delay_alu instid0(SALU_CYCLE_1)
	s_add_nc_u64 s[0:1], s[0:1], s[2:3]
	global_store_b32 v0, v1, s[0:1] scope:SCOPE_DEV
.LBB96_51:
	s_endpgm
.LBB96_52:
                                        ; implicit-def: $sgpr22_sgpr23
	s_clause 0x1
	s_load_b64 s[8:9], s[0:1], 0x50
	s_load_b64 s[16:17], s[0:1], 0x20
	s_branch .LBB96_4
	.section	.rodata,"a",@progbits
	.p2align	6, 0x0
	.amdhsa_kernel _ZN9rocsparseL5csrsmILj128ELj64ELb1ElldEEv20rocsparse_operation_T3_S2_NS_24const_host_device_scalarIT4_EEPKT2_PKS2_PKS4_PS4_lPiSA_PS2_21rocsparse_index_base_20rocsparse_fill_mode_20rocsparse_diag_type_b
		.amdhsa_group_segment_fixed_size 2048
		.amdhsa_private_segment_fixed_size 0
		.amdhsa_kernarg_size 112
		.amdhsa_user_sgpr_count 2
		.amdhsa_user_sgpr_dispatch_ptr 0
		.amdhsa_user_sgpr_queue_ptr 0
		.amdhsa_user_sgpr_kernarg_segment_ptr 1
		.amdhsa_user_sgpr_dispatch_id 0
		.amdhsa_user_sgpr_kernarg_preload_length 0
		.amdhsa_user_sgpr_kernarg_preload_offset 0
		.amdhsa_user_sgpr_private_segment_size 0
		.amdhsa_wavefront_size32 1
		.amdhsa_uses_dynamic_stack 0
		.amdhsa_enable_private_segment 0
		.amdhsa_system_sgpr_workgroup_id_x 1
		.amdhsa_system_sgpr_workgroup_id_y 0
		.amdhsa_system_sgpr_workgroup_id_z 0
		.amdhsa_system_sgpr_workgroup_info 0
		.amdhsa_system_vgpr_workitem_id 0
		.amdhsa_next_free_vgpr 26
		.amdhsa_next_free_sgpr 38
		.amdhsa_named_barrier_count 0
		.amdhsa_reserve_vcc 1
		.amdhsa_float_round_mode_32 0
		.amdhsa_float_round_mode_16_64 0
		.amdhsa_float_denorm_mode_32 3
		.amdhsa_float_denorm_mode_16_64 3
		.amdhsa_fp16_overflow 0
		.amdhsa_memory_ordered 1
		.amdhsa_forward_progress 1
		.amdhsa_inst_pref_size 19
		.amdhsa_round_robin_scheduling 0
		.amdhsa_exception_fp_ieee_invalid_op 0
		.amdhsa_exception_fp_denorm_src 0
		.amdhsa_exception_fp_ieee_div_zero 0
		.amdhsa_exception_fp_ieee_overflow 0
		.amdhsa_exception_fp_ieee_underflow 0
		.amdhsa_exception_fp_ieee_inexact 0
		.amdhsa_exception_int_div_zero 0
	.end_amdhsa_kernel
	.section	.text._ZN9rocsparseL5csrsmILj128ELj64ELb1ElldEEv20rocsparse_operation_T3_S2_NS_24const_host_device_scalarIT4_EEPKT2_PKS2_PKS4_PS4_lPiSA_PS2_21rocsparse_index_base_20rocsparse_fill_mode_20rocsparse_diag_type_b,"axG",@progbits,_ZN9rocsparseL5csrsmILj128ELj64ELb1ElldEEv20rocsparse_operation_T3_S2_NS_24const_host_device_scalarIT4_EEPKT2_PKS2_PKS4_PS4_lPiSA_PS2_21rocsparse_index_base_20rocsparse_fill_mode_20rocsparse_diag_type_b,comdat
.Lfunc_end96:
	.size	_ZN9rocsparseL5csrsmILj128ELj64ELb1ElldEEv20rocsparse_operation_T3_S2_NS_24const_host_device_scalarIT4_EEPKT2_PKS2_PKS4_PS4_lPiSA_PS2_21rocsparse_index_base_20rocsparse_fill_mode_20rocsparse_diag_type_b, .Lfunc_end96-_ZN9rocsparseL5csrsmILj128ELj64ELb1ElldEEv20rocsparse_operation_T3_S2_NS_24const_host_device_scalarIT4_EEPKT2_PKS2_PKS4_PS4_lPiSA_PS2_21rocsparse_index_base_20rocsparse_fill_mode_20rocsparse_diag_type_b
                                        ; -- End function
	.set _ZN9rocsparseL5csrsmILj128ELj64ELb1ElldEEv20rocsparse_operation_T3_S2_NS_24const_host_device_scalarIT4_EEPKT2_PKS2_PKS4_PS4_lPiSA_PS2_21rocsparse_index_base_20rocsparse_fill_mode_20rocsparse_diag_type_b.num_vgpr, 26
	.set _ZN9rocsparseL5csrsmILj128ELj64ELb1ElldEEv20rocsparse_operation_T3_S2_NS_24const_host_device_scalarIT4_EEPKT2_PKS2_PKS4_PS4_lPiSA_PS2_21rocsparse_index_base_20rocsparse_fill_mode_20rocsparse_diag_type_b.num_agpr, 0
	.set _ZN9rocsparseL5csrsmILj128ELj64ELb1ElldEEv20rocsparse_operation_T3_S2_NS_24const_host_device_scalarIT4_EEPKT2_PKS2_PKS4_PS4_lPiSA_PS2_21rocsparse_index_base_20rocsparse_fill_mode_20rocsparse_diag_type_b.numbered_sgpr, 38
	.set _ZN9rocsparseL5csrsmILj128ELj64ELb1ElldEEv20rocsparse_operation_T3_S2_NS_24const_host_device_scalarIT4_EEPKT2_PKS2_PKS4_PS4_lPiSA_PS2_21rocsparse_index_base_20rocsparse_fill_mode_20rocsparse_diag_type_b.num_named_barrier, 0
	.set _ZN9rocsparseL5csrsmILj128ELj64ELb1ElldEEv20rocsparse_operation_T3_S2_NS_24const_host_device_scalarIT4_EEPKT2_PKS2_PKS4_PS4_lPiSA_PS2_21rocsparse_index_base_20rocsparse_fill_mode_20rocsparse_diag_type_b.private_seg_size, 0
	.set _ZN9rocsparseL5csrsmILj128ELj64ELb1ElldEEv20rocsparse_operation_T3_S2_NS_24const_host_device_scalarIT4_EEPKT2_PKS2_PKS4_PS4_lPiSA_PS2_21rocsparse_index_base_20rocsparse_fill_mode_20rocsparse_diag_type_b.uses_vcc, 1
	.set _ZN9rocsparseL5csrsmILj128ELj64ELb1ElldEEv20rocsparse_operation_T3_S2_NS_24const_host_device_scalarIT4_EEPKT2_PKS2_PKS4_PS4_lPiSA_PS2_21rocsparse_index_base_20rocsparse_fill_mode_20rocsparse_diag_type_b.uses_flat_scratch, 0
	.set _ZN9rocsparseL5csrsmILj128ELj64ELb1ElldEEv20rocsparse_operation_T3_S2_NS_24const_host_device_scalarIT4_EEPKT2_PKS2_PKS4_PS4_lPiSA_PS2_21rocsparse_index_base_20rocsparse_fill_mode_20rocsparse_diag_type_b.has_dyn_sized_stack, 0
	.set _ZN9rocsparseL5csrsmILj128ELj64ELb1ElldEEv20rocsparse_operation_T3_S2_NS_24const_host_device_scalarIT4_EEPKT2_PKS2_PKS4_PS4_lPiSA_PS2_21rocsparse_index_base_20rocsparse_fill_mode_20rocsparse_diag_type_b.has_recursion, 0
	.set _ZN9rocsparseL5csrsmILj128ELj64ELb1ElldEEv20rocsparse_operation_T3_S2_NS_24const_host_device_scalarIT4_EEPKT2_PKS2_PKS4_PS4_lPiSA_PS2_21rocsparse_index_base_20rocsparse_fill_mode_20rocsparse_diag_type_b.has_indirect_call, 0
	.section	.AMDGPU.csdata,"",@progbits
; Kernel info:
; codeLenInByte = 2364
; TotalNumSgprs: 40
; NumVgprs: 26
; ScratchSize: 0
; MemoryBound: 0
; FloatMode: 240
; IeeeMode: 1
; LDSByteSize: 2048 bytes/workgroup (compile time only)
; SGPRBlocks: 0
; VGPRBlocks: 1
; NumSGPRsForWavesPerEU: 40
; NumVGPRsForWavesPerEU: 26
; NamedBarCnt: 0
; Occupancy: 16
; WaveLimiterHint : 1
; COMPUTE_PGM_RSRC2:SCRATCH_EN: 0
; COMPUTE_PGM_RSRC2:USER_SGPR: 2
; COMPUTE_PGM_RSRC2:TRAP_HANDLER: 0
; COMPUTE_PGM_RSRC2:TGID_X_EN: 1
; COMPUTE_PGM_RSRC2:TGID_Y_EN: 0
; COMPUTE_PGM_RSRC2:TGID_Z_EN: 0
; COMPUTE_PGM_RSRC2:TIDIG_COMP_CNT: 0
	.section	.text._ZN9rocsparseL5csrsmILj128ELj64ELb0ElldEEv20rocsparse_operation_T3_S2_NS_24const_host_device_scalarIT4_EEPKT2_PKS2_PKS4_PS4_lPiSA_PS2_21rocsparse_index_base_20rocsparse_fill_mode_20rocsparse_diag_type_b,"axG",@progbits,_ZN9rocsparseL5csrsmILj128ELj64ELb0ElldEEv20rocsparse_operation_T3_S2_NS_24const_host_device_scalarIT4_EEPKT2_PKS2_PKS4_PS4_lPiSA_PS2_21rocsparse_index_base_20rocsparse_fill_mode_20rocsparse_diag_type_b,comdat
	.globl	_ZN9rocsparseL5csrsmILj128ELj64ELb0ElldEEv20rocsparse_operation_T3_S2_NS_24const_host_device_scalarIT4_EEPKT2_PKS2_PKS4_PS4_lPiSA_PS2_21rocsparse_index_base_20rocsparse_fill_mode_20rocsparse_diag_type_b ; -- Begin function _ZN9rocsparseL5csrsmILj128ELj64ELb0ElldEEv20rocsparse_operation_T3_S2_NS_24const_host_device_scalarIT4_EEPKT2_PKS2_PKS4_PS4_lPiSA_PS2_21rocsparse_index_base_20rocsparse_fill_mode_20rocsparse_diag_type_b
	.p2align	8
	.type	_ZN9rocsparseL5csrsmILj128ELj64ELb0ElldEEv20rocsparse_operation_T3_S2_NS_24const_host_device_scalarIT4_EEPKT2_PKS2_PKS4_PS4_lPiSA_PS2_21rocsparse_index_base_20rocsparse_fill_mode_20rocsparse_diag_type_b,@function
_ZN9rocsparseL5csrsmILj128ELj64ELb0ElldEEv20rocsparse_operation_T3_S2_NS_24const_host_device_scalarIT4_EEPKT2_PKS2_PKS4_PS4_lPiSA_PS2_21rocsparse_index_base_20rocsparse_fill_mode_20rocsparse_diag_type_b: ; @_ZN9rocsparseL5csrsmILj128ELj64ELb0ElldEEv20rocsparse_operation_T3_S2_NS_24const_host_device_scalarIT4_EEPKT2_PKS2_PKS4_PS4_lPiSA_PS2_21rocsparse_index_base_20rocsparse_fill_mode_20rocsparse_diag_type_b
; %bb.0:
	s_clause 0x2
	s_load_b128 s[4:7], s[0:1], 0x60
	s_load_b64 s[2:3], s[0:1], 0x18
	s_load_b128 s[12:15], s[0:1], 0x8
	s_wait_kmcnt 0x0
	s_bitcmp1_b32 s7, 0
	v_mov_b64_e32 v[2:3], s[2:3]
	s_cselect_b32 s7, -1, 0
	s_delay_alu instid0(SALU_CYCLE_1)
	s_and_b32 vcc_lo, exec_lo, s7
	s_cbranch_vccnz .LBB97_2
; %bb.1:
	v_mov_b32_e32 v1, 0
	flat_load_b64 v[2:3], v1, s[2:3]
.LBB97_2:
	s_wait_xcnt 0x0
	s_bfe_u32 s2, ttmp6, 0x4000c
	s_and_b32 s3, ttmp6, 15
	s_add_co_i32 s2, s2, 1
	s_getreg_b32 s7, hwreg(HW_REG_IB_STS2, 6, 4)
	s_mul_i32 s2, ttmp9, s2
	s_delay_alu instid0(SALU_CYCLE_1)
	s_add_co_i32 s3, s3, s2
	s_cmp_eq_u32 s7, 0
	s_cselect_b32 s2, ttmp9, s3
	s_and_b64 s[8:9], s[12:13], 0xffffffff00000000
	s_mov_b32 s3, 0
	s_cmp_lg_u64 s[8:9], 0
	s_cbranch_scc0 .LBB97_49
; %bb.3:
	s_ashr_i32 s8, s13, 31
	s_mov_b32 s21, s3
	s_mov_b32 s9, s8
	;; [unrolled: 1-line block ×3, first 2 shown]
	s_add_nc_u64 s[10:11], s[12:13], s[8:9]
	s_delay_alu instid0(SALU_CYCLE_1) | instskip(NEXT) | instid1(SALU_CYCLE_1)
	s_xor_b64 s[10:11], s[10:11], s[8:9]
	s_cvt_f32_u32 s7, s10
	s_cvt_f32_u32 s16, s11
	s_sub_nc_u64 s[18:19], 0, s[10:11]
	s_delay_alu instid0(SALU_CYCLE_2) | instskip(NEXT) | instid1(SALU_CYCLE_3)
	s_fmamk_f32 s7, s16, 0x4f800000, s7
	v_s_rcp_f32 s7, s7
	s_delay_alu instid0(TRANS32_DEP_1) | instskip(NEXT) | instid1(SALU_CYCLE_3)
	s_mul_f32 s7, s7, 0x5f7ffffc
	s_mul_f32 s16, s7, 0x2f800000
	s_delay_alu instid0(SALU_CYCLE_3) | instskip(NEXT) | instid1(SALU_CYCLE_3)
	s_trunc_f32 s16, s16
	s_fmamk_f32 s7, s16, 0xcf800000, s7
	s_cvt_u32_f32 s17, s16
	s_delay_alu instid0(SALU_CYCLE_2) | instskip(NEXT) | instid1(SALU_CYCLE_3)
	s_cvt_u32_f32 s16, s7
	s_mul_u64 s[22:23], s[18:19], s[16:17]
	s_delay_alu instid0(SALU_CYCLE_1)
	s_mul_hi_u32 s27, s16, s23
	s_mul_i32 s26, s16, s23
	s_mul_hi_u32 s20, s16, s22
	s_mul_i32 s24, s17, s22
	s_add_nc_u64 s[20:21], s[20:21], s[26:27]
	s_mul_hi_u32 s7, s17, s22
	s_mul_hi_u32 s28, s17, s23
	s_add_co_u32 s20, s20, s24
	s_add_co_ci_u32 s24, s21, s7
	s_mul_i32 s22, s17, s23
	s_add_co_ci_u32 s23, s28, 0
	s_delay_alu instid0(SALU_CYCLE_1) | instskip(SKIP_3) | instid1(SALU_CYCLE_1)
	s_add_nc_u64 s[20:21], s[24:25], s[22:23]
	s_mov_b32 s23, s3
	s_add_co_u32 s16, s16, s20
	s_cselect_b32 s7, -1, 0
	s_cmp_lg_u32 s7, 0
	s_add_co_ci_u32 s17, s17, s21
	s_mov_b32 s21, s3
	s_mul_u64 s[18:19], s[18:19], s[16:17]
	s_delay_alu instid0(SALU_CYCLE_1)
	s_mul_hi_u32 s25, s16, s19
	s_mul_i32 s24, s16, s19
	s_mul_hi_u32 s20, s16, s18
	s_mul_i32 s22, s17, s18
	s_add_nc_u64 s[20:21], s[20:21], s[24:25]
	s_mul_hi_u32 s7, s17, s18
	s_mul_hi_u32 s26, s17, s19
	s_mul_i32 s18, s17, s19
	s_add_co_u32 s19, s20, s22
	s_add_co_ci_u32 s22, s21, s7
	s_add_co_ci_u32 s19, s26, 0
	s_add_nc_u64 s[20:21], s[2:3], 0
	s_add_nc_u64 s[18:19], s[22:23], s[18:19]
	s_delay_alu instid0(SALU_CYCLE_1) | instskip(SKIP_1) | instid1(SALU_CYCLE_1)
	s_add_co_u32 s7, s16, s18
	s_cselect_b32 s16, -1, 0
	s_cmp_lg_u32 s16, 0
	s_add_co_ci_u32 s18, s17, s19
	s_xor_b64 s[16:17], s[20:21], 0
	s_mov_b32 s19, s3
	s_mul_hi_u32 s21, s16, s18
	s_mul_i32 s20, s16, s18
	s_mul_hi_u32 s22, s16, s7
	s_mul_hi_u32 s25, s17, s7
	s_mul_i32 s7, s17, s7
	s_add_nc_u64 s[20:21], s[22:23], s[20:21]
	s_mul_hi_u32 s24, s17, s18
	s_add_co_u32 s7, s20, s7
	s_mul_i32 s22, s17, s18
	s_add_co_ci_u32 s18, s21, s25
	s_add_co_ci_u32 s23, s24, 0
	s_delay_alu instid0(SALU_CYCLE_1) | instskip(NEXT) | instid1(SALU_CYCLE_1)
	s_add_nc_u64 s[18:19], s[18:19], s[22:23]
	s_and_b64 s[20:21], s[18:19], 0xffffffff00000000
	s_delay_alu instid0(SALU_CYCLE_1) | instskip(NEXT) | instid1(SALU_CYCLE_1)
	s_or_b32 s20, s20, s18
	s_mul_u64 s[18:19], s[10:11], s[20:21]
	s_delay_alu instid0(SALU_CYCLE_1)
	s_sub_co_u32 s7, s16, s18
	s_cselect_b32 s16, -1, 0
	s_sub_co_i32 s18, s17, s19
	s_cmp_lg_u32 s16, 0
	s_sub_co_ci_u32 s18, s18, s11
	s_sub_co_u32 s22, s7, s10
	s_cselect_b32 s23, -1, 0
	s_delay_alu instid0(SALU_CYCLE_1) | instskip(SKIP_1) | instid1(SALU_CYCLE_1)
	s_cmp_lg_u32 s23, 0
	s_sub_co_ci_u32 s18, s18, 0
	s_cmp_ge_u32 s18, s11
	s_cselect_b32 s24, -1, 0
	s_cmp_ge_u32 s22, s10
	s_add_nc_u64 s[22:23], s[20:21], 1
	s_cselect_b32 s25, -1, 0
	s_cmp_eq_u32 s18, s11
	s_cselect_b32 s18, s25, s24
	s_add_nc_u64 s[24:25], s[20:21], 2
	s_cmp_lg_u32 s18, 0
	s_cselect_b32 s18, s24, s22
	s_cselect_b32 s22, s25, s23
	s_cmp_lg_u32 s16, 0
	s_sub_co_ci_u32 s16, s17, s19
	s_delay_alu instid0(SALU_CYCLE_1)
	s_cmp_ge_u32 s16, s11
	s_cselect_b32 s17, -1, 0
	s_cmp_ge_u32 s7, s10
	s_cselect_b32 s7, -1, 0
	s_cmp_eq_u32 s16, s11
	s_cselect_b32 s7, s7, s17
	s_delay_alu instid0(SALU_CYCLE_1) | instskip(SKIP_4) | instid1(SALU_CYCLE_1)
	s_cmp_lg_u32 s7, 0
	s_mov_b32 s7, s3
	s_cselect_b32 s11, s22, s21
	s_cselect_b32 s10, s18, s20
	s_xor_b64 s[8:9], 0, s[8:9]
	s_xor_b64 s[10:11], s[10:11], s[8:9]
	s_delay_alu instid0(SALU_CYCLE_1)
	s_sub_nc_u64 s[22:23], s[10:11], s[8:9]
	s_clause 0x1
	s_load_b64 s[8:9], s[0:1], 0x50
	s_load_b64 s[16:17], s[0:1], 0x20
	s_and_not1_b32 vcc_lo, exec_lo, s7
	s_cbranch_vccnz .LBB97_5
.LBB97_4:
	v_cvt_f32_u32_e32 v1, s12
	s_sub_co_i32 s10, 0, s12
	s_mov_b32 s23, 0
	s_delay_alu instid0(VALU_DEP_1) | instskip(SKIP_1) | instid1(TRANS32_DEP_1)
	v_rcp_iflag_f32_e32 v1, v1
	v_nop
	v_mul_f32_e32 v1, 0x4f7ffffe, v1
	s_delay_alu instid0(VALU_DEP_1) | instskip(NEXT) | instid1(VALU_DEP_1)
	v_cvt_u32_f32_e32 v1, v1
	v_readfirstlane_b32 s7, v1
	s_mul_i32 s10, s10, s7
	s_delay_alu instid0(SALU_CYCLE_1) | instskip(NEXT) | instid1(SALU_CYCLE_1)
	s_mul_hi_u32 s10, s7, s10
	s_add_co_i32 s7, s7, s10
	s_delay_alu instid0(SALU_CYCLE_1) | instskip(NEXT) | instid1(SALU_CYCLE_1)
	s_mul_hi_u32 s7, s2, s7
	s_mul_i32 s10, s7, s12
	s_add_co_i32 s11, s7, 1
	s_sub_co_i32 s10, s2, s10
	s_delay_alu instid0(SALU_CYCLE_1)
	s_sub_co_i32 s18, s10, s12
	s_cmp_ge_u32 s10, s12
	s_cselect_b32 s7, s11, s7
	s_cselect_b32 s10, s18, s10
	s_add_co_i32 s11, s7, 1
	s_cmp_ge_u32 s10, s12
	s_cselect_b32 s22, s11, s7
.LBB97_5:
	s_delay_alu instid0(SALU_CYCLE_1)
	s_mul_u64 s[12:13], s[22:23], s[12:13]
	v_mov_b64_e32 v[6:7], 0
	s_sub_nc_u64 s[2:3], s[2:3], s[12:13]
	v_mov_b32_e32 v1, 0
	s_lshl_b64 s[2:3], s[2:3], 3
	s_wait_kmcnt 0x0
	s_add_nc_u64 s[2:3], s[8:9], s[2:3]
	s_load_b128 s[8:11], s[0:1], 0x38
	s_load_b64 s[20:21], s[2:3], 0x0
	s_wait_kmcnt 0x0
	s_lshl_b64 s[2:3], s[20:21], 3
	s_delay_alu instid0(SALU_CYCLE_1)
	s_add_nc_u64 s[2:3], s[16:17], s[2:3]
	s_load_b128 s[16:19], s[2:3], 0x0
	s_wait_xcnt 0x0
	s_lshl_b64 s[2:3], s[22:23], 7
	s_mul_u64 s[22:23], s[20:21], s[10:11]
	v_dual_mov_b32 v5, s3 :: v_dual_bitop2_b32 v4, s2, v0 bitop3:0x54
	s_delay_alu instid0(VALU_DEP_1)
	v_cmp_gt_i64_e64 s2, s[14:15], v[4:5]
	s_and_saveexec_b32 s3, s2
	s_cbranch_execz .LBB97_7
; %bb.6:
	v_add_nc_u64_e32 v[6:7], s[22:23], v[4:5]
	s_delay_alu instid0(VALU_DEP_1)
	v_lshl_add_u64 v[6:7], v[6:7], 3, s[8:9]
	global_load_b64 v[6:7], v[6:7], off
	s_wait_loadcnt_dscnt 0x0
	v_mul_f64_e32 v[6:7], v[2:3], v[6:7]
.LBB97_7:
	s_or_b32 exec_lo, exec_lo, s3
	s_load_b64 s[14:15], s[0:1], 0x48
	s_wait_kmcnt 0x0
	v_cmp_ge_i64_e64 s3, s[16:17], s[18:19]
	v_mov_b64_e32 v[16:17], 1.0
	s_wait_loadcnt_dscnt 0x0
	v_lshl_add_u64 v[2:3], v[4:5], 3, s[8:9]
	s_and_b32 vcc_lo, exec_lo, s3
	v_cmp_eq_u32_e64 s3, 0, v0
	s_cbranch_vccnz .LBB97_43
; %bb.8:
	s_clause 0x1
	s_load_b128 s[28:31], s[0:1], 0x28
	s_load_b64 s[8:9], s[0:1], 0x58
	v_dual_mov_b32 v5, 0 :: v_dual_lshlrev_b32 v4, 3, v0
	s_wait_xcnt 0x0
	s_lshl_b64 s[0:1], s[12:13], 2
	v_mov_b64_e32 v[12:13], 1.0
	s_mov_b32 s25, 0
	s_mov_b32 s24, s4
	s_cmp_lg_u32 s6, 0
	s_add_nc_u64 s[26:27], s[14:15], s[0:1]
	v_or_b32_e32 v20, 0x400, v4
	v_cmp_ne_u32_e64 s0, 0, v0
	s_sub_nc_u64 s[16:17], s[16:17], s[24:25]
	s_cselect_b32 s4, -1, 0
	s_cmp_eq_u32 s6, 0
	s_sub_nc_u64 s[18:19], s[18:19], s[24:25]
	s_cselect_b32 s1, -1, 0
	s_wait_kmcnt 0x0
	v_add_nc_u64_e32 v[8:9], s[28:29], v[4:5]
	v_add_nc_u64_e32 v[10:11], s[30:31], v[4:5]
	s_add_nc_u64 s[28:29], s[20:21], s[24:25]
	s_mov_b64 s[30:31], s[16:17]
	s_delay_alu instid0(SALU_CYCLE_1) | instskip(NEXT) | instid1(SALU_CYCLE_1)
	s_sub_co_i32 s7, s30, s16
	s_and_b32 s7, s7, 0x7f
	s_delay_alu instid0(SALU_CYCLE_1)
	s_cmp_lg_u32 s7, 0
	s_cbranch_scc1 .LBB97_12
.LBB97_9:
	v_mov_b64_e32 v[14:15], -1.0
	v_mov_b64_e32 v[16:17], -1
	s_sub_nc_u64 s[34:35], s[18:19], s[30:31]
	s_mov_b32 s17, exec_lo
	v_cmpx_gt_i64_e64 s[34:35], v[0:1]
	s_cbranch_execz .LBB97_11
; %bb.10:
	s_lshl_b64 s[34:35], s[30:31], 3
	s_delay_alu instid0(SALU_CYCLE_1)
	v_add_nc_u64_e32 v[14:15], s[34:35], v[8:9]
	global_load_b64 v[16:17], v[14:15], off
	s_wait_xcnt 0x0
	v_add_nc_u64_e32 v[14:15], s[34:35], v[10:11]
	global_load_b64 v[14:15], v[14:15], off
	s_wait_loadcnt 0x1
	v_sub_nc_u64_e64 v[16:17], v[16:17], s[24:25]
.LBB97_11:
	s_wait_xcnt 0x0
	s_or_b32 exec_lo, exec_lo, s17
	ds_store_b64 v4, v[16:17]
	s_wait_loadcnt 0x0
	ds_store_b64 v20, v[14:15]
.LBB97_12:                              ; =>This Loop Header: Depth=1
                                        ;     Child Loop BB97_35 Depth 2
	s_lshl_b32 s7, s7, 3
	s_wait_dscnt 0x0
	v_mov_b32_e32 v14, s7
	s_barrier_signal -1
	s_barrier_wait -1
	ds_load_2addr_stride64_b64 v[14:17], v14 offset1:2
	s_wait_dscnt 0x0
	v_cmp_neq_f64_e32 vcc_lo, 0, v[16:17]
	v_readfirstlane_b32 s34, v14
	v_readfirstlane_b32 s35, v15
	s_cmp_lg_u64 s[34:35], s[20:21]
	s_cselect_b32 s7, -1, 0
	s_delay_alu instid0(SALU_CYCLE_1) | instskip(NEXT) | instid1(SALU_CYCLE_1)
	s_or_b32 s7, s4, s7
	s_or_b32 vcc_lo, vcc_lo, s7
	v_cndmask_b32_e32 v15, 0x3ff00000, v17, vcc_lo
	v_cndmask_b32_e32 v14, 0, v16, vcc_lo
	s_nor_b32 s17, s0, vcc_lo
	s_delay_alu instid0(SALU_CYCLE_1)
	s_and_saveexec_b32 s7, s17
	s_cbranch_execz .LBB97_16
; %bb.13:                               ;   in Loop: Header=BB97_12 Depth=1
	v_mbcnt_lo_u32_b32 v14, exec_lo, 0
	s_mov_b32 s17, exec_lo
	s_delay_alu instid0(VALU_DEP_1)
	v_cmpx_eq_u32_e32 0, v14
	s_cbranch_execz .LBB97_15
; %bb.14:                               ;   in Loop: Header=BB97_12 Depth=1
	v_mov_b64_e32 v[14:15], s[28:29]
	global_atomic_min_u64 v5, v[14:15], s[8:9] scope:SCOPE_DEV
.LBB97_15:                              ;   in Loop: Header=BB97_12 Depth=1
	s_wait_xcnt 0x0
	s_or_b32 exec_lo, exec_lo, s17
	v_mov_b64_e32 v[14:15], 1.0
.LBB97_16:                              ;   in Loop: Header=BB97_12 Depth=1
	s_or_b32 exec_lo, exec_lo, s7
	s_mov_b32 s33, -1
	s_mov_b32 s7, 0
	s_cmp_lt_i32 s5, 1
	s_mov_b32 s17, 0
                                        ; implicit-def: $vgpr16_vgpr17
	s_cbranch_scc0 .LBB97_23
; %bb.17:                               ;   in Loop: Header=BB97_12 Depth=1
	s_and_b32 vcc_lo, exec_lo, s33
	s_mov_b32 s33, 4
	s_cbranch_vccnz .LBB97_28
.LBB97_18:                              ;   in Loop: Header=BB97_12 Depth=1
	v_mov_b64_e32 v[18:19], v[6:7]
	s_and_b32 vcc_lo, exec_lo, s17
	s_cbranch_vccnz .LBB97_33
.LBB97_19:                              ;   in Loop: Header=BB97_12 Depth=1
	s_and_b32 vcc_lo, exec_lo, s7
	s_cbranch_vccnz .LBB97_39
.LBB97_20:                              ;   in Loop: Header=BB97_12 Depth=1
	s_mov_b32 s7, -1
	s_cmp_gt_i32 s33, 3
	s_mov_b32 s17, -1
	s_cbranch_scc0 .LBB97_40
.LBB97_21:                              ;   in Loop: Header=BB97_12 Depth=1
	s_and_not1_b32 vcc_lo, exec_lo, s17
	s_cbranch_vccz .LBB97_41
.LBB97_22:                              ;   in Loop: Header=BB97_12 Depth=1
	s_and_not1_b32 vcc_lo, exec_lo, s7
	s_cbranch_vccnz .LBB97_42
	s_branch .LBB97_44
.LBB97_23:                              ;   in Loop: Header=BB97_12 Depth=1
	s_cmp_eq_u32 s5, 1
	s_mov_b32 s17, -1
                                        ; implicit-def: $vgpr16_vgpr17
	s_cbranch_scc0 .LBB97_27
; %bb.24:                               ;   in Loop: Header=BB97_12 Depth=1
	v_cmp_ge_i64_e64 s17, s[34:35], s[20:21]
	v_mov_b64_e32 v[16:17], v[12:13]
	s_and_b32 vcc_lo, exec_lo, s17
	s_mov_b32 s17, 0
	s_cbranch_vccz .LBB97_27
; %bb.25:                               ;   in Loop: Header=BB97_12 Depth=1
	s_cmp_eq_u64 s[34:35], s[20:21]
	s_mov_b32 s17, -1
                                        ; implicit-def: $vgpr16_vgpr17
	s_cbranch_scc0 .LBB97_27
; %bb.26:                               ;   in Loop: Header=BB97_12 Depth=1
	v_div_scale_f64 v[16:17], null, v[14:15], v[14:15], 1.0
	v_div_scale_f64 v[24:25], vcc_lo, 1.0, v[14:15], 1.0
	s_mov_b32 s17, 0
	v_rcp_f64_e32 v[18:19], v[16:17]
	v_nop
	s_delay_alu instid0(TRANS32_DEP_1) | instskip(NEXT) | instid1(VALU_DEP_1)
	v_fma_f64 v[22:23], -v[16:17], v[18:19], 1.0
	v_fmac_f64_e32 v[18:19], v[18:19], v[22:23]
	s_delay_alu instid0(VALU_DEP_1) | instskip(NEXT) | instid1(VALU_DEP_1)
	v_fma_f64 v[22:23], -v[16:17], v[18:19], 1.0
	v_fmac_f64_e32 v[18:19], v[18:19], v[22:23]
	s_delay_alu instid0(VALU_DEP_1) | instskip(NEXT) | instid1(VALU_DEP_1)
	v_mul_f64_e32 v[22:23], v[24:25], v[18:19]
	v_fma_f64 v[16:17], -v[16:17], v[22:23], v[24:25]
	s_delay_alu instid0(VALU_DEP_1) | instskip(NEXT) | instid1(VALU_DEP_1)
	v_div_fmas_f64 v[16:17], v[16:17], v[18:19], v[22:23]
	v_div_fixup_f64 v[16:17], v[16:17], v[14:15], 1.0
	s_delay_alu instid0(VALU_DEP_1)
	v_dual_cndmask_b32 v17, v13, v17, s1 :: v_dual_cndmask_b32 v16, v12, v16, s1
.LBB97_27:                              ;   in Loop: Header=BB97_12 Depth=1
	s_mov_b32 s33, 4
	s_branch .LBB97_18
.LBB97_28:                              ;   in Loop: Header=BB97_12 Depth=1
	s_cmp_eq_u32 s5, 0
	s_cbranch_scc1 .LBB97_30
; %bb.29:                               ;   in Loop: Header=BB97_12 Depth=1
	s_mov_b32 s17, -1
	s_branch .LBB97_32
.LBB97_30:                              ;   in Loop: Header=BB97_12 Depth=1
	v_cmp_le_i64_e64 s17, s[34:35], s[20:21]
	s_and_b32 vcc_lo, exec_lo, s17
	s_mov_b32 s17, 0
	s_cbranch_vccz .LBB97_32
; %bb.31:                               ;   in Loop: Header=BB97_12 Depth=1
	s_cmp_lg_u64 s[34:35], s[20:21]
	s_mov_b32 s7, -1
	s_cselect_b32 s17, -1, 0
.LBB97_32:                              ;   in Loop: Header=BB97_12 Depth=1
	v_mov_b64_e32 v[16:17], v[12:13]
	s_mov_b32 s33, 2
	v_mov_b64_e32 v[18:19], v[6:7]
	s_and_b32 vcc_lo, exec_lo, s17
	s_cbranch_vccz .LBB97_19
.LBB97_33:                              ;   in Loop: Header=BB97_12 Depth=1
	s_and_saveexec_b32 s7, s3
	s_cbranch_execz .LBB97_36
; %bb.34:                               ;   in Loop: Header=BB97_12 Depth=1
	s_lshl_b64 s[36:37], s[34:35], 2
	s_delay_alu instid0(SALU_CYCLE_1)
	s_add_nc_u64 s[36:37], s[26:27], s[36:37]
	global_load_b32 v16, v5, s[36:37] scope:SCOPE_DEV
	s_wait_loadcnt 0x0
	v_cmp_ne_u32_e32 vcc_lo, 0, v16
	s_cbranch_vccnz .LBB97_36
.LBB97_35:                              ;   Parent Loop BB97_12 Depth=1
                                        ; =>  This Inner Loop Header: Depth=2
	global_load_b32 v16, v5, s[36:37] scope:SCOPE_DEV
	s_wait_loadcnt 0x0
	v_cmp_eq_u32_e32 vcc_lo, 0, v16
	s_cbranch_vccnz .LBB97_35
.LBB97_36:                              ;   in Loop: Header=BB97_12 Depth=1
	s_wait_xcnt 0x0
	s_or_b32 exec_lo, exec_lo, s7
	v_mov_b64_e32 v[18:19], 0
	s_wait_storecnt 0x0
	s_barrier_signal -1
	s_barrier_wait -1
	global_inv scope:SCOPE_DEV
	s_and_saveexec_b32 s7, s2
	s_cbranch_execz .LBB97_38
; %bb.37:                               ;   in Loop: Header=BB97_12 Depth=1
	s_mul_u64 s[34:35], s[34:35], s[10:11]
	s_delay_alu instid0(SALU_CYCLE_1)
	v_lshl_add_u64 v[16:17], s[34:35], 3, v[2:3]
	global_load_b64 v[16:17], v[16:17], off
	s_wait_loadcnt 0x0
	v_fma_f64 v[18:19], -v[14:15], v[16:17], v[6:7]
.LBB97_38:                              ;   in Loop: Header=BB97_12 Depth=1
	s_or_b32 exec_lo, exec_lo, s7
	v_mov_b64_e32 v[16:17], v[12:13]
	s_mov_b32 s33, 0
	s_branch .LBB97_20
.LBB97_39:                              ;   in Loop: Header=BB97_12 Depth=1
	v_div_scale_f64 v[16:17], null, v[14:15], v[14:15], 1.0
	v_div_scale_f64 v[24:25], vcc_lo, 1.0, v[14:15], 1.0
	s_mov_b32 s33, 2
	v_rcp_f64_e32 v[18:19], v[16:17]
	v_nop
	s_delay_alu instid0(TRANS32_DEP_1) | instskip(NEXT) | instid1(VALU_DEP_1)
	v_fma_f64 v[22:23], -v[16:17], v[18:19], 1.0
	v_fmac_f64_e32 v[18:19], v[18:19], v[22:23]
	s_delay_alu instid0(VALU_DEP_1) | instskip(NEXT) | instid1(VALU_DEP_1)
	v_fma_f64 v[22:23], -v[16:17], v[18:19], 1.0
	v_fmac_f64_e32 v[18:19], v[18:19], v[22:23]
	s_delay_alu instid0(VALU_DEP_1) | instskip(NEXT) | instid1(VALU_DEP_1)
	v_mul_f64_e32 v[22:23], v[24:25], v[18:19]
	v_fma_f64 v[16:17], -v[16:17], v[22:23], v[24:25]
	s_delay_alu instid0(VALU_DEP_1) | instskip(SKIP_1) | instid1(VALU_DEP_2)
	v_div_fmas_f64 v[16:17], v[16:17], v[18:19], v[22:23]
	v_mov_b64_e32 v[18:19], v[6:7]
	v_div_fixup_f64 v[14:15], v[16:17], v[14:15], 1.0
	s_delay_alu instid0(VALU_DEP_1)
	v_dual_cndmask_b32 v17, v13, v15, s1 :: v_dual_cndmask_b32 v16, v12, v14, s1
	s_mov_b32 s7, -1
	s_cmp_gt_i32 s33, 3
	s_mov_b32 s17, -1
	s_cbranch_scc1 .LBB97_21
.LBB97_40:                              ;   in Loop: Header=BB97_12 Depth=1
	s_cmp_eq_u32 s33, 0
	s_cselect_b32 s17, -1, 0
	s_delay_alu instid0(SALU_CYCLE_1)
	s_and_not1_b32 vcc_lo, exec_lo, s17
	s_cbranch_vccnz .LBB97_22
.LBB97_41:                              ;   in Loop: Header=BB97_12 Depth=1
	s_add_nc_u64 s[30:31], s[30:31], 1
	s_delay_alu instid0(SALU_CYCLE_1)
	v_cmp_ge_i64_e64 s7, s[30:31], s[18:19]
	s_and_not1_b32 vcc_lo, exec_lo, s7
	s_cbranch_vccz .LBB97_44
.LBB97_42:                              ;   in Loop: Header=BB97_12 Depth=1
	s_delay_alu instid0(VALU_DEP_1) | instskip(SKIP_2) | instid1(SALU_CYCLE_1)
	v_mov_b64_e32 v[6:7], v[18:19]
	v_mov_b64_e32 v[12:13], v[16:17]
	s_sub_co_i32 s7, s30, s16
	s_and_b32 s7, s7, 0x7f
	s_delay_alu instid0(SALU_CYCLE_1)
	s_cmp_lg_u32 s7, 0
	s_cbranch_scc1 .LBB97_12
	s_branch .LBB97_9
.LBB97_43:
	v_mov_b64_e32 v[18:19], v[6:7]
.LBB97_44:
	s_and_saveexec_b32 s0, s2
	s_cbranch_execz .LBB97_46
; %bb.45:
	s_delay_alu instid0(VALU_DEP_1) | instskip(SKIP_3) | instid1(VALU_DEP_2)
	v_mul_f64_e32 v[4:5], v[16:17], v[18:19]
	s_cmp_eq_u32 s6, 0
	v_lshl_add_u64 v[2:3], s[22:23], 3, v[2:3]
	s_cselect_b32 vcc_lo, -1, 0
	v_dual_cndmask_b32 v5, v19, v5 :: v_dual_cndmask_b32 v4, v18, v4
	global_store_b64 v[2:3], v[4:5], off
.LBB97_46:
	s_wait_xcnt 0x0
	s_or_b32 exec_lo, exec_lo, s0
	global_wb scope:SCOPE_DEV
	s_wait_loadcnt 0x0
	s_wait_storecnt 0x0
	global_inv scope:SCOPE_DEV
	s_wait_loadcnt 0x0
	s_barrier_signal -1
	s_barrier_wait -1
	s_mov_b32 s0, exec_lo
	v_cmpx_eq_u32_e32 0, v0
	s_cbranch_execz .LBB97_48
; %bb.47:
	s_lshl_b64 s[0:1], s[20:21], 2
	v_dual_mov_b32 v0, 0 :: v_dual_mov_b32 v1, 1
	s_add_nc_u64 s[0:1], s[14:15], s[0:1]
	s_lshl_b64 s[2:3], s[12:13], 2
	s_delay_alu instid0(SALU_CYCLE_1)
	s_add_nc_u64 s[0:1], s[0:1], s[2:3]
	global_store_b32 v0, v1, s[0:1] scope:SCOPE_DEV
.LBB97_48:
	s_endpgm
.LBB97_49:
                                        ; implicit-def: $sgpr22_sgpr23
	s_clause 0x1
	s_load_b64 s[8:9], s[0:1], 0x50
	s_load_b64 s[16:17], s[0:1], 0x20
	s_branch .LBB97_4
	.section	.rodata,"a",@progbits
	.p2align	6, 0x0
	.amdhsa_kernel _ZN9rocsparseL5csrsmILj128ELj64ELb0ElldEEv20rocsparse_operation_T3_S2_NS_24const_host_device_scalarIT4_EEPKT2_PKS2_PKS4_PS4_lPiSA_PS2_21rocsparse_index_base_20rocsparse_fill_mode_20rocsparse_diag_type_b
		.amdhsa_group_segment_fixed_size 2048
		.amdhsa_private_segment_fixed_size 0
		.amdhsa_kernarg_size 112
		.amdhsa_user_sgpr_count 2
		.amdhsa_user_sgpr_dispatch_ptr 0
		.amdhsa_user_sgpr_queue_ptr 0
		.amdhsa_user_sgpr_kernarg_segment_ptr 1
		.amdhsa_user_sgpr_dispatch_id 0
		.amdhsa_user_sgpr_kernarg_preload_length 0
		.amdhsa_user_sgpr_kernarg_preload_offset 0
		.amdhsa_user_sgpr_private_segment_size 0
		.amdhsa_wavefront_size32 1
		.amdhsa_uses_dynamic_stack 0
		.amdhsa_enable_private_segment 0
		.amdhsa_system_sgpr_workgroup_id_x 1
		.amdhsa_system_sgpr_workgroup_id_y 0
		.amdhsa_system_sgpr_workgroup_id_z 0
		.amdhsa_system_sgpr_workgroup_info 0
		.amdhsa_system_vgpr_workitem_id 0
		.amdhsa_next_free_vgpr 26
		.amdhsa_next_free_sgpr 38
		.amdhsa_named_barrier_count 0
		.amdhsa_reserve_vcc 1
		.amdhsa_float_round_mode_32 0
		.amdhsa_float_round_mode_16_64 0
		.amdhsa_float_denorm_mode_32 3
		.amdhsa_float_denorm_mode_16_64 3
		.amdhsa_fp16_overflow 0
		.amdhsa_memory_ordered 1
		.amdhsa_forward_progress 1
		.amdhsa_inst_pref_size 18
		.amdhsa_round_robin_scheduling 0
		.amdhsa_exception_fp_ieee_invalid_op 0
		.amdhsa_exception_fp_denorm_src 0
		.amdhsa_exception_fp_ieee_div_zero 0
		.amdhsa_exception_fp_ieee_overflow 0
		.amdhsa_exception_fp_ieee_underflow 0
		.amdhsa_exception_fp_ieee_inexact 0
		.amdhsa_exception_int_div_zero 0
	.end_amdhsa_kernel
	.section	.text._ZN9rocsparseL5csrsmILj128ELj64ELb0ElldEEv20rocsparse_operation_T3_S2_NS_24const_host_device_scalarIT4_EEPKT2_PKS2_PKS4_PS4_lPiSA_PS2_21rocsparse_index_base_20rocsparse_fill_mode_20rocsparse_diag_type_b,"axG",@progbits,_ZN9rocsparseL5csrsmILj128ELj64ELb0ElldEEv20rocsparse_operation_T3_S2_NS_24const_host_device_scalarIT4_EEPKT2_PKS2_PKS4_PS4_lPiSA_PS2_21rocsparse_index_base_20rocsparse_fill_mode_20rocsparse_diag_type_b,comdat
.Lfunc_end97:
	.size	_ZN9rocsparseL5csrsmILj128ELj64ELb0ElldEEv20rocsparse_operation_T3_S2_NS_24const_host_device_scalarIT4_EEPKT2_PKS2_PKS4_PS4_lPiSA_PS2_21rocsparse_index_base_20rocsparse_fill_mode_20rocsparse_diag_type_b, .Lfunc_end97-_ZN9rocsparseL5csrsmILj128ELj64ELb0ElldEEv20rocsparse_operation_T3_S2_NS_24const_host_device_scalarIT4_EEPKT2_PKS2_PKS4_PS4_lPiSA_PS2_21rocsparse_index_base_20rocsparse_fill_mode_20rocsparse_diag_type_b
                                        ; -- End function
	.set _ZN9rocsparseL5csrsmILj128ELj64ELb0ElldEEv20rocsparse_operation_T3_S2_NS_24const_host_device_scalarIT4_EEPKT2_PKS2_PKS4_PS4_lPiSA_PS2_21rocsparse_index_base_20rocsparse_fill_mode_20rocsparse_diag_type_b.num_vgpr, 26
	.set _ZN9rocsparseL5csrsmILj128ELj64ELb0ElldEEv20rocsparse_operation_T3_S2_NS_24const_host_device_scalarIT4_EEPKT2_PKS2_PKS4_PS4_lPiSA_PS2_21rocsparse_index_base_20rocsparse_fill_mode_20rocsparse_diag_type_b.num_agpr, 0
	.set _ZN9rocsparseL5csrsmILj128ELj64ELb0ElldEEv20rocsparse_operation_T3_S2_NS_24const_host_device_scalarIT4_EEPKT2_PKS2_PKS4_PS4_lPiSA_PS2_21rocsparse_index_base_20rocsparse_fill_mode_20rocsparse_diag_type_b.numbered_sgpr, 38
	.set _ZN9rocsparseL5csrsmILj128ELj64ELb0ElldEEv20rocsparse_operation_T3_S2_NS_24const_host_device_scalarIT4_EEPKT2_PKS2_PKS4_PS4_lPiSA_PS2_21rocsparse_index_base_20rocsparse_fill_mode_20rocsparse_diag_type_b.num_named_barrier, 0
	.set _ZN9rocsparseL5csrsmILj128ELj64ELb0ElldEEv20rocsparse_operation_T3_S2_NS_24const_host_device_scalarIT4_EEPKT2_PKS2_PKS4_PS4_lPiSA_PS2_21rocsparse_index_base_20rocsparse_fill_mode_20rocsparse_diag_type_b.private_seg_size, 0
	.set _ZN9rocsparseL5csrsmILj128ELj64ELb0ElldEEv20rocsparse_operation_T3_S2_NS_24const_host_device_scalarIT4_EEPKT2_PKS2_PKS4_PS4_lPiSA_PS2_21rocsparse_index_base_20rocsparse_fill_mode_20rocsparse_diag_type_b.uses_vcc, 1
	.set _ZN9rocsparseL5csrsmILj128ELj64ELb0ElldEEv20rocsparse_operation_T3_S2_NS_24const_host_device_scalarIT4_EEPKT2_PKS2_PKS4_PS4_lPiSA_PS2_21rocsparse_index_base_20rocsparse_fill_mode_20rocsparse_diag_type_b.uses_flat_scratch, 0
	.set _ZN9rocsparseL5csrsmILj128ELj64ELb0ElldEEv20rocsparse_operation_T3_S2_NS_24const_host_device_scalarIT4_EEPKT2_PKS2_PKS4_PS4_lPiSA_PS2_21rocsparse_index_base_20rocsparse_fill_mode_20rocsparse_diag_type_b.has_dyn_sized_stack, 0
	.set _ZN9rocsparseL5csrsmILj128ELj64ELb0ElldEEv20rocsparse_operation_T3_S2_NS_24const_host_device_scalarIT4_EEPKT2_PKS2_PKS4_PS4_lPiSA_PS2_21rocsparse_index_base_20rocsparse_fill_mode_20rocsparse_diag_type_b.has_recursion, 0
	.set _ZN9rocsparseL5csrsmILj128ELj64ELb0ElldEEv20rocsparse_operation_T3_S2_NS_24const_host_device_scalarIT4_EEPKT2_PKS2_PKS4_PS4_lPiSA_PS2_21rocsparse_index_base_20rocsparse_fill_mode_20rocsparse_diag_type_b.has_indirect_call, 0
	.section	.AMDGPU.csdata,"",@progbits
; Kernel info:
; codeLenInByte = 2300
; TotalNumSgprs: 40
; NumVgprs: 26
; ScratchSize: 0
; MemoryBound: 0
; FloatMode: 240
; IeeeMode: 1
; LDSByteSize: 2048 bytes/workgroup (compile time only)
; SGPRBlocks: 0
; VGPRBlocks: 1
; NumSGPRsForWavesPerEU: 40
; NumVGPRsForWavesPerEU: 26
; NamedBarCnt: 0
; Occupancy: 16
; WaveLimiterHint : 1
; COMPUTE_PGM_RSRC2:SCRATCH_EN: 0
; COMPUTE_PGM_RSRC2:USER_SGPR: 2
; COMPUTE_PGM_RSRC2:TRAP_HANDLER: 0
; COMPUTE_PGM_RSRC2:TGID_X_EN: 1
; COMPUTE_PGM_RSRC2:TGID_Y_EN: 0
; COMPUTE_PGM_RSRC2:TGID_Z_EN: 0
; COMPUTE_PGM_RSRC2:TIDIG_COMP_CNT: 0
	.section	.text._ZN9rocsparseL5csrsmILj256ELj64ELb1ElldEEv20rocsparse_operation_T3_S2_NS_24const_host_device_scalarIT4_EEPKT2_PKS2_PKS4_PS4_lPiSA_PS2_21rocsparse_index_base_20rocsparse_fill_mode_20rocsparse_diag_type_b,"axG",@progbits,_ZN9rocsparseL5csrsmILj256ELj64ELb1ElldEEv20rocsparse_operation_T3_S2_NS_24const_host_device_scalarIT4_EEPKT2_PKS2_PKS4_PS4_lPiSA_PS2_21rocsparse_index_base_20rocsparse_fill_mode_20rocsparse_diag_type_b,comdat
	.globl	_ZN9rocsparseL5csrsmILj256ELj64ELb1ElldEEv20rocsparse_operation_T3_S2_NS_24const_host_device_scalarIT4_EEPKT2_PKS2_PKS4_PS4_lPiSA_PS2_21rocsparse_index_base_20rocsparse_fill_mode_20rocsparse_diag_type_b ; -- Begin function _ZN9rocsparseL5csrsmILj256ELj64ELb1ElldEEv20rocsparse_operation_T3_S2_NS_24const_host_device_scalarIT4_EEPKT2_PKS2_PKS4_PS4_lPiSA_PS2_21rocsparse_index_base_20rocsparse_fill_mode_20rocsparse_diag_type_b
	.p2align	8
	.type	_ZN9rocsparseL5csrsmILj256ELj64ELb1ElldEEv20rocsparse_operation_T3_S2_NS_24const_host_device_scalarIT4_EEPKT2_PKS2_PKS4_PS4_lPiSA_PS2_21rocsparse_index_base_20rocsparse_fill_mode_20rocsparse_diag_type_b,@function
_ZN9rocsparseL5csrsmILj256ELj64ELb1ElldEEv20rocsparse_operation_T3_S2_NS_24const_host_device_scalarIT4_EEPKT2_PKS2_PKS4_PS4_lPiSA_PS2_21rocsparse_index_base_20rocsparse_fill_mode_20rocsparse_diag_type_b: ; @_ZN9rocsparseL5csrsmILj256ELj64ELb1ElldEEv20rocsparse_operation_T3_S2_NS_24const_host_device_scalarIT4_EEPKT2_PKS2_PKS4_PS4_lPiSA_PS2_21rocsparse_index_base_20rocsparse_fill_mode_20rocsparse_diag_type_b
; %bb.0:
	s_clause 0x2
	s_load_b128 s[4:7], s[0:1], 0x60
	s_load_b64 s[2:3], s[0:1], 0x18
	s_load_b128 s[12:15], s[0:1], 0x8
	s_wait_kmcnt 0x0
	s_bitcmp1_b32 s7, 0
	v_mov_b64_e32 v[2:3], s[2:3]
	s_cselect_b32 s7, -1, 0
	s_delay_alu instid0(SALU_CYCLE_1)
	s_and_b32 vcc_lo, exec_lo, s7
	s_cbranch_vccnz .LBB98_2
; %bb.1:
	v_mov_b32_e32 v1, 0
	flat_load_b64 v[2:3], v1, s[2:3]
.LBB98_2:
	s_wait_xcnt 0x0
	s_bfe_u32 s2, ttmp6, 0x4000c
	s_and_b32 s3, ttmp6, 15
	s_add_co_i32 s2, s2, 1
	s_getreg_b32 s7, hwreg(HW_REG_IB_STS2, 6, 4)
	s_mul_i32 s2, ttmp9, s2
	s_delay_alu instid0(SALU_CYCLE_1)
	s_add_co_i32 s3, s3, s2
	s_cmp_eq_u32 s7, 0
	s_cselect_b32 s2, ttmp9, s3
	s_and_b64 s[8:9], s[12:13], 0xffffffff00000000
	s_mov_b32 s3, 0
	s_cmp_lg_u64 s[8:9], 0
	s_cbranch_scc0 .LBB98_52
; %bb.3:
	s_ashr_i32 s8, s13, 31
	s_mov_b32 s21, s3
	s_mov_b32 s9, s8
	s_mov_b32 s25, s3
	s_add_nc_u64 s[10:11], s[12:13], s[8:9]
	s_delay_alu instid0(SALU_CYCLE_1) | instskip(NEXT) | instid1(SALU_CYCLE_1)
	s_xor_b64 s[10:11], s[10:11], s[8:9]
	s_cvt_f32_u32 s7, s10
	s_cvt_f32_u32 s16, s11
	s_sub_nc_u64 s[18:19], 0, s[10:11]
	s_delay_alu instid0(SALU_CYCLE_2) | instskip(NEXT) | instid1(SALU_CYCLE_3)
	s_fmamk_f32 s7, s16, 0x4f800000, s7
	v_s_rcp_f32 s7, s7
	s_delay_alu instid0(TRANS32_DEP_1) | instskip(NEXT) | instid1(SALU_CYCLE_3)
	s_mul_f32 s7, s7, 0x5f7ffffc
	s_mul_f32 s16, s7, 0x2f800000
	s_delay_alu instid0(SALU_CYCLE_3) | instskip(NEXT) | instid1(SALU_CYCLE_3)
	s_trunc_f32 s16, s16
	s_fmamk_f32 s7, s16, 0xcf800000, s7
	s_cvt_u32_f32 s17, s16
	s_delay_alu instid0(SALU_CYCLE_2) | instskip(NEXT) | instid1(SALU_CYCLE_3)
	s_cvt_u32_f32 s16, s7
	s_mul_u64 s[22:23], s[18:19], s[16:17]
	s_delay_alu instid0(SALU_CYCLE_1)
	s_mul_hi_u32 s27, s16, s23
	s_mul_i32 s26, s16, s23
	s_mul_hi_u32 s20, s16, s22
	s_mul_i32 s24, s17, s22
	s_add_nc_u64 s[20:21], s[20:21], s[26:27]
	s_mul_hi_u32 s7, s17, s22
	s_mul_hi_u32 s28, s17, s23
	s_add_co_u32 s20, s20, s24
	s_add_co_ci_u32 s24, s21, s7
	s_mul_i32 s22, s17, s23
	s_add_co_ci_u32 s23, s28, 0
	s_delay_alu instid0(SALU_CYCLE_1) | instskip(SKIP_3) | instid1(SALU_CYCLE_1)
	s_add_nc_u64 s[20:21], s[24:25], s[22:23]
	s_mov_b32 s23, s3
	s_add_co_u32 s16, s16, s20
	s_cselect_b32 s7, -1, 0
	s_cmp_lg_u32 s7, 0
	s_add_co_ci_u32 s17, s17, s21
	s_mov_b32 s21, s3
	s_mul_u64 s[18:19], s[18:19], s[16:17]
	s_delay_alu instid0(SALU_CYCLE_1)
	s_mul_hi_u32 s25, s16, s19
	s_mul_i32 s24, s16, s19
	s_mul_hi_u32 s20, s16, s18
	s_mul_i32 s22, s17, s18
	s_add_nc_u64 s[20:21], s[20:21], s[24:25]
	s_mul_hi_u32 s7, s17, s18
	s_mul_hi_u32 s26, s17, s19
	s_mul_i32 s18, s17, s19
	s_add_co_u32 s19, s20, s22
	s_add_co_ci_u32 s22, s21, s7
	s_add_co_ci_u32 s19, s26, 0
	s_add_nc_u64 s[20:21], s[2:3], 0
	s_add_nc_u64 s[18:19], s[22:23], s[18:19]
	s_delay_alu instid0(SALU_CYCLE_1) | instskip(SKIP_1) | instid1(SALU_CYCLE_1)
	s_add_co_u32 s7, s16, s18
	s_cselect_b32 s16, -1, 0
	s_cmp_lg_u32 s16, 0
	s_add_co_ci_u32 s18, s17, s19
	s_xor_b64 s[16:17], s[20:21], 0
	s_mov_b32 s19, s3
	s_mul_hi_u32 s21, s16, s18
	s_mul_i32 s20, s16, s18
	s_mul_hi_u32 s22, s16, s7
	s_mul_hi_u32 s25, s17, s7
	s_mul_i32 s7, s17, s7
	s_add_nc_u64 s[20:21], s[22:23], s[20:21]
	s_mul_hi_u32 s24, s17, s18
	s_add_co_u32 s7, s20, s7
	s_mul_i32 s22, s17, s18
	s_add_co_ci_u32 s18, s21, s25
	s_add_co_ci_u32 s23, s24, 0
	s_delay_alu instid0(SALU_CYCLE_1) | instskip(NEXT) | instid1(SALU_CYCLE_1)
	s_add_nc_u64 s[18:19], s[18:19], s[22:23]
	s_and_b64 s[20:21], s[18:19], 0xffffffff00000000
	s_delay_alu instid0(SALU_CYCLE_1) | instskip(NEXT) | instid1(SALU_CYCLE_1)
	s_or_b32 s20, s20, s18
	s_mul_u64 s[18:19], s[10:11], s[20:21]
	s_delay_alu instid0(SALU_CYCLE_1)
	s_sub_co_u32 s7, s16, s18
	s_cselect_b32 s16, -1, 0
	s_sub_co_i32 s18, s17, s19
	s_cmp_lg_u32 s16, 0
	s_sub_co_ci_u32 s18, s18, s11
	s_sub_co_u32 s22, s7, s10
	s_cselect_b32 s23, -1, 0
	s_delay_alu instid0(SALU_CYCLE_1) | instskip(SKIP_1) | instid1(SALU_CYCLE_1)
	s_cmp_lg_u32 s23, 0
	s_sub_co_ci_u32 s18, s18, 0
	s_cmp_ge_u32 s18, s11
	s_cselect_b32 s24, -1, 0
	s_cmp_ge_u32 s22, s10
	s_add_nc_u64 s[22:23], s[20:21], 1
	s_cselect_b32 s25, -1, 0
	s_cmp_eq_u32 s18, s11
	s_cselect_b32 s18, s25, s24
	s_add_nc_u64 s[24:25], s[20:21], 2
	s_cmp_lg_u32 s18, 0
	s_cselect_b32 s18, s24, s22
	s_cselect_b32 s22, s25, s23
	s_cmp_lg_u32 s16, 0
	s_sub_co_ci_u32 s16, s17, s19
	s_delay_alu instid0(SALU_CYCLE_1)
	s_cmp_ge_u32 s16, s11
	s_cselect_b32 s17, -1, 0
	s_cmp_ge_u32 s7, s10
	s_cselect_b32 s7, -1, 0
	s_cmp_eq_u32 s16, s11
	s_cselect_b32 s7, s7, s17
	s_delay_alu instid0(SALU_CYCLE_1) | instskip(SKIP_4) | instid1(SALU_CYCLE_1)
	s_cmp_lg_u32 s7, 0
	s_mov_b32 s7, s3
	s_cselect_b32 s11, s22, s21
	s_cselect_b32 s10, s18, s20
	s_xor_b64 s[8:9], 0, s[8:9]
	s_xor_b64 s[10:11], s[10:11], s[8:9]
	s_delay_alu instid0(SALU_CYCLE_1)
	s_sub_nc_u64 s[22:23], s[10:11], s[8:9]
	s_clause 0x1
	s_load_b64 s[8:9], s[0:1], 0x50
	s_load_b64 s[16:17], s[0:1], 0x20
	s_and_not1_b32 vcc_lo, exec_lo, s7
	s_cbranch_vccnz .LBB98_5
.LBB98_4:
	v_cvt_f32_u32_e32 v1, s12
	s_sub_co_i32 s10, 0, s12
	s_mov_b32 s23, 0
	s_delay_alu instid0(VALU_DEP_1) | instskip(SKIP_1) | instid1(TRANS32_DEP_1)
	v_rcp_iflag_f32_e32 v1, v1
	v_nop
	v_mul_f32_e32 v1, 0x4f7ffffe, v1
	s_delay_alu instid0(VALU_DEP_1) | instskip(NEXT) | instid1(VALU_DEP_1)
	v_cvt_u32_f32_e32 v1, v1
	v_readfirstlane_b32 s7, v1
	s_mul_i32 s10, s10, s7
	s_delay_alu instid0(SALU_CYCLE_1) | instskip(NEXT) | instid1(SALU_CYCLE_1)
	s_mul_hi_u32 s10, s7, s10
	s_add_co_i32 s7, s7, s10
	s_delay_alu instid0(SALU_CYCLE_1) | instskip(NEXT) | instid1(SALU_CYCLE_1)
	s_mul_hi_u32 s7, s2, s7
	s_mul_i32 s10, s7, s12
	s_add_co_i32 s11, s7, 1
	s_sub_co_i32 s10, s2, s10
	s_delay_alu instid0(SALU_CYCLE_1)
	s_sub_co_i32 s18, s10, s12
	s_cmp_ge_u32 s10, s12
	s_cselect_b32 s7, s11, s7
	s_cselect_b32 s10, s18, s10
	s_add_co_i32 s11, s7, 1
	s_cmp_ge_u32 s10, s12
	s_cselect_b32 s22, s11, s7
.LBB98_5:
	s_delay_alu instid0(SALU_CYCLE_1)
	s_mul_u64 s[12:13], s[22:23], s[12:13]
	v_mov_b64_e32 v[6:7], 0
	s_sub_nc_u64 s[2:3], s[2:3], s[12:13]
	v_mov_b32_e32 v1, 0
	s_lshl_b64 s[2:3], s[2:3], 3
	s_wait_kmcnt 0x0
	s_add_nc_u64 s[2:3], s[8:9], s[2:3]
	s_load_b128 s[8:11], s[0:1], 0x38
	s_load_b64 s[20:21], s[2:3], 0x0
	s_wait_kmcnt 0x0
	s_lshl_b64 s[2:3], s[20:21], 3
	s_delay_alu instid0(SALU_CYCLE_1)
	s_add_nc_u64 s[2:3], s[16:17], s[2:3]
	s_load_b128 s[16:19], s[2:3], 0x0
	s_wait_xcnt 0x0
	s_lshl_b64 s[2:3], s[22:23], 8
	s_mul_u64 s[22:23], s[20:21], s[10:11]
	v_dual_mov_b32 v5, s3 :: v_dual_bitop2_b32 v4, s2, v0 bitop3:0x54
	s_delay_alu instid0(VALU_DEP_1)
	v_cmp_gt_i64_e64 s2, s[14:15], v[4:5]
	s_and_saveexec_b32 s3, s2
	s_cbranch_execz .LBB98_7
; %bb.6:
	v_add_nc_u64_e32 v[6:7], s[22:23], v[4:5]
	s_delay_alu instid0(VALU_DEP_1)
	v_lshl_add_u64 v[6:7], v[6:7], 3, s[8:9]
	global_load_b64 v[6:7], v[6:7], off
	s_wait_loadcnt_dscnt 0x0
	v_mul_f64_e32 v[6:7], v[2:3], v[6:7]
.LBB98_7:
	s_or_b32 exec_lo, exec_lo, s3
	s_load_b64 s[14:15], s[0:1], 0x48
	s_wait_kmcnt 0x0
	v_cmp_ge_i64_e64 s3, s[16:17], s[18:19]
	v_mov_b64_e32 v[16:17], 1.0
	s_wait_loadcnt_dscnt 0x0
	v_lshl_add_u64 v[2:3], v[4:5], 3, s[8:9]
	s_and_b32 vcc_lo, exec_lo, s3
	v_cmp_eq_u32_e64 s3, 0, v0
	s_cbranch_vccnz .LBB98_46
; %bb.8:
	s_clause 0x1
	s_load_b128 s[28:31], s[0:1], 0x28
	s_load_b64 s[8:9], s[0:1], 0x58
	v_dual_mov_b32 v5, 0 :: v_dual_lshlrev_b32 v4, 3, v0
	s_wait_xcnt 0x0
	s_lshl_b64 s[0:1], s[12:13], 2
	v_mov_b64_e32 v[12:13], 1.0
	s_mov_b32 s25, 0
	s_mov_b32 s24, s4
	s_cmp_lg_u32 s6, 0
	s_add_nc_u64 s[26:27], s[14:15], s[0:1]
	v_or_b32_e32 v20, 0x800, v4
	v_cmp_ne_u32_e64 s0, 0, v0
	s_sub_nc_u64 s[16:17], s[16:17], s[24:25]
	s_cselect_b32 s4, -1, 0
	s_cmp_eq_u32 s6, 0
	s_sub_nc_u64 s[18:19], s[18:19], s[24:25]
	s_cselect_b32 s1, -1, 0
	s_wait_kmcnt 0x0
	v_add_nc_u64_e32 v[8:9], s[28:29], v[4:5]
	v_add_nc_u64_e32 v[10:11], s[30:31], v[4:5]
	s_add_nc_u64 s[28:29], s[20:21], s[24:25]
	s_mov_b64 s[30:31], s[16:17]
	s_delay_alu instid0(SALU_CYCLE_1) | instskip(NEXT) | instid1(SALU_CYCLE_1)
	s_sub_co_i32 s7, s30, s16
	s_and_b32 s7, s7, 0xff
	s_delay_alu instid0(SALU_CYCLE_1)
	s_cmp_lg_u32 s7, 0
	s_cbranch_scc1 .LBB98_12
.LBB98_9:
	v_mov_b64_e32 v[14:15], -1.0
	v_mov_b64_e32 v[16:17], -1
	s_sub_nc_u64 s[34:35], s[18:19], s[30:31]
	s_mov_b32 s17, exec_lo
	v_cmpx_gt_i64_e64 s[34:35], v[0:1]
	s_cbranch_execz .LBB98_11
; %bb.10:
	s_lshl_b64 s[34:35], s[30:31], 3
	s_delay_alu instid0(SALU_CYCLE_1)
	v_add_nc_u64_e32 v[14:15], s[34:35], v[8:9]
	global_load_b64 v[16:17], v[14:15], off
	s_wait_xcnt 0x0
	v_add_nc_u64_e32 v[14:15], s[34:35], v[10:11]
	global_load_b64 v[14:15], v[14:15], off
	s_wait_loadcnt 0x1
	v_sub_nc_u64_e64 v[16:17], v[16:17], s[24:25]
.LBB98_11:
	s_wait_xcnt 0x0
	s_or_b32 exec_lo, exec_lo, s17
	ds_store_b64 v4, v[16:17]
	s_wait_loadcnt 0x0
	ds_store_b64 v20, v[14:15]
.LBB98_12:                              ; =>This Loop Header: Depth=1
                                        ;     Child Loop BB98_44 Depth 2
                                        ;       Child Loop BB98_45 Depth 3
	s_lshl_b32 s7, s7, 3
	s_wait_dscnt 0x0
	v_mov_b32_e32 v14, s7
	s_barrier_signal -1
	s_barrier_wait -1
	ds_load_2addr_stride64_b64 v[14:17], v14 offset1:4
	s_wait_dscnt 0x0
	v_cmp_neq_f64_e32 vcc_lo, 0, v[16:17]
	v_readfirstlane_b32 s34, v14
	v_readfirstlane_b32 s35, v15
	s_cmp_lg_u64 s[34:35], s[20:21]
	s_cselect_b32 s7, -1, 0
	s_delay_alu instid0(SALU_CYCLE_1) | instskip(NEXT) | instid1(SALU_CYCLE_1)
	s_or_b32 s7, s4, s7
	s_or_b32 vcc_lo, vcc_lo, s7
	v_cndmask_b32_e32 v15, 0x3ff00000, v17, vcc_lo
	v_cndmask_b32_e32 v14, 0, v16, vcc_lo
	s_nor_b32 s17, s0, vcc_lo
	s_delay_alu instid0(SALU_CYCLE_1)
	s_and_saveexec_b32 s7, s17
	s_cbranch_execz .LBB98_16
; %bb.13:                               ;   in Loop: Header=BB98_12 Depth=1
	v_mbcnt_lo_u32_b32 v14, exec_lo, 0
	s_mov_b32 s17, exec_lo
	s_delay_alu instid0(VALU_DEP_1)
	v_cmpx_eq_u32_e32 0, v14
	s_cbranch_execz .LBB98_15
; %bb.14:                               ;   in Loop: Header=BB98_12 Depth=1
	v_mov_b64_e32 v[14:15], s[28:29]
	global_atomic_min_u64 v5, v[14:15], s[8:9] scope:SCOPE_DEV
.LBB98_15:                              ;   in Loop: Header=BB98_12 Depth=1
	s_wait_xcnt 0x0
	s_or_b32 exec_lo, exec_lo, s17
	v_mov_b64_e32 v[14:15], 1.0
.LBB98_16:                              ;   in Loop: Header=BB98_12 Depth=1
	s_or_b32 exec_lo, exec_lo, s7
	s_mov_b32 s33, -1
	s_mov_b32 s7, 0
	s_cmp_lt_i32 s5, 1
	s_mov_b32 s17, 0
                                        ; implicit-def: $vgpr16_vgpr17
	s_cbranch_scc0 .LBB98_23
; %bb.17:                               ;   in Loop: Header=BB98_12 Depth=1
	s_and_b32 vcc_lo, exec_lo, s33
	s_mov_b32 s33, 4
	s_cbranch_vccnz .LBB98_28
.LBB98_18:                              ;   in Loop: Header=BB98_12 Depth=1
	v_mov_b64_e32 v[18:19], v[6:7]
	s_and_b32 vcc_lo, exec_lo, s17
	s_cbranch_vccnz .LBB98_33
.LBB98_19:                              ;   in Loop: Header=BB98_12 Depth=1
	s_and_b32 vcc_lo, exec_lo, s7
	s_cbranch_vccnz .LBB98_38
.LBB98_20:                              ;   in Loop: Header=BB98_12 Depth=1
	s_mov_b32 s7, -1
	s_cmp_gt_i32 s33, 3
	s_mov_b32 s17, -1
	s_cbranch_scc0 .LBB98_39
.LBB98_21:                              ;   in Loop: Header=BB98_12 Depth=1
	s_and_not1_b32 vcc_lo, exec_lo, s17
	s_cbranch_vccz .LBB98_40
.LBB98_22:                              ;   in Loop: Header=BB98_12 Depth=1
	s_and_not1_b32 vcc_lo, exec_lo, s7
	s_cbranch_vccnz .LBB98_41
	s_branch .LBB98_47
.LBB98_23:                              ;   in Loop: Header=BB98_12 Depth=1
	s_cmp_eq_u32 s5, 1
	s_mov_b32 s17, -1
                                        ; implicit-def: $vgpr16_vgpr17
	s_cbranch_scc0 .LBB98_27
; %bb.24:                               ;   in Loop: Header=BB98_12 Depth=1
	v_cmp_ge_i64_e64 s17, s[34:35], s[20:21]
	v_mov_b64_e32 v[16:17], v[12:13]
	s_and_b32 vcc_lo, exec_lo, s17
	s_mov_b32 s17, 0
	s_cbranch_vccz .LBB98_27
; %bb.25:                               ;   in Loop: Header=BB98_12 Depth=1
	s_cmp_eq_u64 s[34:35], s[20:21]
	s_mov_b32 s17, -1
                                        ; implicit-def: $vgpr16_vgpr17
	s_cbranch_scc0 .LBB98_27
; %bb.26:                               ;   in Loop: Header=BB98_12 Depth=1
	v_div_scale_f64 v[16:17], null, v[14:15], v[14:15], 1.0
	v_div_scale_f64 v[24:25], vcc_lo, 1.0, v[14:15], 1.0
	s_mov_b32 s17, 0
	v_rcp_f64_e32 v[18:19], v[16:17]
	v_nop
	s_delay_alu instid0(TRANS32_DEP_1) | instskip(NEXT) | instid1(VALU_DEP_1)
	v_fma_f64 v[22:23], -v[16:17], v[18:19], 1.0
	v_fmac_f64_e32 v[18:19], v[18:19], v[22:23]
	s_delay_alu instid0(VALU_DEP_1) | instskip(NEXT) | instid1(VALU_DEP_1)
	v_fma_f64 v[22:23], -v[16:17], v[18:19], 1.0
	v_fmac_f64_e32 v[18:19], v[18:19], v[22:23]
	s_delay_alu instid0(VALU_DEP_1) | instskip(NEXT) | instid1(VALU_DEP_1)
	v_mul_f64_e32 v[22:23], v[24:25], v[18:19]
	v_fma_f64 v[16:17], -v[16:17], v[22:23], v[24:25]
	s_delay_alu instid0(VALU_DEP_1) | instskip(NEXT) | instid1(VALU_DEP_1)
	v_div_fmas_f64 v[16:17], v[16:17], v[18:19], v[22:23]
	v_div_fixup_f64 v[16:17], v[16:17], v[14:15], 1.0
	s_delay_alu instid0(VALU_DEP_1)
	v_dual_cndmask_b32 v17, v13, v17, s1 :: v_dual_cndmask_b32 v16, v12, v16, s1
.LBB98_27:                              ;   in Loop: Header=BB98_12 Depth=1
	s_mov_b32 s33, 4
	s_branch .LBB98_18
.LBB98_28:                              ;   in Loop: Header=BB98_12 Depth=1
	s_cmp_eq_u32 s5, 0
	s_cbranch_scc1 .LBB98_30
; %bb.29:                               ;   in Loop: Header=BB98_12 Depth=1
	s_mov_b32 s17, -1
	s_branch .LBB98_32
.LBB98_30:                              ;   in Loop: Header=BB98_12 Depth=1
	v_cmp_le_i64_e64 s17, s[34:35], s[20:21]
	s_and_b32 vcc_lo, exec_lo, s17
	s_mov_b32 s17, 0
	s_cbranch_vccz .LBB98_32
; %bb.31:                               ;   in Loop: Header=BB98_12 Depth=1
	s_cmp_lg_u64 s[34:35], s[20:21]
	s_mov_b32 s7, -1
	s_cselect_b32 s17, -1, 0
.LBB98_32:                              ;   in Loop: Header=BB98_12 Depth=1
	v_mov_b64_e32 v[16:17], v[12:13]
	s_mov_b32 s33, 2
	v_mov_b64_e32 v[18:19], v[6:7]
	s_and_b32 vcc_lo, exec_lo, s17
	s_cbranch_vccz .LBB98_19
.LBB98_33:                              ;   in Loop: Header=BB98_12 Depth=1
	s_and_saveexec_b32 s7, s3
	s_cbranch_execz .LBB98_35
; %bb.34:                               ;   in Loop: Header=BB98_12 Depth=1
	s_lshl_b64 s[36:37], s[34:35], 2
	s_delay_alu instid0(SALU_CYCLE_1)
	s_add_nc_u64 s[36:37], s[26:27], s[36:37]
	global_load_b32 v16, v5, s[36:37] scope:SCOPE_DEV
	s_wait_loadcnt 0x0
	v_cmp_ne_u32_e32 vcc_lo, 0, v16
	s_cbranch_vccz .LBB98_42
.LBB98_35:                              ;   in Loop: Header=BB98_12 Depth=1
	s_wait_xcnt 0x0
	s_or_b32 exec_lo, exec_lo, s7
	v_mov_b64_e32 v[18:19], 0
	s_wait_storecnt 0x0
	s_barrier_signal -1
	s_barrier_wait -1
	global_inv scope:SCOPE_DEV
	s_and_saveexec_b32 s7, s2
	s_cbranch_execz .LBB98_37
; %bb.36:                               ;   in Loop: Header=BB98_12 Depth=1
	s_mul_u64 s[34:35], s[34:35], s[10:11]
	s_delay_alu instid0(SALU_CYCLE_1)
	v_lshl_add_u64 v[16:17], s[34:35], 3, v[2:3]
	global_load_b64 v[16:17], v[16:17], off
	s_wait_loadcnt 0x0
	v_fma_f64 v[18:19], -v[14:15], v[16:17], v[6:7]
.LBB98_37:                              ;   in Loop: Header=BB98_12 Depth=1
	s_or_b32 exec_lo, exec_lo, s7
	v_mov_b64_e32 v[16:17], v[12:13]
	s_mov_b32 s33, 0
	s_branch .LBB98_20
.LBB98_38:                              ;   in Loop: Header=BB98_12 Depth=1
	v_div_scale_f64 v[16:17], null, v[14:15], v[14:15], 1.0
	v_div_scale_f64 v[24:25], vcc_lo, 1.0, v[14:15], 1.0
	s_mov_b32 s33, 2
	v_rcp_f64_e32 v[18:19], v[16:17]
	v_nop
	s_delay_alu instid0(TRANS32_DEP_1) | instskip(NEXT) | instid1(VALU_DEP_1)
	v_fma_f64 v[22:23], -v[16:17], v[18:19], 1.0
	v_fmac_f64_e32 v[18:19], v[18:19], v[22:23]
	s_delay_alu instid0(VALU_DEP_1) | instskip(NEXT) | instid1(VALU_DEP_1)
	v_fma_f64 v[22:23], -v[16:17], v[18:19], 1.0
	v_fmac_f64_e32 v[18:19], v[18:19], v[22:23]
	s_delay_alu instid0(VALU_DEP_1) | instskip(NEXT) | instid1(VALU_DEP_1)
	v_mul_f64_e32 v[22:23], v[24:25], v[18:19]
	v_fma_f64 v[16:17], -v[16:17], v[22:23], v[24:25]
	s_delay_alu instid0(VALU_DEP_1) | instskip(SKIP_1) | instid1(VALU_DEP_2)
	v_div_fmas_f64 v[16:17], v[16:17], v[18:19], v[22:23]
	v_mov_b64_e32 v[18:19], v[6:7]
	v_div_fixup_f64 v[14:15], v[16:17], v[14:15], 1.0
	s_delay_alu instid0(VALU_DEP_1)
	v_dual_cndmask_b32 v17, v13, v15, s1 :: v_dual_cndmask_b32 v16, v12, v14, s1
	s_mov_b32 s7, -1
	s_cmp_gt_i32 s33, 3
	s_mov_b32 s17, -1
	s_cbranch_scc1 .LBB98_21
.LBB98_39:                              ;   in Loop: Header=BB98_12 Depth=1
	s_cmp_eq_u32 s33, 0
	s_cselect_b32 s17, -1, 0
	s_delay_alu instid0(SALU_CYCLE_1)
	s_and_not1_b32 vcc_lo, exec_lo, s17
	s_cbranch_vccnz .LBB98_22
.LBB98_40:                              ;   in Loop: Header=BB98_12 Depth=1
	s_add_nc_u64 s[30:31], s[30:31], 1
	s_delay_alu instid0(SALU_CYCLE_1)
	v_cmp_ge_i64_e64 s7, s[30:31], s[18:19]
	s_and_not1_b32 vcc_lo, exec_lo, s7
	s_cbranch_vccz .LBB98_47
.LBB98_41:                              ;   in Loop: Header=BB98_12 Depth=1
	s_delay_alu instid0(VALU_DEP_1) | instskip(SKIP_2) | instid1(SALU_CYCLE_1)
	v_mov_b64_e32 v[6:7], v[18:19]
	v_mov_b64_e32 v[12:13], v[16:17]
	s_sub_co_i32 s7, s30, s16
	s_and_b32 s7, s7, 0xff
	s_delay_alu instid0(SALU_CYCLE_1)
	s_cmp_lg_u32 s7, 0
	s_cbranch_scc1 .LBB98_12
	s_branch .LBB98_9
.LBB98_42:                              ;   in Loop: Header=BB98_12 Depth=1
	s_mov_b32 s17, 0
	s_branch .LBB98_44
.LBB98_43:                              ;   in Loop: Header=BB98_44 Depth=2
	global_load_b32 v16, v5, s[36:37] scope:SCOPE_DEV
	s_cmp_lt_u32 s17, 0xf43
	s_cselect_b32 s33, -1, 0
	s_delay_alu instid0(SALU_CYCLE_1)
	s_cmp_lg_u32 s33, 0
	s_add_co_ci_u32 s17, s17, 0
	s_wait_loadcnt 0x0
	v_cmp_ne_u32_e32 vcc_lo, 0, v16
	s_cbranch_vccnz .LBB98_35
.LBB98_44:                              ;   Parent Loop BB98_12 Depth=1
                                        ; =>  This Loop Header: Depth=2
                                        ;       Child Loop BB98_45 Depth 3
	s_cmp_eq_u32 s17, 0
	s_mov_b32 s33, s17
	s_cbranch_scc1 .LBB98_43
.LBB98_45:                              ;   Parent Loop BB98_12 Depth=1
                                        ;     Parent Loop BB98_44 Depth=2
                                        ; =>    This Inner Loop Header: Depth=3
	s_add_co_i32 s33, s33, -1
	s_sleep 1
	s_cmp_eq_u32 s33, 0
	s_cbranch_scc0 .LBB98_45
	s_branch .LBB98_43
.LBB98_46:
	v_mov_b64_e32 v[18:19], v[6:7]
.LBB98_47:
	s_and_saveexec_b32 s0, s2
	s_cbranch_execz .LBB98_49
; %bb.48:
	s_delay_alu instid0(VALU_DEP_1) | instskip(SKIP_3) | instid1(VALU_DEP_2)
	v_mul_f64_e32 v[4:5], v[16:17], v[18:19]
	s_cmp_eq_u32 s6, 0
	v_lshl_add_u64 v[2:3], s[22:23], 3, v[2:3]
	s_cselect_b32 vcc_lo, -1, 0
	v_dual_cndmask_b32 v5, v19, v5 :: v_dual_cndmask_b32 v4, v18, v4
	global_store_b64 v[2:3], v[4:5], off
.LBB98_49:
	s_wait_xcnt 0x0
	s_or_b32 exec_lo, exec_lo, s0
	global_wb scope:SCOPE_DEV
	s_wait_loadcnt 0x0
	s_wait_storecnt 0x0
	global_inv scope:SCOPE_DEV
	s_wait_loadcnt 0x0
	s_barrier_signal -1
	s_barrier_wait -1
	s_mov_b32 s0, exec_lo
	v_cmpx_eq_u32_e32 0, v0
	s_cbranch_execz .LBB98_51
; %bb.50:
	s_lshl_b64 s[0:1], s[20:21], 2
	v_dual_mov_b32 v0, 0 :: v_dual_mov_b32 v1, 1
	s_add_nc_u64 s[0:1], s[14:15], s[0:1]
	s_lshl_b64 s[2:3], s[12:13], 2
	s_delay_alu instid0(SALU_CYCLE_1)
	s_add_nc_u64 s[0:1], s[0:1], s[2:3]
	global_store_b32 v0, v1, s[0:1] scope:SCOPE_DEV
.LBB98_51:
	s_endpgm
.LBB98_52:
                                        ; implicit-def: $sgpr22_sgpr23
	s_clause 0x1
	s_load_b64 s[8:9], s[0:1], 0x50
	s_load_b64 s[16:17], s[0:1], 0x20
	s_branch .LBB98_4
	.section	.rodata,"a",@progbits
	.p2align	6, 0x0
	.amdhsa_kernel _ZN9rocsparseL5csrsmILj256ELj64ELb1ElldEEv20rocsparse_operation_T3_S2_NS_24const_host_device_scalarIT4_EEPKT2_PKS2_PKS4_PS4_lPiSA_PS2_21rocsparse_index_base_20rocsparse_fill_mode_20rocsparse_diag_type_b
		.amdhsa_group_segment_fixed_size 4096
		.amdhsa_private_segment_fixed_size 0
		.amdhsa_kernarg_size 112
		.amdhsa_user_sgpr_count 2
		.amdhsa_user_sgpr_dispatch_ptr 0
		.amdhsa_user_sgpr_queue_ptr 0
		.amdhsa_user_sgpr_kernarg_segment_ptr 1
		.amdhsa_user_sgpr_dispatch_id 0
		.amdhsa_user_sgpr_kernarg_preload_length 0
		.amdhsa_user_sgpr_kernarg_preload_offset 0
		.amdhsa_user_sgpr_private_segment_size 0
		.amdhsa_wavefront_size32 1
		.amdhsa_uses_dynamic_stack 0
		.amdhsa_enable_private_segment 0
		.amdhsa_system_sgpr_workgroup_id_x 1
		.amdhsa_system_sgpr_workgroup_id_y 0
		.amdhsa_system_sgpr_workgroup_id_z 0
		.amdhsa_system_sgpr_workgroup_info 0
		.amdhsa_system_vgpr_workitem_id 0
		.amdhsa_next_free_vgpr 26
		.amdhsa_next_free_sgpr 38
		.amdhsa_named_barrier_count 0
		.amdhsa_reserve_vcc 1
		.amdhsa_float_round_mode_32 0
		.amdhsa_float_round_mode_16_64 0
		.amdhsa_float_denorm_mode_32 3
		.amdhsa_float_denorm_mode_16_64 3
		.amdhsa_fp16_overflow 0
		.amdhsa_memory_ordered 1
		.amdhsa_forward_progress 1
		.amdhsa_inst_pref_size 19
		.amdhsa_round_robin_scheduling 0
		.amdhsa_exception_fp_ieee_invalid_op 0
		.amdhsa_exception_fp_denorm_src 0
		.amdhsa_exception_fp_ieee_div_zero 0
		.amdhsa_exception_fp_ieee_overflow 0
		.amdhsa_exception_fp_ieee_underflow 0
		.amdhsa_exception_fp_ieee_inexact 0
		.amdhsa_exception_int_div_zero 0
	.end_amdhsa_kernel
	.section	.text._ZN9rocsparseL5csrsmILj256ELj64ELb1ElldEEv20rocsparse_operation_T3_S2_NS_24const_host_device_scalarIT4_EEPKT2_PKS2_PKS4_PS4_lPiSA_PS2_21rocsparse_index_base_20rocsparse_fill_mode_20rocsparse_diag_type_b,"axG",@progbits,_ZN9rocsparseL5csrsmILj256ELj64ELb1ElldEEv20rocsparse_operation_T3_S2_NS_24const_host_device_scalarIT4_EEPKT2_PKS2_PKS4_PS4_lPiSA_PS2_21rocsparse_index_base_20rocsparse_fill_mode_20rocsparse_diag_type_b,comdat
.Lfunc_end98:
	.size	_ZN9rocsparseL5csrsmILj256ELj64ELb1ElldEEv20rocsparse_operation_T3_S2_NS_24const_host_device_scalarIT4_EEPKT2_PKS2_PKS4_PS4_lPiSA_PS2_21rocsparse_index_base_20rocsparse_fill_mode_20rocsparse_diag_type_b, .Lfunc_end98-_ZN9rocsparseL5csrsmILj256ELj64ELb1ElldEEv20rocsparse_operation_T3_S2_NS_24const_host_device_scalarIT4_EEPKT2_PKS2_PKS4_PS4_lPiSA_PS2_21rocsparse_index_base_20rocsparse_fill_mode_20rocsparse_diag_type_b
                                        ; -- End function
	.set _ZN9rocsparseL5csrsmILj256ELj64ELb1ElldEEv20rocsparse_operation_T3_S2_NS_24const_host_device_scalarIT4_EEPKT2_PKS2_PKS4_PS4_lPiSA_PS2_21rocsparse_index_base_20rocsparse_fill_mode_20rocsparse_diag_type_b.num_vgpr, 26
	.set _ZN9rocsparseL5csrsmILj256ELj64ELb1ElldEEv20rocsparse_operation_T3_S2_NS_24const_host_device_scalarIT4_EEPKT2_PKS2_PKS4_PS4_lPiSA_PS2_21rocsparse_index_base_20rocsparse_fill_mode_20rocsparse_diag_type_b.num_agpr, 0
	.set _ZN9rocsparseL5csrsmILj256ELj64ELb1ElldEEv20rocsparse_operation_T3_S2_NS_24const_host_device_scalarIT4_EEPKT2_PKS2_PKS4_PS4_lPiSA_PS2_21rocsparse_index_base_20rocsparse_fill_mode_20rocsparse_diag_type_b.numbered_sgpr, 38
	.set _ZN9rocsparseL5csrsmILj256ELj64ELb1ElldEEv20rocsparse_operation_T3_S2_NS_24const_host_device_scalarIT4_EEPKT2_PKS2_PKS4_PS4_lPiSA_PS2_21rocsparse_index_base_20rocsparse_fill_mode_20rocsparse_diag_type_b.num_named_barrier, 0
	.set _ZN9rocsparseL5csrsmILj256ELj64ELb1ElldEEv20rocsparse_operation_T3_S2_NS_24const_host_device_scalarIT4_EEPKT2_PKS2_PKS4_PS4_lPiSA_PS2_21rocsparse_index_base_20rocsparse_fill_mode_20rocsparse_diag_type_b.private_seg_size, 0
	.set _ZN9rocsparseL5csrsmILj256ELj64ELb1ElldEEv20rocsparse_operation_T3_S2_NS_24const_host_device_scalarIT4_EEPKT2_PKS2_PKS4_PS4_lPiSA_PS2_21rocsparse_index_base_20rocsparse_fill_mode_20rocsparse_diag_type_b.uses_vcc, 1
	.set _ZN9rocsparseL5csrsmILj256ELj64ELb1ElldEEv20rocsparse_operation_T3_S2_NS_24const_host_device_scalarIT4_EEPKT2_PKS2_PKS4_PS4_lPiSA_PS2_21rocsparse_index_base_20rocsparse_fill_mode_20rocsparse_diag_type_b.uses_flat_scratch, 0
	.set _ZN9rocsparseL5csrsmILj256ELj64ELb1ElldEEv20rocsparse_operation_T3_S2_NS_24const_host_device_scalarIT4_EEPKT2_PKS2_PKS4_PS4_lPiSA_PS2_21rocsparse_index_base_20rocsparse_fill_mode_20rocsparse_diag_type_b.has_dyn_sized_stack, 0
	.set _ZN9rocsparseL5csrsmILj256ELj64ELb1ElldEEv20rocsparse_operation_T3_S2_NS_24const_host_device_scalarIT4_EEPKT2_PKS2_PKS4_PS4_lPiSA_PS2_21rocsparse_index_base_20rocsparse_fill_mode_20rocsparse_diag_type_b.has_recursion, 0
	.set _ZN9rocsparseL5csrsmILj256ELj64ELb1ElldEEv20rocsparse_operation_T3_S2_NS_24const_host_device_scalarIT4_EEPKT2_PKS2_PKS4_PS4_lPiSA_PS2_21rocsparse_index_base_20rocsparse_fill_mode_20rocsparse_diag_type_b.has_indirect_call, 0
	.section	.AMDGPU.csdata,"",@progbits
; Kernel info:
; codeLenInByte = 2364
; TotalNumSgprs: 40
; NumVgprs: 26
; ScratchSize: 0
; MemoryBound: 0
; FloatMode: 240
; IeeeMode: 1
; LDSByteSize: 4096 bytes/workgroup (compile time only)
; SGPRBlocks: 0
; VGPRBlocks: 1
; NumSGPRsForWavesPerEU: 40
; NumVGPRsForWavesPerEU: 26
; NamedBarCnt: 0
; Occupancy: 16
; WaveLimiterHint : 1
; COMPUTE_PGM_RSRC2:SCRATCH_EN: 0
; COMPUTE_PGM_RSRC2:USER_SGPR: 2
; COMPUTE_PGM_RSRC2:TRAP_HANDLER: 0
; COMPUTE_PGM_RSRC2:TGID_X_EN: 1
; COMPUTE_PGM_RSRC2:TGID_Y_EN: 0
; COMPUTE_PGM_RSRC2:TGID_Z_EN: 0
; COMPUTE_PGM_RSRC2:TIDIG_COMP_CNT: 0
	.section	.text._ZN9rocsparseL5csrsmILj256ELj64ELb0ElldEEv20rocsparse_operation_T3_S2_NS_24const_host_device_scalarIT4_EEPKT2_PKS2_PKS4_PS4_lPiSA_PS2_21rocsparse_index_base_20rocsparse_fill_mode_20rocsparse_diag_type_b,"axG",@progbits,_ZN9rocsparseL5csrsmILj256ELj64ELb0ElldEEv20rocsparse_operation_T3_S2_NS_24const_host_device_scalarIT4_EEPKT2_PKS2_PKS4_PS4_lPiSA_PS2_21rocsparse_index_base_20rocsparse_fill_mode_20rocsparse_diag_type_b,comdat
	.globl	_ZN9rocsparseL5csrsmILj256ELj64ELb0ElldEEv20rocsparse_operation_T3_S2_NS_24const_host_device_scalarIT4_EEPKT2_PKS2_PKS4_PS4_lPiSA_PS2_21rocsparse_index_base_20rocsparse_fill_mode_20rocsparse_diag_type_b ; -- Begin function _ZN9rocsparseL5csrsmILj256ELj64ELb0ElldEEv20rocsparse_operation_T3_S2_NS_24const_host_device_scalarIT4_EEPKT2_PKS2_PKS4_PS4_lPiSA_PS2_21rocsparse_index_base_20rocsparse_fill_mode_20rocsparse_diag_type_b
	.p2align	8
	.type	_ZN9rocsparseL5csrsmILj256ELj64ELb0ElldEEv20rocsparse_operation_T3_S2_NS_24const_host_device_scalarIT4_EEPKT2_PKS2_PKS4_PS4_lPiSA_PS2_21rocsparse_index_base_20rocsparse_fill_mode_20rocsparse_diag_type_b,@function
_ZN9rocsparseL5csrsmILj256ELj64ELb0ElldEEv20rocsparse_operation_T3_S2_NS_24const_host_device_scalarIT4_EEPKT2_PKS2_PKS4_PS4_lPiSA_PS2_21rocsparse_index_base_20rocsparse_fill_mode_20rocsparse_diag_type_b: ; @_ZN9rocsparseL5csrsmILj256ELj64ELb0ElldEEv20rocsparse_operation_T3_S2_NS_24const_host_device_scalarIT4_EEPKT2_PKS2_PKS4_PS4_lPiSA_PS2_21rocsparse_index_base_20rocsparse_fill_mode_20rocsparse_diag_type_b
; %bb.0:
	s_clause 0x2
	s_load_b128 s[4:7], s[0:1], 0x60
	s_load_b64 s[2:3], s[0:1], 0x18
	s_load_b128 s[12:15], s[0:1], 0x8
	s_wait_kmcnt 0x0
	s_bitcmp1_b32 s7, 0
	v_mov_b64_e32 v[2:3], s[2:3]
	s_cselect_b32 s7, -1, 0
	s_delay_alu instid0(SALU_CYCLE_1)
	s_and_b32 vcc_lo, exec_lo, s7
	s_cbranch_vccnz .LBB99_2
; %bb.1:
	v_mov_b32_e32 v1, 0
	flat_load_b64 v[2:3], v1, s[2:3]
.LBB99_2:
	s_wait_xcnt 0x0
	s_bfe_u32 s2, ttmp6, 0x4000c
	s_and_b32 s3, ttmp6, 15
	s_add_co_i32 s2, s2, 1
	s_getreg_b32 s7, hwreg(HW_REG_IB_STS2, 6, 4)
	s_mul_i32 s2, ttmp9, s2
	s_delay_alu instid0(SALU_CYCLE_1)
	s_add_co_i32 s3, s3, s2
	s_cmp_eq_u32 s7, 0
	s_cselect_b32 s2, ttmp9, s3
	s_and_b64 s[8:9], s[12:13], 0xffffffff00000000
	s_mov_b32 s3, 0
	s_cmp_lg_u64 s[8:9], 0
	s_cbranch_scc0 .LBB99_49
; %bb.3:
	s_ashr_i32 s8, s13, 31
	s_mov_b32 s21, s3
	s_mov_b32 s9, s8
	;; [unrolled: 1-line block ×3, first 2 shown]
	s_add_nc_u64 s[10:11], s[12:13], s[8:9]
	s_delay_alu instid0(SALU_CYCLE_1) | instskip(NEXT) | instid1(SALU_CYCLE_1)
	s_xor_b64 s[10:11], s[10:11], s[8:9]
	s_cvt_f32_u32 s7, s10
	s_cvt_f32_u32 s16, s11
	s_sub_nc_u64 s[18:19], 0, s[10:11]
	s_delay_alu instid0(SALU_CYCLE_2) | instskip(NEXT) | instid1(SALU_CYCLE_3)
	s_fmamk_f32 s7, s16, 0x4f800000, s7
	v_s_rcp_f32 s7, s7
	s_delay_alu instid0(TRANS32_DEP_1) | instskip(NEXT) | instid1(SALU_CYCLE_3)
	s_mul_f32 s7, s7, 0x5f7ffffc
	s_mul_f32 s16, s7, 0x2f800000
	s_delay_alu instid0(SALU_CYCLE_3) | instskip(NEXT) | instid1(SALU_CYCLE_3)
	s_trunc_f32 s16, s16
	s_fmamk_f32 s7, s16, 0xcf800000, s7
	s_cvt_u32_f32 s17, s16
	s_delay_alu instid0(SALU_CYCLE_2) | instskip(NEXT) | instid1(SALU_CYCLE_3)
	s_cvt_u32_f32 s16, s7
	s_mul_u64 s[22:23], s[18:19], s[16:17]
	s_delay_alu instid0(SALU_CYCLE_1)
	s_mul_hi_u32 s27, s16, s23
	s_mul_i32 s26, s16, s23
	s_mul_hi_u32 s20, s16, s22
	s_mul_i32 s24, s17, s22
	s_add_nc_u64 s[20:21], s[20:21], s[26:27]
	s_mul_hi_u32 s7, s17, s22
	s_mul_hi_u32 s28, s17, s23
	s_add_co_u32 s20, s20, s24
	s_add_co_ci_u32 s24, s21, s7
	s_mul_i32 s22, s17, s23
	s_add_co_ci_u32 s23, s28, 0
	s_delay_alu instid0(SALU_CYCLE_1) | instskip(SKIP_3) | instid1(SALU_CYCLE_1)
	s_add_nc_u64 s[20:21], s[24:25], s[22:23]
	s_mov_b32 s23, s3
	s_add_co_u32 s16, s16, s20
	s_cselect_b32 s7, -1, 0
	s_cmp_lg_u32 s7, 0
	s_add_co_ci_u32 s17, s17, s21
	s_mov_b32 s21, s3
	s_mul_u64 s[18:19], s[18:19], s[16:17]
	s_delay_alu instid0(SALU_CYCLE_1)
	s_mul_hi_u32 s25, s16, s19
	s_mul_i32 s24, s16, s19
	s_mul_hi_u32 s20, s16, s18
	s_mul_i32 s22, s17, s18
	s_add_nc_u64 s[20:21], s[20:21], s[24:25]
	s_mul_hi_u32 s7, s17, s18
	s_mul_hi_u32 s26, s17, s19
	s_mul_i32 s18, s17, s19
	s_add_co_u32 s19, s20, s22
	s_add_co_ci_u32 s22, s21, s7
	s_add_co_ci_u32 s19, s26, 0
	s_add_nc_u64 s[20:21], s[2:3], 0
	s_add_nc_u64 s[18:19], s[22:23], s[18:19]
	s_delay_alu instid0(SALU_CYCLE_1) | instskip(SKIP_1) | instid1(SALU_CYCLE_1)
	s_add_co_u32 s7, s16, s18
	s_cselect_b32 s16, -1, 0
	s_cmp_lg_u32 s16, 0
	s_add_co_ci_u32 s18, s17, s19
	s_xor_b64 s[16:17], s[20:21], 0
	s_mov_b32 s19, s3
	s_mul_hi_u32 s21, s16, s18
	s_mul_i32 s20, s16, s18
	s_mul_hi_u32 s22, s16, s7
	s_mul_hi_u32 s25, s17, s7
	s_mul_i32 s7, s17, s7
	s_add_nc_u64 s[20:21], s[22:23], s[20:21]
	s_mul_hi_u32 s24, s17, s18
	s_add_co_u32 s7, s20, s7
	s_mul_i32 s22, s17, s18
	s_add_co_ci_u32 s18, s21, s25
	s_add_co_ci_u32 s23, s24, 0
	s_delay_alu instid0(SALU_CYCLE_1) | instskip(NEXT) | instid1(SALU_CYCLE_1)
	s_add_nc_u64 s[18:19], s[18:19], s[22:23]
	s_and_b64 s[20:21], s[18:19], 0xffffffff00000000
	s_delay_alu instid0(SALU_CYCLE_1) | instskip(NEXT) | instid1(SALU_CYCLE_1)
	s_or_b32 s20, s20, s18
	s_mul_u64 s[18:19], s[10:11], s[20:21]
	s_delay_alu instid0(SALU_CYCLE_1)
	s_sub_co_u32 s7, s16, s18
	s_cselect_b32 s16, -1, 0
	s_sub_co_i32 s18, s17, s19
	s_cmp_lg_u32 s16, 0
	s_sub_co_ci_u32 s18, s18, s11
	s_sub_co_u32 s22, s7, s10
	s_cselect_b32 s23, -1, 0
	s_delay_alu instid0(SALU_CYCLE_1) | instskip(SKIP_1) | instid1(SALU_CYCLE_1)
	s_cmp_lg_u32 s23, 0
	s_sub_co_ci_u32 s18, s18, 0
	s_cmp_ge_u32 s18, s11
	s_cselect_b32 s24, -1, 0
	s_cmp_ge_u32 s22, s10
	s_add_nc_u64 s[22:23], s[20:21], 1
	s_cselect_b32 s25, -1, 0
	s_cmp_eq_u32 s18, s11
	s_cselect_b32 s18, s25, s24
	s_add_nc_u64 s[24:25], s[20:21], 2
	s_cmp_lg_u32 s18, 0
	s_cselect_b32 s18, s24, s22
	s_cselect_b32 s22, s25, s23
	s_cmp_lg_u32 s16, 0
	s_sub_co_ci_u32 s16, s17, s19
	s_delay_alu instid0(SALU_CYCLE_1)
	s_cmp_ge_u32 s16, s11
	s_cselect_b32 s17, -1, 0
	s_cmp_ge_u32 s7, s10
	s_cselect_b32 s7, -1, 0
	s_cmp_eq_u32 s16, s11
	s_cselect_b32 s7, s7, s17
	s_delay_alu instid0(SALU_CYCLE_1) | instskip(SKIP_4) | instid1(SALU_CYCLE_1)
	s_cmp_lg_u32 s7, 0
	s_mov_b32 s7, s3
	s_cselect_b32 s11, s22, s21
	s_cselect_b32 s10, s18, s20
	s_xor_b64 s[8:9], 0, s[8:9]
	s_xor_b64 s[10:11], s[10:11], s[8:9]
	s_delay_alu instid0(SALU_CYCLE_1)
	s_sub_nc_u64 s[22:23], s[10:11], s[8:9]
	s_clause 0x1
	s_load_b64 s[8:9], s[0:1], 0x50
	s_load_b64 s[16:17], s[0:1], 0x20
	s_and_not1_b32 vcc_lo, exec_lo, s7
	s_cbranch_vccnz .LBB99_5
.LBB99_4:
	v_cvt_f32_u32_e32 v1, s12
	s_sub_co_i32 s10, 0, s12
	s_mov_b32 s23, 0
	s_delay_alu instid0(VALU_DEP_1) | instskip(SKIP_1) | instid1(TRANS32_DEP_1)
	v_rcp_iflag_f32_e32 v1, v1
	v_nop
	v_mul_f32_e32 v1, 0x4f7ffffe, v1
	s_delay_alu instid0(VALU_DEP_1) | instskip(NEXT) | instid1(VALU_DEP_1)
	v_cvt_u32_f32_e32 v1, v1
	v_readfirstlane_b32 s7, v1
	s_mul_i32 s10, s10, s7
	s_delay_alu instid0(SALU_CYCLE_1) | instskip(NEXT) | instid1(SALU_CYCLE_1)
	s_mul_hi_u32 s10, s7, s10
	s_add_co_i32 s7, s7, s10
	s_delay_alu instid0(SALU_CYCLE_1) | instskip(NEXT) | instid1(SALU_CYCLE_1)
	s_mul_hi_u32 s7, s2, s7
	s_mul_i32 s10, s7, s12
	s_add_co_i32 s11, s7, 1
	s_sub_co_i32 s10, s2, s10
	s_delay_alu instid0(SALU_CYCLE_1)
	s_sub_co_i32 s18, s10, s12
	s_cmp_ge_u32 s10, s12
	s_cselect_b32 s7, s11, s7
	s_cselect_b32 s10, s18, s10
	s_add_co_i32 s11, s7, 1
	s_cmp_ge_u32 s10, s12
	s_cselect_b32 s22, s11, s7
.LBB99_5:
	s_delay_alu instid0(SALU_CYCLE_1)
	s_mul_u64 s[12:13], s[22:23], s[12:13]
	v_mov_b64_e32 v[6:7], 0
	s_sub_nc_u64 s[2:3], s[2:3], s[12:13]
	v_mov_b32_e32 v1, 0
	s_lshl_b64 s[2:3], s[2:3], 3
	s_wait_kmcnt 0x0
	s_add_nc_u64 s[2:3], s[8:9], s[2:3]
	s_load_b128 s[8:11], s[0:1], 0x38
	s_load_b64 s[20:21], s[2:3], 0x0
	s_wait_kmcnt 0x0
	s_lshl_b64 s[2:3], s[20:21], 3
	s_delay_alu instid0(SALU_CYCLE_1)
	s_add_nc_u64 s[2:3], s[16:17], s[2:3]
	s_load_b128 s[16:19], s[2:3], 0x0
	s_wait_xcnt 0x0
	s_lshl_b64 s[2:3], s[22:23], 8
	s_mul_u64 s[22:23], s[20:21], s[10:11]
	v_dual_mov_b32 v5, s3 :: v_dual_bitop2_b32 v4, s2, v0 bitop3:0x54
	s_delay_alu instid0(VALU_DEP_1)
	v_cmp_gt_i64_e64 s2, s[14:15], v[4:5]
	s_and_saveexec_b32 s3, s2
	s_cbranch_execz .LBB99_7
; %bb.6:
	v_add_nc_u64_e32 v[6:7], s[22:23], v[4:5]
	s_delay_alu instid0(VALU_DEP_1)
	v_lshl_add_u64 v[6:7], v[6:7], 3, s[8:9]
	global_load_b64 v[6:7], v[6:7], off
	s_wait_loadcnt_dscnt 0x0
	v_mul_f64_e32 v[6:7], v[2:3], v[6:7]
.LBB99_7:
	s_or_b32 exec_lo, exec_lo, s3
	s_load_b64 s[14:15], s[0:1], 0x48
	s_wait_kmcnt 0x0
	v_cmp_ge_i64_e64 s3, s[16:17], s[18:19]
	v_mov_b64_e32 v[16:17], 1.0
	s_wait_loadcnt_dscnt 0x0
	v_lshl_add_u64 v[2:3], v[4:5], 3, s[8:9]
	s_and_b32 vcc_lo, exec_lo, s3
	v_cmp_eq_u32_e64 s3, 0, v0
	s_cbranch_vccnz .LBB99_43
; %bb.8:
	s_clause 0x1
	s_load_b128 s[28:31], s[0:1], 0x28
	s_load_b64 s[8:9], s[0:1], 0x58
	v_dual_mov_b32 v5, 0 :: v_dual_lshlrev_b32 v4, 3, v0
	s_wait_xcnt 0x0
	s_lshl_b64 s[0:1], s[12:13], 2
	v_mov_b64_e32 v[12:13], 1.0
	s_mov_b32 s25, 0
	s_mov_b32 s24, s4
	s_cmp_lg_u32 s6, 0
	s_add_nc_u64 s[26:27], s[14:15], s[0:1]
	v_or_b32_e32 v20, 0x800, v4
	v_cmp_ne_u32_e64 s0, 0, v0
	s_sub_nc_u64 s[16:17], s[16:17], s[24:25]
	s_cselect_b32 s4, -1, 0
	s_cmp_eq_u32 s6, 0
	s_sub_nc_u64 s[18:19], s[18:19], s[24:25]
	s_cselect_b32 s1, -1, 0
	s_wait_kmcnt 0x0
	v_add_nc_u64_e32 v[8:9], s[28:29], v[4:5]
	v_add_nc_u64_e32 v[10:11], s[30:31], v[4:5]
	s_add_nc_u64 s[28:29], s[20:21], s[24:25]
	s_mov_b64 s[30:31], s[16:17]
	s_delay_alu instid0(SALU_CYCLE_1) | instskip(NEXT) | instid1(SALU_CYCLE_1)
	s_sub_co_i32 s7, s30, s16
	s_and_b32 s7, s7, 0xff
	s_delay_alu instid0(SALU_CYCLE_1)
	s_cmp_lg_u32 s7, 0
	s_cbranch_scc1 .LBB99_12
.LBB99_9:
	v_mov_b64_e32 v[14:15], -1.0
	v_mov_b64_e32 v[16:17], -1
	s_sub_nc_u64 s[34:35], s[18:19], s[30:31]
	s_mov_b32 s17, exec_lo
	v_cmpx_gt_i64_e64 s[34:35], v[0:1]
	s_cbranch_execz .LBB99_11
; %bb.10:
	s_lshl_b64 s[34:35], s[30:31], 3
	s_delay_alu instid0(SALU_CYCLE_1)
	v_add_nc_u64_e32 v[14:15], s[34:35], v[8:9]
	global_load_b64 v[16:17], v[14:15], off
	s_wait_xcnt 0x0
	v_add_nc_u64_e32 v[14:15], s[34:35], v[10:11]
	global_load_b64 v[14:15], v[14:15], off
	s_wait_loadcnt 0x1
	v_sub_nc_u64_e64 v[16:17], v[16:17], s[24:25]
.LBB99_11:
	s_wait_xcnt 0x0
	s_or_b32 exec_lo, exec_lo, s17
	ds_store_b64 v4, v[16:17]
	s_wait_loadcnt 0x0
	ds_store_b64 v20, v[14:15]
.LBB99_12:                              ; =>This Loop Header: Depth=1
                                        ;     Child Loop BB99_35 Depth 2
	s_lshl_b32 s7, s7, 3
	s_wait_dscnt 0x0
	v_mov_b32_e32 v14, s7
	s_barrier_signal -1
	s_barrier_wait -1
	ds_load_2addr_stride64_b64 v[14:17], v14 offset1:4
	s_wait_dscnt 0x0
	v_cmp_neq_f64_e32 vcc_lo, 0, v[16:17]
	v_readfirstlane_b32 s34, v14
	v_readfirstlane_b32 s35, v15
	s_cmp_lg_u64 s[34:35], s[20:21]
	s_cselect_b32 s7, -1, 0
	s_delay_alu instid0(SALU_CYCLE_1) | instskip(NEXT) | instid1(SALU_CYCLE_1)
	s_or_b32 s7, s4, s7
	s_or_b32 vcc_lo, vcc_lo, s7
	v_cndmask_b32_e32 v15, 0x3ff00000, v17, vcc_lo
	v_cndmask_b32_e32 v14, 0, v16, vcc_lo
	s_nor_b32 s17, s0, vcc_lo
	s_delay_alu instid0(SALU_CYCLE_1)
	s_and_saveexec_b32 s7, s17
	s_cbranch_execz .LBB99_16
; %bb.13:                               ;   in Loop: Header=BB99_12 Depth=1
	v_mbcnt_lo_u32_b32 v14, exec_lo, 0
	s_mov_b32 s17, exec_lo
	s_delay_alu instid0(VALU_DEP_1)
	v_cmpx_eq_u32_e32 0, v14
	s_cbranch_execz .LBB99_15
; %bb.14:                               ;   in Loop: Header=BB99_12 Depth=1
	v_mov_b64_e32 v[14:15], s[28:29]
	global_atomic_min_u64 v5, v[14:15], s[8:9] scope:SCOPE_DEV
.LBB99_15:                              ;   in Loop: Header=BB99_12 Depth=1
	s_wait_xcnt 0x0
	s_or_b32 exec_lo, exec_lo, s17
	v_mov_b64_e32 v[14:15], 1.0
.LBB99_16:                              ;   in Loop: Header=BB99_12 Depth=1
	s_or_b32 exec_lo, exec_lo, s7
	s_mov_b32 s33, -1
	s_mov_b32 s7, 0
	s_cmp_lt_i32 s5, 1
	s_mov_b32 s17, 0
                                        ; implicit-def: $vgpr16_vgpr17
	s_cbranch_scc0 .LBB99_23
; %bb.17:                               ;   in Loop: Header=BB99_12 Depth=1
	s_and_b32 vcc_lo, exec_lo, s33
	s_mov_b32 s33, 4
	s_cbranch_vccnz .LBB99_28
.LBB99_18:                              ;   in Loop: Header=BB99_12 Depth=1
	v_mov_b64_e32 v[18:19], v[6:7]
	s_and_b32 vcc_lo, exec_lo, s17
	s_cbranch_vccnz .LBB99_33
.LBB99_19:                              ;   in Loop: Header=BB99_12 Depth=1
	s_and_b32 vcc_lo, exec_lo, s7
	s_cbranch_vccnz .LBB99_39
.LBB99_20:                              ;   in Loop: Header=BB99_12 Depth=1
	s_mov_b32 s7, -1
	s_cmp_gt_i32 s33, 3
	s_mov_b32 s17, -1
	s_cbranch_scc0 .LBB99_40
.LBB99_21:                              ;   in Loop: Header=BB99_12 Depth=1
	s_and_not1_b32 vcc_lo, exec_lo, s17
	s_cbranch_vccz .LBB99_41
.LBB99_22:                              ;   in Loop: Header=BB99_12 Depth=1
	s_and_not1_b32 vcc_lo, exec_lo, s7
	s_cbranch_vccnz .LBB99_42
	s_branch .LBB99_44
.LBB99_23:                              ;   in Loop: Header=BB99_12 Depth=1
	s_cmp_eq_u32 s5, 1
	s_mov_b32 s17, -1
                                        ; implicit-def: $vgpr16_vgpr17
	s_cbranch_scc0 .LBB99_27
; %bb.24:                               ;   in Loop: Header=BB99_12 Depth=1
	v_cmp_ge_i64_e64 s17, s[34:35], s[20:21]
	v_mov_b64_e32 v[16:17], v[12:13]
	s_and_b32 vcc_lo, exec_lo, s17
	s_mov_b32 s17, 0
	s_cbranch_vccz .LBB99_27
; %bb.25:                               ;   in Loop: Header=BB99_12 Depth=1
	s_cmp_eq_u64 s[34:35], s[20:21]
	s_mov_b32 s17, -1
                                        ; implicit-def: $vgpr16_vgpr17
	s_cbranch_scc0 .LBB99_27
; %bb.26:                               ;   in Loop: Header=BB99_12 Depth=1
	v_div_scale_f64 v[16:17], null, v[14:15], v[14:15], 1.0
	v_div_scale_f64 v[24:25], vcc_lo, 1.0, v[14:15], 1.0
	s_mov_b32 s17, 0
	v_rcp_f64_e32 v[18:19], v[16:17]
	v_nop
	s_delay_alu instid0(TRANS32_DEP_1) | instskip(NEXT) | instid1(VALU_DEP_1)
	v_fma_f64 v[22:23], -v[16:17], v[18:19], 1.0
	v_fmac_f64_e32 v[18:19], v[18:19], v[22:23]
	s_delay_alu instid0(VALU_DEP_1) | instskip(NEXT) | instid1(VALU_DEP_1)
	v_fma_f64 v[22:23], -v[16:17], v[18:19], 1.0
	v_fmac_f64_e32 v[18:19], v[18:19], v[22:23]
	s_delay_alu instid0(VALU_DEP_1) | instskip(NEXT) | instid1(VALU_DEP_1)
	v_mul_f64_e32 v[22:23], v[24:25], v[18:19]
	v_fma_f64 v[16:17], -v[16:17], v[22:23], v[24:25]
	s_delay_alu instid0(VALU_DEP_1) | instskip(NEXT) | instid1(VALU_DEP_1)
	v_div_fmas_f64 v[16:17], v[16:17], v[18:19], v[22:23]
	v_div_fixup_f64 v[16:17], v[16:17], v[14:15], 1.0
	s_delay_alu instid0(VALU_DEP_1)
	v_dual_cndmask_b32 v17, v13, v17, s1 :: v_dual_cndmask_b32 v16, v12, v16, s1
.LBB99_27:                              ;   in Loop: Header=BB99_12 Depth=1
	s_mov_b32 s33, 4
	s_branch .LBB99_18
.LBB99_28:                              ;   in Loop: Header=BB99_12 Depth=1
	s_cmp_eq_u32 s5, 0
	s_cbranch_scc1 .LBB99_30
; %bb.29:                               ;   in Loop: Header=BB99_12 Depth=1
	s_mov_b32 s17, -1
	s_branch .LBB99_32
.LBB99_30:                              ;   in Loop: Header=BB99_12 Depth=1
	v_cmp_le_i64_e64 s17, s[34:35], s[20:21]
	s_and_b32 vcc_lo, exec_lo, s17
	s_mov_b32 s17, 0
	s_cbranch_vccz .LBB99_32
; %bb.31:                               ;   in Loop: Header=BB99_12 Depth=1
	s_cmp_lg_u64 s[34:35], s[20:21]
	s_mov_b32 s7, -1
	s_cselect_b32 s17, -1, 0
.LBB99_32:                              ;   in Loop: Header=BB99_12 Depth=1
	v_mov_b64_e32 v[16:17], v[12:13]
	s_mov_b32 s33, 2
	v_mov_b64_e32 v[18:19], v[6:7]
	s_and_b32 vcc_lo, exec_lo, s17
	s_cbranch_vccz .LBB99_19
.LBB99_33:                              ;   in Loop: Header=BB99_12 Depth=1
	s_and_saveexec_b32 s7, s3
	s_cbranch_execz .LBB99_36
; %bb.34:                               ;   in Loop: Header=BB99_12 Depth=1
	s_lshl_b64 s[36:37], s[34:35], 2
	s_delay_alu instid0(SALU_CYCLE_1)
	s_add_nc_u64 s[36:37], s[26:27], s[36:37]
	global_load_b32 v16, v5, s[36:37] scope:SCOPE_DEV
	s_wait_loadcnt 0x0
	v_cmp_ne_u32_e32 vcc_lo, 0, v16
	s_cbranch_vccnz .LBB99_36
.LBB99_35:                              ;   Parent Loop BB99_12 Depth=1
                                        ; =>  This Inner Loop Header: Depth=2
	global_load_b32 v16, v5, s[36:37] scope:SCOPE_DEV
	s_wait_loadcnt 0x0
	v_cmp_eq_u32_e32 vcc_lo, 0, v16
	s_cbranch_vccnz .LBB99_35
.LBB99_36:                              ;   in Loop: Header=BB99_12 Depth=1
	s_wait_xcnt 0x0
	s_or_b32 exec_lo, exec_lo, s7
	v_mov_b64_e32 v[18:19], 0
	s_wait_storecnt 0x0
	s_barrier_signal -1
	s_barrier_wait -1
	global_inv scope:SCOPE_DEV
	s_and_saveexec_b32 s7, s2
	s_cbranch_execz .LBB99_38
; %bb.37:                               ;   in Loop: Header=BB99_12 Depth=1
	s_mul_u64 s[34:35], s[34:35], s[10:11]
	s_delay_alu instid0(SALU_CYCLE_1)
	v_lshl_add_u64 v[16:17], s[34:35], 3, v[2:3]
	global_load_b64 v[16:17], v[16:17], off
	s_wait_loadcnt 0x0
	v_fma_f64 v[18:19], -v[14:15], v[16:17], v[6:7]
.LBB99_38:                              ;   in Loop: Header=BB99_12 Depth=1
	s_or_b32 exec_lo, exec_lo, s7
	v_mov_b64_e32 v[16:17], v[12:13]
	s_mov_b32 s33, 0
	s_branch .LBB99_20
.LBB99_39:                              ;   in Loop: Header=BB99_12 Depth=1
	v_div_scale_f64 v[16:17], null, v[14:15], v[14:15], 1.0
	v_div_scale_f64 v[24:25], vcc_lo, 1.0, v[14:15], 1.0
	s_mov_b32 s33, 2
	v_rcp_f64_e32 v[18:19], v[16:17]
	v_nop
	s_delay_alu instid0(TRANS32_DEP_1) | instskip(NEXT) | instid1(VALU_DEP_1)
	v_fma_f64 v[22:23], -v[16:17], v[18:19], 1.0
	v_fmac_f64_e32 v[18:19], v[18:19], v[22:23]
	s_delay_alu instid0(VALU_DEP_1) | instskip(NEXT) | instid1(VALU_DEP_1)
	v_fma_f64 v[22:23], -v[16:17], v[18:19], 1.0
	v_fmac_f64_e32 v[18:19], v[18:19], v[22:23]
	s_delay_alu instid0(VALU_DEP_1) | instskip(NEXT) | instid1(VALU_DEP_1)
	v_mul_f64_e32 v[22:23], v[24:25], v[18:19]
	v_fma_f64 v[16:17], -v[16:17], v[22:23], v[24:25]
	s_delay_alu instid0(VALU_DEP_1) | instskip(SKIP_1) | instid1(VALU_DEP_2)
	v_div_fmas_f64 v[16:17], v[16:17], v[18:19], v[22:23]
	v_mov_b64_e32 v[18:19], v[6:7]
	v_div_fixup_f64 v[14:15], v[16:17], v[14:15], 1.0
	s_delay_alu instid0(VALU_DEP_1)
	v_dual_cndmask_b32 v17, v13, v15, s1 :: v_dual_cndmask_b32 v16, v12, v14, s1
	s_mov_b32 s7, -1
	s_cmp_gt_i32 s33, 3
	s_mov_b32 s17, -1
	s_cbranch_scc1 .LBB99_21
.LBB99_40:                              ;   in Loop: Header=BB99_12 Depth=1
	s_cmp_eq_u32 s33, 0
	s_cselect_b32 s17, -1, 0
	s_delay_alu instid0(SALU_CYCLE_1)
	s_and_not1_b32 vcc_lo, exec_lo, s17
	s_cbranch_vccnz .LBB99_22
.LBB99_41:                              ;   in Loop: Header=BB99_12 Depth=1
	s_add_nc_u64 s[30:31], s[30:31], 1
	s_delay_alu instid0(SALU_CYCLE_1)
	v_cmp_ge_i64_e64 s7, s[30:31], s[18:19]
	s_and_not1_b32 vcc_lo, exec_lo, s7
	s_cbranch_vccz .LBB99_44
.LBB99_42:                              ;   in Loop: Header=BB99_12 Depth=1
	s_delay_alu instid0(VALU_DEP_1) | instskip(SKIP_2) | instid1(SALU_CYCLE_1)
	v_mov_b64_e32 v[6:7], v[18:19]
	v_mov_b64_e32 v[12:13], v[16:17]
	s_sub_co_i32 s7, s30, s16
	s_and_b32 s7, s7, 0xff
	s_delay_alu instid0(SALU_CYCLE_1)
	s_cmp_lg_u32 s7, 0
	s_cbranch_scc1 .LBB99_12
	s_branch .LBB99_9
.LBB99_43:
	v_mov_b64_e32 v[18:19], v[6:7]
.LBB99_44:
	s_and_saveexec_b32 s0, s2
	s_cbranch_execz .LBB99_46
; %bb.45:
	s_delay_alu instid0(VALU_DEP_1) | instskip(SKIP_3) | instid1(VALU_DEP_2)
	v_mul_f64_e32 v[4:5], v[16:17], v[18:19]
	s_cmp_eq_u32 s6, 0
	v_lshl_add_u64 v[2:3], s[22:23], 3, v[2:3]
	s_cselect_b32 vcc_lo, -1, 0
	v_dual_cndmask_b32 v5, v19, v5 :: v_dual_cndmask_b32 v4, v18, v4
	global_store_b64 v[2:3], v[4:5], off
.LBB99_46:
	s_wait_xcnt 0x0
	s_or_b32 exec_lo, exec_lo, s0
	global_wb scope:SCOPE_DEV
	s_wait_loadcnt 0x0
	s_wait_storecnt 0x0
	global_inv scope:SCOPE_DEV
	s_wait_loadcnt 0x0
	s_barrier_signal -1
	s_barrier_wait -1
	s_mov_b32 s0, exec_lo
	v_cmpx_eq_u32_e32 0, v0
	s_cbranch_execz .LBB99_48
; %bb.47:
	s_lshl_b64 s[0:1], s[20:21], 2
	v_dual_mov_b32 v0, 0 :: v_dual_mov_b32 v1, 1
	s_add_nc_u64 s[0:1], s[14:15], s[0:1]
	s_lshl_b64 s[2:3], s[12:13], 2
	s_delay_alu instid0(SALU_CYCLE_1)
	s_add_nc_u64 s[0:1], s[0:1], s[2:3]
	global_store_b32 v0, v1, s[0:1] scope:SCOPE_DEV
.LBB99_48:
	s_endpgm
.LBB99_49:
                                        ; implicit-def: $sgpr22_sgpr23
	s_clause 0x1
	s_load_b64 s[8:9], s[0:1], 0x50
	s_load_b64 s[16:17], s[0:1], 0x20
	s_branch .LBB99_4
	.section	.rodata,"a",@progbits
	.p2align	6, 0x0
	.amdhsa_kernel _ZN9rocsparseL5csrsmILj256ELj64ELb0ElldEEv20rocsparse_operation_T3_S2_NS_24const_host_device_scalarIT4_EEPKT2_PKS2_PKS4_PS4_lPiSA_PS2_21rocsparse_index_base_20rocsparse_fill_mode_20rocsparse_diag_type_b
		.amdhsa_group_segment_fixed_size 4096
		.amdhsa_private_segment_fixed_size 0
		.amdhsa_kernarg_size 112
		.amdhsa_user_sgpr_count 2
		.amdhsa_user_sgpr_dispatch_ptr 0
		.amdhsa_user_sgpr_queue_ptr 0
		.amdhsa_user_sgpr_kernarg_segment_ptr 1
		.amdhsa_user_sgpr_dispatch_id 0
		.amdhsa_user_sgpr_kernarg_preload_length 0
		.amdhsa_user_sgpr_kernarg_preload_offset 0
		.amdhsa_user_sgpr_private_segment_size 0
		.amdhsa_wavefront_size32 1
		.amdhsa_uses_dynamic_stack 0
		.amdhsa_enable_private_segment 0
		.amdhsa_system_sgpr_workgroup_id_x 1
		.amdhsa_system_sgpr_workgroup_id_y 0
		.amdhsa_system_sgpr_workgroup_id_z 0
		.amdhsa_system_sgpr_workgroup_info 0
		.amdhsa_system_vgpr_workitem_id 0
		.amdhsa_next_free_vgpr 26
		.amdhsa_next_free_sgpr 38
		.amdhsa_named_barrier_count 0
		.amdhsa_reserve_vcc 1
		.amdhsa_float_round_mode_32 0
		.amdhsa_float_round_mode_16_64 0
		.amdhsa_float_denorm_mode_32 3
		.amdhsa_float_denorm_mode_16_64 3
		.amdhsa_fp16_overflow 0
		.amdhsa_memory_ordered 1
		.amdhsa_forward_progress 1
		.amdhsa_inst_pref_size 18
		.amdhsa_round_robin_scheduling 0
		.amdhsa_exception_fp_ieee_invalid_op 0
		.amdhsa_exception_fp_denorm_src 0
		.amdhsa_exception_fp_ieee_div_zero 0
		.amdhsa_exception_fp_ieee_overflow 0
		.amdhsa_exception_fp_ieee_underflow 0
		.amdhsa_exception_fp_ieee_inexact 0
		.amdhsa_exception_int_div_zero 0
	.end_amdhsa_kernel
	.section	.text._ZN9rocsparseL5csrsmILj256ELj64ELb0ElldEEv20rocsparse_operation_T3_S2_NS_24const_host_device_scalarIT4_EEPKT2_PKS2_PKS4_PS4_lPiSA_PS2_21rocsparse_index_base_20rocsparse_fill_mode_20rocsparse_diag_type_b,"axG",@progbits,_ZN9rocsparseL5csrsmILj256ELj64ELb0ElldEEv20rocsparse_operation_T3_S2_NS_24const_host_device_scalarIT4_EEPKT2_PKS2_PKS4_PS4_lPiSA_PS2_21rocsparse_index_base_20rocsparse_fill_mode_20rocsparse_diag_type_b,comdat
.Lfunc_end99:
	.size	_ZN9rocsparseL5csrsmILj256ELj64ELb0ElldEEv20rocsparse_operation_T3_S2_NS_24const_host_device_scalarIT4_EEPKT2_PKS2_PKS4_PS4_lPiSA_PS2_21rocsparse_index_base_20rocsparse_fill_mode_20rocsparse_diag_type_b, .Lfunc_end99-_ZN9rocsparseL5csrsmILj256ELj64ELb0ElldEEv20rocsparse_operation_T3_S2_NS_24const_host_device_scalarIT4_EEPKT2_PKS2_PKS4_PS4_lPiSA_PS2_21rocsparse_index_base_20rocsparse_fill_mode_20rocsparse_diag_type_b
                                        ; -- End function
	.set _ZN9rocsparseL5csrsmILj256ELj64ELb0ElldEEv20rocsparse_operation_T3_S2_NS_24const_host_device_scalarIT4_EEPKT2_PKS2_PKS4_PS4_lPiSA_PS2_21rocsparse_index_base_20rocsparse_fill_mode_20rocsparse_diag_type_b.num_vgpr, 26
	.set _ZN9rocsparseL5csrsmILj256ELj64ELb0ElldEEv20rocsparse_operation_T3_S2_NS_24const_host_device_scalarIT4_EEPKT2_PKS2_PKS4_PS4_lPiSA_PS2_21rocsparse_index_base_20rocsparse_fill_mode_20rocsparse_diag_type_b.num_agpr, 0
	.set _ZN9rocsparseL5csrsmILj256ELj64ELb0ElldEEv20rocsparse_operation_T3_S2_NS_24const_host_device_scalarIT4_EEPKT2_PKS2_PKS4_PS4_lPiSA_PS2_21rocsparse_index_base_20rocsparse_fill_mode_20rocsparse_diag_type_b.numbered_sgpr, 38
	.set _ZN9rocsparseL5csrsmILj256ELj64ELb0ElldEEv20rocsparse_operation_T3_S2_NS_24const_host_device_scalarIT4_EEPKT2_PKS2_PKS4_PS4_lPiSA_PS2_21rocsparse_index_base_20rocsparse_fill_mode_20rocsparse_diag_type_b.num_named_barrier, 0
	.set _ZN9rocsparseL5csrsmILj256ELj64ELb0ElldEEv20rocsparse_operation_T3_S2_NS_24const_host_device_scalarIT4_EEPKT2_PKS2_PKS4_PS4_lPiSA_PS2_21rocsparse_index_base_20rocsparse_fill_mode_20rocsparse_diag_type_b.private_seg_size, 0
	.set _ZN9rocsparseL5csrsmILj256ELj64ELb0ElldEEv20rocsparse_operation_T3_S2_NS_24const_host_device_scalarIT4_EEPKT2_PKS2_PKS4_PS4_lPiSA_PS2_21rocsparse_index_base_20rocsparse_fill_mode_20rocsparse_diag_type_b.uses_vcc, 1
	.set _ZN9rocsparseL5csrsmILj256ELj64ELb0ElldEEv20rocsparse_operation_T3_S2_NS_24const_host_device_scalarIT4_EEPKT2_PKS2_PKS4_PS4_lPiSA_PS2_21rocsparse_index_base_20rocsparse_fill_mode_20rocsparse_diag_type_b.uses_flat_scratch, 0
	.set _ZN9rocsparseL5csrsmILj256ELj64ELb0ElldEEv20rocsparse_operation_T3_S2_NS_24const_host_device_scalarIT4_EEPKT2_PKS2_PKS4_PS4_lPiSA_PS2_21rocsparse_index_base_20rocsparse_fill_mode_20rocsparse_diag_type_b.has_dyn_sized_stack, 0
	.set _ZN9rocsparseL5csrsmILj256ELj64ELb0ElldEEv20rocsparse_operation_T3_S2_NS_24const_host_device_scalarIT4_EEPKT2_PKS2_PKS4_PS4_lPiSA_PS2_21rocsparse_index_base_20rocsparse_fill_mode_20rocsparse_diag_type_b.has_recursion, 0
	.set _ZN9rocsparseL5csrsmILj256ELj64ELb0ElldEEv20rocsparse_operation_T3_S2_NS_24const_host_device_scalarIT4_EEPKT2_PKS2_PKS4_PS4_lPiSA_PS2_21rocsparse_index_base_20rocsparse_fill_mode_20rocsparse_diag_type_b.has_indirect_call, 0
	.section	.AMDGPU.csdata,"",@progbits
; Kernel info:
; codeLenInByte = 2300
; TotalNumSgprs: 40
; NumVgprs: 26
; ScratchSize: 0
; MemoryBound: 0
; FloatMode: 240
; IeeeMode: 1
; LDSByteSize: 4096 bytes/workgroup (compile time only)
; SGPRBlocks: 0
; VGPRBlocks: 1
; NumSGPRsForWavesPerEU: 40
; NumVGPRsForWavesPerEU: 26
; NamedBarCnt: 0
; Occupancy: 16
; WaveLimiterHint : 1
; COMPUTE_PGM_RSRC2:SCRATCH_EN: 0
; COMPUTE_PGM_RSRC2:USER_SGPR: 2
; COMPUTE_PGM_RSRC2:TRAP_HANDLER: 0
; COMPUTE_PGM_RSRC2:TGID_X_EN: 1
; COMPUTE_PGM_RSRC2:TGID_Y_EN: 0
; COMPUTE_PGM_RSRC2:TGID_Z_EN: 0
; COMPUTE_PGM_RSRC2:TIDIG_COMP_CNT: 0
	.section	.text._ZN9rocsparseL5csrsmILj512ELj64ELb1ElldEEv20rocsparse_operation_T3_S2_NS_24const_host_device_scalarIT4_EEPKT2_PKS2_PKS4_PS4_lPiSA_PS2_21rocsparse_index_base_20rocsparse_fill_mode_20rocsparse_diag_type_b,"axG",@progbits,_ZN9rocsparseL5csrsmILj512ELj64ELb1ElldEEv20rocsparse_operation_T3_S2_NS_24const_host_device_scalarIT4_EEPKT2_PKS2_PKS4_PS4_lPiSA_PS2_21rocsparse_index_base_20rocsparse_fill_mode_20rocsparse_diag_type_b,comdat
	.globl	_ZN9rocsparseL5csrsmILj512ELj64ELb1ElldEEv20rocsparse_operation_T3_S2_NS_24const_host_device_scalarIT4_EEPKT2_PKS2_PKS4_PS4_lPiSA_PS2_21rocsparse_index_base_20rocsparse_fill_mode_20rocsparse_diag_type_b ; -- Begin function _ZN9rocsparseL5csrsmILj512ELj64ELb1ElldEEv20rocsparse_operation_T3_S2_NS_24const_host_device_scalarIT4_EEPKT2_PKS2_PKS4_PS4_lPiSA_PS2_21rocsparse_index_base_20rocsparse_fill_mode_20rocsparse_diag_type_b
	.p2align	8
	.type	_ZN9rocsparseL5csrsmILj512ELj64ELb1ElldEEv20rocsparse_operation_T3_S2_NS_24const_host_device_scalarIT4_EEPKT2_PKS2_PKS4_PS4_lPiSA_PS2_21rocsparse_index_base_20rocsparse_fill_mode_20rocsparse_diag_type_b,@function
_ZN9rocsparseL5csrsmILj512ELj64ELb1ElldEEv20rocsparse_operation_T3_S2_NS_24const_host_device_scalarIT4_EEPKT2_PKS2_PKS4_PS4_lPiSA_PS2_21rocsparse_index_base_20rocsparse_fill_mode_20rocsparse_diag_type_b: ; @_ZN9rocsparseL5csrsmILj512ELj64ELb1ElldEEv20rocsparse_operation_T3_S2_NS_24const_host_device_scalarIT4_EEPKT2_PKS2_PKS4_PS4_lPiSA_PS2_21rocsparse_index_base_20rocsparse_fill_mode_20rocsparse_diag_type_b
; %bb.0:
	s_clause 0x2
	s_load_b128 s[4:7], s[0:1], 0x60
	s_load_b64 s[2:3], s[0:1], 0x18
	s_load_b128 s[12:15], s[0:1], 0x8
	s_wait_kmcnt 0x0
	s_bitcmp1_b32 s7, 0
	v_mov_b64_e32 v[2:3], s[2:3]
	s_cselect_b32 s7, -1, 0
	s_delay_alu instid0(SALU_CYCLE_1)
	s_and_b32 vcc_lo, exec_lo, s7
	s_cbranch_vccnz .LBB100_2
; %bb.1:
	v_mov_b32_e32 v1, 0
	flat_load_b64 v[2:3], v1, s[2:3]
.LBB100_2:
	s_wait_xcnt 0x0
	s_bfe_u32 s2, ttmp6, 0x4000c
	s_and_b32 s3, ttmp6, 15
	s_add_co_i32 s2, s2, 1
	s_getreg_b32 s7, hwreg(HW_REG_IB_STS2, 6, 4)
	s_mul_i32 s2, ttmp9, s2
	s_delay_alu instid0(SALU_CYCLE_1)
	s_add_co_i32 s3, s3, s2
	s_cmp_eq_u32 s7, 0
	s_cselect_b32 s2, ttmp9, s3
	s_and_b64 s[8:9], s[12:13], 0xffffffff00000000
	s_mov_b32 s3, 0
	s_cmp_lg_u64 s[8:9], 0
	s_cbranch_scc0 .LBB100_52
; %bb.3:
	s_ashr_i32 s8, s13, 31
	s_mov_b32 s21, s3
	s_mov_b32 s9, s8
	;; [unrolled: 1-line block ×3, first 2 shown]
	s_add_nc_u64 s[10:11], s[12:13], s[8:9]
	s_delay_alu instid0(SALU_CYCLE_1) | instskip(NEXT) | instid1(SALU_CYCLE_1)
	s_xor_b64 s[10:11], s[10:11], s[8:9]
	s_cvt_f32_u32 s7, s10
	s_cvt_f32_u32 s16, s11
	s_sub_nc_u64 s[18:19], 0, s[10:11]
	s_delay_alu instid0(SALU_CYCLE_2) | instskip(NEXT) | instid1(SALU_CYCLE_3)
	s_fmamk_f32 s7, s16, 0x4f800000, s7
	v_s_rcp_f32 s7, s7
	s_delay_alu instid0(TRANS32_DEP_1) | instskip(NEXT) | instid1(SALU_CYCLE_3)
	s_mul_f32 s7, s7, 0x5f7ffffc
	s_mul_f32 s16, s7, 0x2f800000
	s_delay_alu instid0(SALU_CYCLE_3) | instskip(NEXT) | instid1(SALU_CYCLE_3)
	s_trunc_f32 s16, s16
	s_fmamk_f32 s7, s16, 0xcf800000, s7
	s_cvt_u32_f32 s17, s16
	s_delay_alu instid0(SALU_CYCLE_2) | instskip(NEXT) | instid1(SALU_CYCLE_3)
	s_cvt_u32_f32 s16, s7
	s_mul_u64 s[22:23], s[18:19], s[16:17]
	s_delay_alu instid0(SALU_CYCLE_1)
	s_mul_hi_u32 s27, s16, s23
	s_mul_i32 s26, s16, s23
	s_mul_hi_u32 s20, s16, s22
	s_mul_i32 s24, s17, s22
	s_add_nc_u64 s[20:21], s[20:21], s[26:27]
	s_mul_hi_u32 s7, s17, s22
	s_mul_hi_u32 s28, s17, s23
	s_add_co_u32 s20, s20, s24
	s_add_co_ci_u32 s24, s21, s7
	s_mul_i32 s22, s17, s23
	s_add_co_ci_u32 s23, s28, 0
	s_delay_alu instid0(SALU_CYCLE_1) | instskip(SKIP_3) | instid1(SALU_CYCLE_1)
	s_add_nc_u64 s[20:21], s[24:25], s[22:23]
	s_mov_b32 s23, s3
	s_add_co_u32 s16, s16, s20
	s_cselect_b32 s7, -1, 0
	s_cmp_lg_u32 s7, 0
	s_add_co_ci_u32 s17, s17, s21
	s_mov_b32 s21, s3
	s_mul_u64 s[18:19], s[18:19], s[16:17]
	s_delay_alu instid0(SALU_CYCLE_1)
	s_mul_hi_u32 s25, s16, s19
	s_mul_i32 s24, s16, s19
	s_mul_hi_u32 s20, s16, s18
	s_mul_i32 s22, s17, s18
	s_add_nc_u64 s[20:21], s[20:21], s[24:25]
	s_mul_hi_u32 s7, s17, s18
	s_mul_hi_u32 s26, s17, s19
	s_mul_i32 s18, s17, s19
	s_add_co_u32 s19, s20, s22
	s_add_co_ci_u32 s22, s21, s7
	s_add_co_ci_u32 s19, s26, 0
	s_add_nc_u64 s[20:21], s[2:3], 0
	s_add_nc_u64 s[18:19], s[22:23], s[18:19]
	s_delay_alu instid0(SALU_CYCLE_1) | instskip(SKIP_1) | instid1(SALU_CYCLE_1)
	s_add_co_u32 s7, s16, s18
	s_cselect_b32 s16, -1, 0
	s_cmp_lg_u32 s16, 0
	s_add_co_ci_u32 s18, s17, s19
	s_xor_b64 s[16:17], s[20:21], 0
	s_mov_b32 s19, s3
	s_mul_hi_u32 s21, s16, s18
	s_mul_i32 s20, s16, s18
	s_mul_hi_u32 s22, s16, s7
	s_mul_hi_u32 s25, s17, s7
	s_mul_i32 s7, s17, s7
	s_add_nc_u64 s[20:21], s[22:23], s[20:21]
	s_mul_hi_u32 s24, s17, s18
	s_add_co_u32 s7, s20, s7
	s_mul_i32 s22, s17, s18
	s_add_co_ci_u32 s18, s21, s25
	s_add_co_ci_u32 s23, s24, 0
	s_delay_alu instid0(SALU_CYCLE_1) | instskip(NEXT) | instid1(SALU_CYCLE_1)
	s_add_nc_u64 s[18:19], s[18:19], s[22:23]
	s_and_b64 s[20:21], s[18:19], 0xffffffff00000000
	s_delay_alu instid0(SALU_CYCLE_1) | instskip(NEXT) | instid1(SALU_CYCLE_1)
	s_or_b32 s20, s20, s18
	s_mul_u64 s[18:19], s[10:11], s[20:21]
	s_delay_alu instid0(SALU_CYCLE_1)
	s_sub_co_u32 s7, s16, s18
	s_cselect_b32 s16, -1, 0
	s_sub_co_i32 s18, s17, s19
	s_cmp_lg_u32 s16, 0
	s_sub_co_ci_u32 s18, s18, s11
	s_sub_co_u32 s22, s7, s10
	s_cselect_b32 s23, -1, 0
	s_delay_alu instid0(SALU_CYCLE_1) | instskip(SKIP_1) | instid1(SALU_CYCLE_1)
	s_cmp_lg_u32 s23, 0
	s_sub_co_ci_u32 s18, s18, 0
	s_cmp_ge_u32 s18, s11
	s_cselect_b32 s24, -1, 0
	s_cmp_ge_u32 s22, s10
	s_add_nc_u64 s[22:23], s[20:21], 1
	s_cselect_b32 s25, -1, 0
	s_cmp_eq_u32 s18, s11
	s_cselect_b32 s18, s25, s24
	s_add_nc_u64 s[24:25], s[20:21], 2
	s_cmp_lg_u32 s18, 0
	s_cselect_b32 s18, s24, s22
	s_cselect_b32 s22, s25, s23
	s_cmp_lg_u32 s16, 0
	s_sub_co_ci_u32 s16, s17, s19
	s_delay_alu instid0(SALU_CYCLE_1)
	s_cmp_ge_u32 s16, s11
	s_cselect_b32 s17, -1, 0
	s_cmp_ge_u32 s7, s10
	s_cselect_b32 s7, -1, 0
	s_cmp_eq_u32 s16, s11
	s_cselect_b32 s7, s7, s17
	s_delay_alu instid0(SALU_CYCLE_1) | instskip(SKIP_4) | instid1(SALU_CYCLE_1)
	s_cmp_lg_u32 s7, 0
	s_mov_b32 s7, s3
	s_cselect_b32 s11, s22, s21
	s_cselect_b32 s10, s18, s20
	s_xor_b64 s[8:9], 0, s[8:9]
	s_xor_b64 s[10:11], s[10:11], s[8:9]
	s_delay_alu instid0(SALU_CYCLE_1)
	s_sub_nc_u64 s[22:23], s[10:11], s[8:9]
	s_clause 0x1
	s_load_b64 s[8:9], s[0:1], 0x50
	s_load_b64 s[16:17], s[0:1], 0x20
	s_and_not1_b32 vcc_lo, exec_lo, s7
	s_cbranch_vccnz .LBB100_5
.LBB100_4:
	v_cvt_f32_u32_e32 v1, s12
	s_sub_co_i32 s10, 0, s12
	s_mov_b32 s23, 0
	s_delay_alu instid0(VALU_DEP_1) | instskip(SKIP_1) | instid1(TRANS32_DEP_1)
	v_rcp_iflag_f32_e32 v1, v1
	v_nop
	v_mul_f32_e32 v1, 0x4f7ffffe, v1
	s_delay_alu instid0(VALU_DEP_1) | instskip(NEXT) | instid1(VALU_DEP_1)
	v_cvt_u32_f32_e32 v1, v1
	v_readfirstlane_b32 s7, v1
	s_mul_i32 s10, s10, s7
	s_delay_alu instid0(SALU_CYCLE_1) | instskip(NEXT) | instid1(SALU_CYCLE_1)
	s_mul_hi_u32 s10, s7, s10
	s_add_co_i32 s7, s7, s10
	s_delay_alu instid0(SALU_CYCLE_1) | instskip(NEXT) | instid1(SALU_CYCLE_1)
	s_mul_hi_u32 s7, s2, s7
	s_mul_i32 s10, s7, s12
	s_add_co_i32 s11, s7, 1
	s_sub_co_i32 s10, s2, s10
	s_delay_alu instid0(SALU_CYCLE_1)
	s_sub_co_i32 s18, s10, s12
	s_cmp_ge_u32 s10, s12
	s_cselect_b32 s7, s11, s7
	s_cselect_b32 s10, s18, s10
	s_add_co_i32 s11, s7, 1
	s_cmp_ge_u32 s10, s12
	s_cselect_b32 s22, s11, s7
.LBB100_5:
	s_delay_alu instid0(SALU_CYCLE_1)
	s_mul_u64 s[12:13], s[22:23], s[12:13]
	v_mov_b64_e32 v[6:7], 0
	s_sub_nc_u64 s[2:3], s[2:3], s[12:13]
	v_mov_b32_e32 v1, 0
	s_lshl_b64 s[2:3], s[2:3], 3
	s_wait_kmcnt 0x0
	s_add_nc_u64 s[2:3], s[8:9], s[2:3]
	s_load_b128 s[8:11], s[0:1], 0x38
	s_load_b64 s[20:21], s[2:3], 0x0
	s_wait_kmcnt 0x0
	s_lshl_b64 s[2:3], s[20:21], 3
	s_delay_alu instid0(SALU_CYCLE_1)
	s_add_nc_u64 s[2:3], s[16:17], s[2:3]
	s_load_b128 s[16:19], s[2:3], 0x0
	s_wait_xcnt 0x0
	s_lshl_b64 s[2:3], s[22:23], 9
	s_mul_u64 s[22:23], s[20:21], s[10:11]
	v_dual_mov_b32 v5, s3 :: v_dual_bitop2_b32 v4, s2, v0 bitop3:0x54
	s_delay_alu instid0(VALU_DEP_1)
	v_cmp_gt_i64_e64 s2, s[14:15], v[4:5]
	s_and_saveexec_b32 s3, s2
	s_cbranch_execz .LBB100_7
; %bb.6:
	v_add_nc_u64_e32 v[6:7], s[22:23], v[4:5]
	s_delay_alu instid0(VALU_DEP_1)
	v_lshl_add_u64 v[6:7], v[6:7], 3, s[8:9]
	global_load_b64 v[6:7], v[6:7], off
	s_wait_loadcnt_dscnt 0x0
	v_mul_f64_e32 v[6:7], v[2:3], v[6:7]
.LBB100_7:
	s_or_b32 exec_lo, exec_lo, s3
	s_load_b64 s[14:15], s[0:1], 0x48
	s_wait_kmcnt 0x0
	v_cmp_ge_i64_e64 s3, s[16:17], s[18:19]
	v_mov_b64_e32 v[16:17], 1.0
	s_wait_loadcnt_dscnt 0x0
	v_lshl_add_u64 v[2:3], v[4:5], 3, s[8:9]
	s_and_b32 vcc_lo, exec_lo, s3
	v_cmp_eq_u32_e64 s3, 0, v0
	s_cbranch_vccnz .LBB100_46
; %bb.8:
	s_clause 0x1
	s_load_b128 s[28:31], s[0:1], 0x28
	s_load_b64 s[8:9], s[0:1], 0x58
	v_dual_mov_b32 v5, 0 :: v_dual_lshlrev_b32 v4, 3, v0
	s_wait_xcnt 0x0
	s_lshl_b64 s[0:1], s[12:13], 2
	v_mov_b64_e32 v[12:13], 1.0
	s_mov_b32 s25, 0
	s_mov_b32 s24, s4
	s_cmp_lg_u32 s6, 0
	s_add_nc_u64 s[26:27], s[14:15], s[0:1]
	v_or_b32_e32 v20, 0x1000, v4
	v_cmp_ne_u32_e64 s0, 0, v0
	s_sub_nc_u64 s[16:17], s[16:17], s[24:25]
	s_cselect_b32 s4, -1, 0
	s_cmp_eq_u32 s6, 0
	s_sub_nc_u64 s[18:19], s[18:19], s[24:25]
	s_cselect_b32 s1, -1, 0
	s_wait_kmcnt 0x0
	v_add_nc_u64_e32 v[8:9], s[28:29], v[4:5]
	v_add_nc_u64_e32 v[10:11], s[30:31], v[4:5]
	s_add_nc_u64 s[28:29], s[20:21], s[24:25]
	s_mov_b64 s[30:31], s[16:17]
	s_delay_alu instid0(SALU_CYCLE_1) | instskip(NEXT) | instid1(SALU_CYCLE_1)
	s_sub_co_i32 s7, s30, s16
	s_and_b32 s7, s7, 0x1ff
	s_delay_alu instid0(SALU_CYCLE_1)
	s_cmp_lg_u32 s7, 0
	s_cbranch_scc1 .LBB100_12
.LBB100_9:
	v_mov_b64_e32 v[14:15], -1.0
	v_mov_b64_e32 v[16:17], -1
	s_sub_nc_u64 s[34:35], s[18:19], s[30:31]
	s_mov_b32 s17, exec_lo
	v_cmpx_gt_i64_e64 s[34:35], v[0:1]
	s_cbranch_execz .LBB100_11
; %bb.10:
	s_lshl_b64 s[34:35], s[30:31], 3
	s_delay_alu instid0(SALU_CYCLE_1)
	v_add_nc_u64_e32 v[14:15], s[34:35], v[8:9]
	global_load_b64 v[16:17], v[14:15], off
	s_wait_xcnt 0x0
	v_add_nc_u64_e32 v[14:15], s[34:35], v[10:11]
	global_load_b64 v[14:15], v[14:15], off
	s_wait_loadcnt 0x1
	v_sub_nc_u64_e64 v[16:17], v[16:17], s[24:25]
.LBB100_11:
	s_wait_xcnt 0x0
	s_or_b32 exec_lo, exec_lo, s17
	ds_store_b64 v4, v[16:17]
	s_wait_loadcnt 0x0
	ds_store_b64 v20, v[14:15]
.LBB100_12:                             ; =>This Loop Header: Depth=1
                                        ;     Child Loop BB100_44 Depth 2
                                        ;       Child Loop BB100_45 Depth 3
	s_lshl_b32 s7, s7, 3
	s_wait_dscnt 0x0
	v_mov_b32_e32 v14, s7
	s_barrier_signal -1
	s_barrier_wait -1
	ds_load_2addr_stride64_b64 v[14:17], v14 offset1:8
	s_wait_dscnt 0x0
	v_cmp_neq_f64_e32 vcc_lo, 0, v[16:17]
	v_readfirstlane_b32 s34, v14
	v_readfirstlane_b32 s35, v15
	s_cmp_lg_u64 s[34:35], s[20:21]
	s_cselect_b32 s7, -1, 0
	s_delay_alu instid0(SALU_CYCLE_1) | instskip(NEXT) | instid1(SALU_CYCLE_1)
	s_or_b32 s7, s4, s7
	s_or_b32 vcc_lo, vcc_lo, s7
	v_cndmask_b32_e32 v15, 0x3ff00000, v17, vcc_lo
	v_cndmask_b32_e32 v14, 0, v16, vcc_lo
	s_nor_b32 s17, s0, vcc_lo
	s_delay_alu instid0(SALU_CYCLE_1)
	s_and_saveexec_b32 s7, s17
	s_cbranch_execz .LBB100_16
; %bb.13:                               ;   in Loop: Header=BB100_12 Depth=1
	v_mbcnt_lo_u32_b32 v14, exec_lo, 0
	s_mov_b32 s17, exec_lo
	s_delay_alu instid0(VALU_DEP_1)
	v_cmpx_eq_u32_e32 0, v14
	s_cbranch_execz .LBB100_15
; %bb.14:                               ;   in Loop: Header=BB100_12 Depth=1
	v_mov_b64_e32 v[14:15], s[28:29]
	global_atomic_min_u64 v5, v[14:15], s[8:9] scope:SCOPE_DEV
.LBB100_15:                             ;   in Loop: Header=BB100_12 Depth=1
	s_wait_xcnt 0x0
	s_or_b32 exec_lo, exec_lo, s17
	v_mov_b64_e32 v[14:15], 1.0
.LBB100_16:                             ;   in Loop: Header=BB100_12 Depth=1
	s_or_b32 exec_lo, exec_lo, s7
	s_mov_b32 s33, -1
	s_mov_b32 s7, 0
	s_cmp_lt_i32 s5, 1
	s_mov_b32 s17, 0
                                        ; implicit-def: $vgpr16_vgpr17
	s_cbranch_scc0 .LBB100_23
; %bb.17:                               ;   in Loop: Header=BB100_12 Depth=1
	s_and_b32 vcc_lo, exec_lo, s33
	s_mov_b32 s33, 4
	s_cbranch_vccnz .LBB100_28
.LBB100_18:                             ;   in Loop: Header=BB100_12 Depth=1
	v_mov_b64_e32 v[18:19], v[6:7]
	s_and_b32 vcc_lo, exec_lo, s17
	s_cbranch_vccnz .LBB100_33
.LBB100_19:                             ;   in Loop: Header=BB100_12 Depth=1
	s_and_b32 vcc_lo, exec_lo, s7
	s_cbranch_vccnz .LBB100_38
.LBB100_20:                             ;   in Loop: Header=BB100_12 Depth=1
	s_mov_b32 s7, -1
	s_cmp_gt_i32 s33, 3
	s_mov_b32 s17, -1
	s_cbranch_scc0 .LBB100_39
.LBB100_21:                             ;   in Loop: Header=BB100_12 Depth=1
	s_and_not1_b32 vcc_lo, exec_lo, s17
	s_cbranch_vccz .LBB100_40
.LBB100_22:                             ;   in Loop: Header=BB100_12 Depth=1
	s_and_not1_b32 vcc_lo, exec_lo, s7
	s_cbranch_vccnz .LBB100_41
	s_branch .LBB100_47
.LBB100_23:                             ;   in Loop: Header=BB100_12 Depth=1
	s_cmp_eq_u32 s5, 1
	s_mov_b32 s17, -1
                                        ; implicit-def: $vgpr16_vgpr17
	s_cbranch_scc0 .LBB100_27
; %bb.24:                               ;   in Loop: Header=BB100_12 Depth=1
	v_cmp_ge_i64_e64 s17, s[34:35], s[20:21]
	v_mov_b64_e32 v[16:17], v[12:13]
	s_and_b32 vcc_lo, exec_lo, s17
	s_mov_b32 s17, 0
	s_cbranch_vccz .LBB100_27
; %bb.25:                               ;   in Loop: Header=BB100_12 Depth=1
	s_cmp_eq_u64 s[34:35], s[20:21]
	s_mov_b32 s17, -1
                                        ; implicit-def: $vgpr16_vgpr17
	s_cbranch_scc0 .LBB100_27
; %bb.26:                               ;   in Loop: Header=BB100_12 Depth=1
	v_div_scale_f64 v[16:17], null, v[14:15], v[14:15], 1.0
	v_div_scale_f64 v[24:25], vcc_lo, 1.0, v[14:15], 1.0
	s_mov_b32 s17, 0
	v_rcp_f64_e32 v[18:19], v[16:17]
	v_nop
	s_delay_alu instid0(TRANS32_DEP_1) | instskip(NEXT) | instid1(VALU_DEP_1)
	v_fma_f64 v[22:23], -v[16:17], v[18:19], 1.0
	v_fmac_f64_e32 v[18:19], v[18:19], v[22:23]
	s_delay_alu instid0(VALU_DEP_1) | instskip(NEXT) | instid1(VALU_DEP_1)
	v_fma_f64 v[22:23], -v[16:17], v[18:19], 1.0
	v_fmac_f64_e32 v[18:19], v[18:19], v[22:23]
	s_delay_alu instid0(VALU_DEP_1) | instskip(NEXT) | instid1(VALU_DEP_1)
	v_mul_f64_e32 v[22:23], v[24:25], v[18:19]
	v_fma_f64 v[16:17], -v[16:17], v[22:23], v[24:25]
	s_delay_alu instid0(VALU_DEP_1) | instskip(NEXT) | instid1(VALU_DEP_1)
	v_div_fmas_f64 v[16:17], v[16:17], v[18:19], v[22:23]
	v_div_fixup_f64 v[16:17], v[16:17], v[14:15], 1.0
	s_delay_alu instid0(VALU_DEP_1)
	v_dual_cndmask_b32 v17, v13, v17, s1 :: v_dual_cndmask_b32 v16, v12, v16, s1
.LBB100_27:                             ;   in Loop: Header=BB100_12 Depth=1
	s_mov_b32 s33, 4
	s_branch .LBB100_18
.LBB100_28:                             ;   in Loop: Header=BB100_12 Depth=1
	s_cmp_eq_u32 s5, 0
	s_cbranch_scc1 .LBB100_30
; %bb.29:                               ;   in Loop: Header=BB100_12 Depth=1
	s_mov_b32 s17, -1
	s_branch .LBB100_32
.LBB100_30:                             ;   in Loop: Header=BB100_12 Depth=1
	v_cmp_le_i64_e64 s17, s[34:35], s[20:21]
	s_and_b32 vcc_lo, exec_lo, s17
	s_mov_b32 s17, 0
	s_cbranch_vccz .LBB100_32
; %bb.31:                               ;   in Loop: Header=BB100_12 Depth=1
	s_cmp_lg_u64 s[34:35], s[20:21]
	s_mov_b32 s7, -1
	s_cselect_b32 s17, -1, 0
.LBB100_32:                             ;   in Loop: Header=BB100_12 Depth=1
	v_mov_b64_e32 v[16:17], v[12:13]
	s_mov_b32 s33, 2
	v_mov_b64_e32 v[18:19], v[6:7]
	s_and_b32 vcc_lo, exec_lo, s17
	s_cbranch_vccz .LBB100_19
.LBB100_33:                             ;   in Loop: Header=BB100_12 Depth=1
	s_and_saveexec_b32 s7, s3
	s_cbranch_execz .LBB100_35
; %bb.34:                               ;   in Loop: Header=BB100_12 Depth=1
	s_lshl_b64 s[36:37], s[34:35], 2
	s_delay_alu instid0(SALU_CYCLE_1)
	s_add_nc_u64 s[36:37], s[26:27], s[36:37]
	global_load_b32 v16, v5, s[36:37] scope:SCOPE_DEV
	s_wait_loadcnt 0x0
	v_cmp_ne_u32_e32 vcc_lo, 0, v16
	s_cbranch_vccz .LBB100_42
.LBB100_35:                             ;   in Loop: Header=BB100_12 Depth=1
	s_wait_xcnt 0x0
	s_or_b32 exec_lo, exec_lo, s7
	v_mov_b64_e32 v[18:19], 0
	s_wait_storecnt 0x0
	s_barrier_signal -1
	s_barrier_wait -1
	global_inv scope:SCOPE_DEV
	s_and_saveexec_b32 s7, s2
	s_cbranch_execz .LBB100_37
; %bb.36:                               ;   in Loop: Header=BB100_12 Depth=1
	s_mul_u64 s[34:35], s[34:35], s[10:11]
	s_delay_alu instid0(SALU_CYCLE_1)
	v_lshl_add_u64 v[16:17], s[34:35], 3, v[2:3]
	global_load_b64 v[16:17], v[16:17], off
	s_wait_loadcnt 0x0
	v_fma_f64 v[18:19], -v[14:15], v[16:17], v[6:7]
.LBB100_37:                             ;   in Loop: Header=BB100_12 Depth=1
	s_or_b32 exec_lo, exec_lo, s7
	v_mov_b64_e32 v[16:17], v[12:13]
	s_mov_b32 s33, 0
	s_branch .LBB100_20
.LBB100_38:                             ;   in Loop: Header=BB100_12 Depth=1
	v_div_scale_f64 v[16:17], null, v[14:15], v[14:15], 1.0
	v_div_scale_f64 v[24:25], vcc_lo, 1.0, v[14:15], 1.0
	s_mov_b32 s33, 2
	v_rcp_f64_e32 v[18:19], v[16:17]
	v_nop
	s_delay_alu instid0(TRANS32_DEP_1) | instskip(NEXT) | instid1(VALU_DEP_1)
	v_fma_f64 v[22:23], -v[16:17], v[18:19], 1.0
	v_fmac_f64_e32 v[18:19], v[18:19], v[22:23]
	s_delay_alu instid0(VALU_DEP_1) | instskip(NEXT) | instid1(VALU_DEP_1)
	v_fma_f64 v[22:23], -v[16:17], v[18:19], 1.0
	v_fmac_f64_e32 v[18:19], v[18:19], v[22:23]
	s_delay_alu instid0(VALU_DEP_1) | instskip(NEXT) | instid1(VALU_DEP_1)
	v_mul_f64_e32 v[22:23], v[24:25], v[18:19]
	v_fma_f64 v[16:17], -v[16:17], v[22:23], v[24:25]
	s_delay_alu instid0(VALU_DEP_1) | instskip(SKIP_1) | instid1(VALU_DEP_2)
	v_div_fmas_f64 v[16:17], v[16:17], v[18:19], v[22:23]
	v_mov_b64_e32 v[18:19], v[6:7]
	v_div_fixup_f64 v[14:15], v[16:17], v[14:15], 1.0
	s_delay_alu instid0(VALU_DEP_1)
	v_dual_cndmask_b32 v17, v13, v15, s1 :: v_dual_cndmask_b32 v16, v12, v14, s1
	s_mov_b32 s7, -1
	s_cmp_gt_i32 s33, 3
	s_mov_b32 s17, -1
	s_cbranch_scc1 .LBB100_21
.LBB100_39:                             ;   in Loop: Header=BB100_12 Depth=1
	s_cmp_eq_u32 s33, 0
	s_cselect_b32 s17, -1, 0
	s_delay_alu instid0(SALU_CYCLE_1)
	s_and_not1_b32 vcc_lo, exec_lo, s17
	s_cbranch_vccnz .LBB100_22
.LBB100_40:                             ;   in Loop: Header=BB100_12 Depth=1
	s_add_nc_u64 s[30:31], s[30:31], 1
	s_delay_alu instid0(SALU_CYCLE_1)
	v_cmp_ge_i64_e64 s7, s[30:31], s[18:19]
	s_and_not1_b32 vcc_lo, exec_lo, s7
	s_cbranch_vccz .LBB100_47
.LBB100_41:                             ;   in Loop: Header=BB100_12 Depth=1
	s_delay_alu instid0(VALU_DEP_1) | instskip(SKIP_2) | instid1(SALU_CYCLE_1)
	v_mov_b64_e32 v[6:7], v[18:19]
	v_mov_b64_e32 v[12:13], v[16:17]
	s_sub_co_i32 s7, s30, s16
	s_and_b32 s7, s7, 0x1ff
	s_delay_alu instid0(SALU_CYCLE_1)
	s_cmp_lg_u32 s7, 0
	s_cbranch_scc1 .LBB100_12
	s_branch .LBB100_9
.LBB100_42:                             ;   in Loop: Header=BB100_12 Depth=1
	s_mov_b32 s17, 0
	s_branch .LBB100_44
.LBB100_43:                             ;   in Loop: Header=BB100_44 Depth=2
	global_load_b32 v16, v5, s[36:37] scope:SCOPE_DEV
	s_cmp_lt_u32 s17, 0xf43
	s_cselect_b32 s33, -1, 0
	s_delay_alu instid0(SALU_CYCLE_1)
	s_cmp_lg_u32 s33, 0
	s_add_co_ci_u32 s17, s17, 0
	s_wait_loadcnt 0x0
	v_cmp_ne_u32_e32 vcc_lo, 0, v16
	s_cbranch_vccnz .LBB100_35
.LBB100_44:                             ;   Parent Loop BB100_12 Depth=1
                                        ; =>  This Loop Header: Depth=2
                                        ;       Child Loop BB100_45 Depth 3
	s_cmp_eq_u32 s17, 0
	s_mov_b32 s33, s17
	s_cbranch_scc1 .LBB100_43
.LBB100_45:                             ;   Parent Loop BB100_12 Depth=1
                                        ;     Parent Loop BB100_44 Depth=2
                                        ; =>    This Inner Loop Header: Depth=3
	s_add_co_i32 s33, s33, -1
	s_sleep 1
	s_cmp_eq_u32 s33, 0
	s_cbranch_scc0 .LBB100_45
	s_branch .LBB100_43
.LBB100_46:
	v_mov_b64_e32 v[18:19], v[6:7]
.LBB100_47:
	s_and_saveexec_b32 s0, s2
	s_cbranch_execz .LBB100_49
; %bb.48:
	s_delay_alu instid0(VALU_DEP_1) | instskip(SKIP_3) | instid1(VALU_DEP_2)
	v_mul_f64_e32 v[4:5], v[16:17], v[18:19]
	s_cmp_eq_u32 s6, 0
	v_lshl_add_u64 v[2:3], s[22:23], 3, v[2:3]
	s_cselect_b32 vcc_lo, -1, 0
	v_dual_cndmask_b32 v5, v19, v5 :: v_dual_cndmask_b32 v4, v18, v4
	global_store_b64 v[2:3], v[4:5], off
.LBB100_49:
	s_wait_xcnt 0x0
	s_or_b32 exec_lo, exec_lo, s0
	global_wb scope:SCOPE_DEV
	s_wait_loadcnt 0x0
	s_wait_storecnt 0x0
	global_inv scope:SCOPE_DEV
	s_wait_loadcnt 0x0
	s_barrier_signal -1
	s_barrier_wait -1
	s_mov_b32 s0, exec_lo
	v_cmpx_eq_u32_e32 0, v0
	s_cbranch_execz .LBB100_51
; %bb.50:
	s_lshl_b64 s[0:1], s[20:21], 2
	v_dual_mov_b32 v0, 0 :: v_dual_mov_b32 v1, 1
	s_add_nc_u64 s[0:1], s[14:15], s[0:1]
	s_lshl_b64 s[2:3], s[12:13], 2
	s_delay_alu instid0(SALU_CYCLE_1)
	s_add_nc_u64 s[0:1], s[0:1], s[2:3]
	global_store_b32 v0, v1, s[0:1] scope:SCOPE_DEV
.LBB100_51:
	s_endpgm
.LBB100_52:
                                        ; implicit-def: $sgpr22_sgpr23
	s_clause 0x1
	s_load_b64 s[8:9], s[0:1], 0x50
	s_load_b64 s[16:17], s[0:1], 0x20
	s_branch .LBB100_4
	.section	.rodata,"a",@progbits
	.p2align	6, 0x0
	.amdhsa_kernel _ZN9rocsparseL5csrsmILj512ELj64ELb1ElldEEv20rocsparse_operation_T3_S2_NS_24const_host_device_scalarIT4_EEPKT2_PKS2_PKS4_PS4_lPiSA_PS2_21rocsparse_index_base_20rocsparse_fill_mode_20rocsparse_diag_type_b
		.amdhsa_group_segment_fixed_size 8192
		.amdhsa_private_segment_fixed_size 0
		.amdhsa_kernarg_size 112
		.amdhsa_user_sgpr_count 2
		.amdhsa_user_sgpr_dispatch_ptr 0
		.amdhsa_user_sgpr_queue_ptr 0
		.amdhsa_user_sgpr_kernarg_segment_ptr 1
		.amdhsa_user_sgpr_dispatch_id 0
		.amdhsa_user_sgpr_kernarg_preload_length 0
		.amdhsa_user_sgpr_kernarg_preload_offset 0
		.amdhsa_user_sgpr_private_segment_size 0
		.amdhsa_wavefront_size32 1
		.amdhsa_uses_dynamic_stack 0
		.amdhsa_enable_private_segment 0
		.amdhsa_system_sgpr_workgroup_id_x 1
		.amdhsa_system_sgpr_workgroup_id_y 0
		.amdhsa_system_sgpr_workgroup_id_z 0
		.amdhsa_system_sgpr_workgroup_info 0
		.amdhsa_system_vgpr_workitem_id 0
		.amdhsa_next_free_vgpr 26
		.amdhsa_next_free_sgpr 38
		.amdhsa_named_barrier_count 0
		.amdhsa_reserve_vcc 1
		.amdhsa_float_round_mode_32 0
		.amdhsa_float_round_mode_16_64 0
		.amdhsa_float_denorm_mode_32 3
		.amdhsa_float_denorm_mode_16_64 3
		.amdhsa_fp16_overflow 0
		.amdhsa_memory_ordered 1
		.amdhsa_forward_progress 1
		.amdhsa_inst_pref_size 19
		.amdhsa_round_robin_scheduling 0
		.amdhsa_exception_fp_ieee_invalid_op 0
		.amdhsa_exception_fp_denorm_src 0
		.amdhsa_exception_fp_ieee_div_zero 0
		.amdhsa_exception_fp_ieee_overflow 0
		.amdhsa_exception_fp_ieee_underflow 0
		.amdhsa_exception_fp_ieee_inexact 0
		.amdhsa_exception_int_div_zero 0
	.end_amdhsa_kernel
	.section	.text._ZN9rocsparseL5csrsmILj512ELj64ELb1ElldEEv20rocsparse_operation_T3_S2_NS_24const_host_device_scalarIT4_EEPKT2_PKS2_PKS4_PS4_lPiSA_PS2_21rocsparse_index_base_20rocsparse_fill_mode_20rocsparse_diag_type_b,"axG",@progbits,_ZN9rocsparseL5csrsmILj512ELj64ELb1ElldEEv20rocsparse_operation_T3_S2_NS_24const_host_device_scalarIT4_EEPKT2_PKS2_PKS4_PS4_lPiSA_PS2_21rocsparse_index_base_20rocsparse_fill_mode_20rocsparse_diag_type_b,comdat
.Lfunc_end100:
	.size	_ZN9rocsparseL5csrsmILj512ELj64ELb1ElldEEv20rocsparse_operation_T3_S2_NS_24const_host_device_scalarIT4_EEPKT2_PKS2_PKS4_PS4_lPiSA_PS2_21rocsparse_index_base_20rocsparse_fill_mode_20rocsparse_diag_type_b, .Lfunc_end100-_ZN9rocsparseL5csrsmILj512ELj64ELb1ElldEEv20rocsparse_operation_T3_S2_NS_24const_host_device_scalarIT4_EEPKT2_PKS2_PKS4_PS4_lPiSA_PS2_21rocsparse_index_base_20rocsparse_fill_mode_20rocsparse_diag_type_b
                                        ; -- End function
	.set _ZN9rocsparseL5csrsmILj512ELj64ELb1ElldEEv20rocsparse_operation_T3_S2_NS_24const_host_device_scalarIT4_EEPKT2_PKS2_PKS4_PS4_lPiSA_PS2_21rocsparse_index_base_20rocsparse_fill_mode_20rocsparse_diag_type_b.num_vgpr, 26
	.set _ZN9rocsparseL5csrsmILj512ELj64ELb1ElldEEv20rocsparse_operation_T3_S2_NS_24const_host_device_scalarIT4_EEPKT2_PKS2_PKS4_PS4_lPiSA_PS2_21rocsparse_index_base_20rocsparse_fill_mode_20rocsparse_diag_type_b.num_agpr, 0
	.set _ZN9rocsparseL5csrsmILj512ELj64ELb1ElldEEv20rocsparse_operation_T3_S2_NS_24const_host_device_scalarIT4_EEPKT2_PKS2_PKS4_PS4_lPiSA_PS2_21rocsparse_index_base_20rocsparse_fill_mode_20rocsparse_diag_type_b.numbered_sgpr, 38
	.set _ZN9rocsparseL5csrsmILj512ELj64ELb1ElldEEv20rocsparse_operation_T3_S2_NS_24const_host_device_scalarIT4_EEPKT2_PKS2_PKS4_PS4_lPiSA_PS2_21rocsparse_index_base_20rocsparse_fill_mode_20rocsparse_diag_type_b.num_named_barrier, 0
	.set _ZN9rocsparseL5csrsmILj512ELj64ELb1ElldEEv20rocsparse_operation_T3_S2_NS_24const_host_device_scalarIT4_EEPKT2_PKS2_PKS4_PS4_lPiSA_PS2_21rocsparse_index_base_20rocsparse_fill_mode_20rocsparse_diag_type_b.private_seg_size, 0
	.set _ZN9rocsparseL5csrsmILj512ELj64ELb1ElldEEv20rocsparse_operation_T3_S2_NS_24const_host_device_scalarIT4_EEPKT2_PKS2_PKS4_PS4_lPiSA_PS2_21rocsparse_index_base_20rocsparse_fill_mode_20rocsparse_diag_type_b.uses_vcc, 1
	.set _ZN9rocsparseL5csrsmILj512ELj64ELb1ElldEEv20rocsparse_operation_T3_S2_NS_24const_host_device_scalarIT4_EEPKT2_PKS2_PKS4_PS4_lPiSA_PS2_21rocsparse_index_base_20rocsparse_fill_mode_20rocsparse_diag_type_b.uses_flat_scratch, 0
	.set _ZN9rocsparseL5csrsmILj512ELj64ELb1ElldEEv20rocsparse_operation_T3_S2_NS_24const_host_device_scalarIT4_EEPKT2_PKS2_PKS4_PS4_lPiSA_PS2_21rocsparse_index_base_20rocsparse_fill_mode_20rocsparse_diag_type_b.has_dyn_sized_stack, 0
	.set _ZN9rocsparseL5csrsmILj512ELj64ELb1ElldEEv20rocsparse_operation_T3_S2_NS_24const_host_device_scalarIT4_EEPKT2_PKS2_PKS4_PS4_lPiSA_PS2_21rocsparse_index_base_20rocsparse_fill_mode_20rocsparse_diag_type_b.has_recursion, 0
	.set _ZN9rocsparseL5csrsmILj512ELj64ELb1ElldEEv20rocsparse_operation_T3_S2_NS_24const_host_device_scalarIT4_EEPKT2_PKS2_PKS4_PS4_lPiSA_PS2_21rocsparse_index_base_20rocsparse_fill_mode_20rocsparse_diag_type_b.has_indirect_call, 0
	.section	.AMDGPU.csdata,"",@progbits
; Kernel info:
; codeLenInByte = 2364
; TotalNumSgprs: 40
; NumVgprs: 26
; ScratchSize: 0
; MemoryBound: 0
; FloatMode: 240
; IeeeMode: 1
; LDSByteSize: 8192 bytes/workgroup (compile time only)
; SGPRBlocks: 0
; VGPRBlocks: 1
; NumSGPRsForWavesPerEU: 40
; NumVGPRsForWavesPerEU: 26
; NamedBarCnt: 0
; Occupancy: 16
; WaveLimiterHint : 1
; COMPUTE_PGM_RSRC2:SCRATCH_EN: 0
; COMPUTE_PGM_RSRC2:USER_SGPR: 2
; COMPUTE_PGM_RSRC2:TRAP_HANDLER: 0
; COMPUTE_PGM_RSRC2:TGID_X_EN: 1
; COMPUTE_PGM_RSRC2:TGID_Y_EN: 0
; COMPUTE_PGM_RSRC2:TGID_Z_EN: 0
; COMPUTE_PGM_RSRC2:TIDIG_COMP_CNT: 0
	.section	.text._ZN9rocsparseL5csrsmILj512ELj64ELb0ElldEEv20rocsparse_operation_T3_S2_NS_24const_host_device_scalarIT4_EEPKT2_PKS2_PKS4_PS4_lPiSA_PS2_21rocsparse_index_base_20rocsparse_fill_mode_20rocsparse_diag_type_b,"axG",@progbits,_ZN9rocsparseL5csrsmILj512ELj64ELb0ElldEEv20rocsparse_operation_T3_S2_NS_24const_host_device_scalarIT4_EEPKT2_PKS2_PKS4_PS4_lPiSA_PS2_21rocsparse_index_base_20rocsparse_fill_mode_20rocsparse_diag_type_b,comdat
	.globl	_ZN9rocsparseL5csrsmILj512ELj64ELb0ElldEEv20rocsparse_operation_T3_S2_NS_24const_host_device_scalarIT4_EEPKT2_PKS2_PKS4_PS4_lPiSA_PS2_21rocsparse_index_base_20rocsparse_fill_mode_20rocsparse_diag_type_b ; -- Begin function _ZN9rocsparseL5csrsmILj512ELj64ELb0ElldEEv20rocsparse_operation_T3_S2_NS_24const_host_device_scalarIT4_EEPKT2_PKS2_PKS4_PS4_lPiSA_PS2_21rocsparse_index_base_20rocsparse_fill_mode_20rocsparse_diag_type_b
	.p2align	8
	.type	_ZN9rocsparseL5csrsmILj512ELj64ELb0ElldEEv20rocsparse_operation_T3_S2_NS_24const_host_device_scalarIT4_EEPKT2_PKS2_PKS4_PS4_lPiSA_PS2_21rocsparse_index_base_20rocsparse_fill_mode_20rocsparse_diag_type_b,@function
_ZN9rocsparseL5csrsmILj512ELj64ELb0ElldEEv20rocsparse_operation_T3_S2_NS_24const_host_device_scalarIT4_EEPKT2_PKS2_PKS4_PS4_lPiSA_PS2_21rocsparse_index_base_20rocsparse_fill_mode_20rocsparse_diag_type_b: ; @_ZN9rocsparseL5csrsmILj512ELj64ELb0ElldEEv20rocsparse_operation_T3_S2_NS_24const_host_device_scalarIT4_EEPKT2_PKS2_PKS4_PS4_lPiSA_PS2_21rocsparse_index_base_20rocsparse_fill_mode_20rocsparse_diag_type_b
; %bb.0:
	s_clause 0x2
	s_load_b128 s[4:7], s[0:1], 0x60
	s_load_b64 s[2:3], s[0:1], 0x18
	s_load_b128 s[12:15], s[0:1], 0x8
	s_wait_kmcnt 0x0
	s_bitcmp1_b32 s7, 0
	v_mov_b64_e32 v[2:3], s[2:3]
	s_cselect_b32 s7, -1, 0
	s_delay_alu instid0(SALU_CYCLE_1)
	s_and_b32 vcc_lo, exec_lo, s7
	s_cbranch_vccnz .LBB101_2
; %bb.1:
	v_mov_b32_e32 v1, 0
	flat_load_b64 v[2:3], v1, s[2:3]
.LBB101_2:
	s_wait_xcnt 0x0
	s_bfe_u32 s2, ttmp6, 0x4000c
	s_and_b32 s3, ttmp6, 15
	s_add_co_i32 s2, s2, 1
	s_getreg_b32 s7, hwreg(HW_REG_IB_STS2, 6, 4)
	s_mul_i32 s2, ttmp9, s2
	s_delay_alu instid0(SALU_CYCLE_1)
	s_add_co_i32 s3, s3, s2
	s_cmp_eq_u32 s7, 0
	s_cselect_b32 s2, ttmp9, s3
	s_and_b64 s[8:9], s[12:13], 0xffffffff00000000
	s_mov_b32 s3, 0
	s_cmp_lg_u64 s[8:9], 0
	s_cbranch_scc0 .LBB101_49
; %bb.3:
	s_ashr_i32 s8, s13, 31
	s_mov_b32 s21, s3
	s_mov_b32 s9, s8
	;; [unrolled: 1-line block ×3, first 2 shown]
	s_add_nc_u64 s[10:11], s[12:13], s[8:9]
	s_delay_alu instid0(SALU_CYCLE_1) | instskip(NEXT) | instid1(SALU_CYCLE_1)
	s_xor_b64 s[10:11], s[10:11], s[8:9]
	s_cvt_f32_u32 s7, s10
	s_cvt_f32_u32 s16, s11
	s_sub_nc_u64 s[18:19], 0, s[10:11]
	s_delay_alu instid0(SALU_CYCLE_2) | instskip(NEXT) | instid1(SALU_CYCLE_3)
	s_fmamk_f32 s7, s16, 0x4f800000, s7
	v_s_rcp_f32 s7, s7
	s_delay_alu instid0(TRANS32_DEP_1) | instskip(NEXT) | instid1(SALU_CYCLE_3)
	s_mul_f32 s7, s7, 0x5f7ffffc
	s_mul_f32 s16, s7, 0x2f800000
	s_delay_alu instid0(SALU_CYCLE_3) | instskip(NEXT) | instid1(SALU_CYCLE_3)
	s_trunc_f32 s16, s16
	s_fmamk_f32 s7, s16, 0xcf800000, s7
	s_cvt_u32_f32 s17, s16
	s_delay_alu instid0(SALU_CYCLE_2) | instskip(NEXT) | instid1(SALU_CYCLE_3)
	s_cvt_u32_f32 s16, s7
	s_mul_u64 s[22:23], s[18:19], s[16:17]
	s_delay_alu instid0(SALU_CYCLE_1)
	s_mul_hi_u32 s27, s16, s23
	s_mul_i32 s26, s16, s23
	s_mul_hi_u32 s20, s16, s22
	s_mul_i32 s24, s17, s22
	s_add_nc_u64 s[20:21], s[20:21], s[26:27]
	s_mul_hi_u32 s7, s17, s22
	s_mul_hi_u32 s28, s17, s23
	s_add_co_u32 s20, s20, s24
	s_add_co_ci_u32 s24, s21, s7
	s_mul_i32 s22, s17, s23
	s_add_co_ci_u32 s23, s28, 0
	s_delay_alu instid0(SALU_CYCLE_1) | instskip(SKIP_3) | instid1(SALU_CYCLE_1)
	s_add_nc_u64 s[20:21], s[24:25], s[22:23]
	s_mov_b32 s23, s3
	s_add_co_u32 s16, s16, s20
	s_cselect_b32 s7, -1, 0
	s_cmp_lg_u32 s7, 0
	s_add_co_ci_u32 s17, s17, s21
	s_mov_b32 s21, s3
	s_mul_u64 s[18:19], s[18:19], s[16:17]
	s_delay_alu instid0(SALU_CYCLE_1)
	s_mul_hi_u32 s25, s16, s19
	s_mul_i32 s24, s16, s19
	s_mul_hi_u32 s20, s16, s18
	s_mul_i32 s22, s17, s18
	s_add_nc_u64 s[20:21], s[20:21], s[24:25]
	s_mul_hi_u32 s7, s17, s18
	s_mul_hi_u32 s26, s17, s19
	s_mul_i32 s18, s17, s19
	s_add_co_u32 s19, s20, s22
	s_add_co_ci_u32 s22, s21, s7
	s_add_co_ci_u32 s19, s26, 0
	s_add_nc_u64 s[20:21], s[2:3], 0
	s_add_nc_u64 s[18:19], s[22:23], s[18:19]
	s_delay_alu instid0(SALU_CYCLE_1) | instskip(SKIP_1) | instid1(SALU_CYCLE_1)
	s_add_co_u32 s7, s16, s18
	s_cselect_b32 s16, -1, 0
	s_cmp_lg_u32 s16, 0
	s_add_co_ci_u32 s18, s17, s19
	s_xor_b64 s[16:17], s[20:21], 0
	s_mov_b32 s19, s3
	s_mul_hi_u32 s21, s16, s18
	s_mul_i32 s20, s16, s18
	s_mul_hi_u32 s22, s16, s7
	s_mul_hi_u32 s25, s17, s7
	s_mul_i32 s7, s17, s7
	s_add_nc_u64 s[20:21], s[22:23], s[20:21]
	s_mul_hi_u32 s24, s17, s18
	s_add_co_u32 s7, s20, s7
	s_mul_i32 s22, s17, s18
	s_add_co_ci_u32 s18, s21, s25
	s_add_co_ci_u32 s23, s24, 0
	s_delay_alu instid0(SALU_CYCLE_1) | instskip(NEXT) | instid1(SALU_CYCLE_1)
	s_add_nc_u64 s[18:19], s[18:19], s[22:23]
	s_and_b64 s[20:21], s[18:19], 0xffffffff00000000
	s_delay_alu instid0(SALU_CYCLE_1) | instskip(NEXT) | instid1(SALU_CYCLE_1)
	s_or_b32 s20, s20, s18
	s_mul_u64 s[18:19], s[10:11], s[20:21]
	s_delay_alu instid0(SALU_CYCLE_1)
	s_sub_co_u32 s7, s16, s18
	s_cselect_b32 s16, -1, 0
	s_sub_co_i32 s18, s17, s19
	s_cmp_lg_u32 s16, 0
	s_sub_co_ci_u32 s18, s18, s11
	s_sub_co_u32 s22, s7, s10
	s_cselect_b32 s23, -1, 0
	s_delay_alu instid0(SALU_CYCLE_1) | instskip(SKIP_1) | instid1(SALU_CYCLE_1)
	s_cmp_lg_u32 s23, 0
	s_sub_co_ci_u32 s18, s18, 0
	s_cmp_ge_u32 s18, s11
	s_cselect_b32 s24, -1, 0
	s_cmp_ge_u32 s22, s10
	s_add_nc_u64 s[22:23], s[20:21], 1
	s_cselect_b32 s25, -1, 0
	s_cmp_eq_u32 s18, s11
	s_cselect_b32 s18, s25, s24
	s_add_nc_u64 s[24:25], s[20:21], 2
	s_cmp_lg_u32 s18, 0
	s_cselect_b32 s18, s24, s22
	s_cselect_b32 s22, s25, s23
	s_cmp_lg_u32 s16, 0
	s_sub_co_ci_u32 s16, s17, s19
	s_delay_alu instid0(SALU_CYCLE_1)
	s_cmp_ge_u32 s16, s11
	s_cselect_b32 s17, -1, 0
	s_cmp_ge_u32 s7, s10
	s_cselect_b32 s7, -1, 0
	s_cmp_eq_u32 s16, s11
	s_cselect_b32 s7, s7, s17
	s_delay_alu instid0(SALU_CYCLE_1) | instskip(SKIP_4) | instid1(SALU_CYCLE_1)
	s_cmp_lg_u32 s7, 0
	s_mov_b32 s7, s3
	s_cselect_b32 s11, s22, s21
	s_cselect_b32 s10, s18, s20
	s_xor_b64 s[8:9], 0, s[8:9]
	s_xor_b64 s[10:11], s[10:11], s[8:9]
	s_delay_alu instid0(SALU_CYCLE_1)
	s_sub_nc_u64 s[22:23], s[10:11], s[8:9]
	s_clause 0x1
	s_load_b64 s[8:9], s[0:1], 0x50
	s_load_b64 s[16:17], s[0:1], 0x20
	s_and_not1_b32 vcc_lo, exec_lo, s7
	s_cbranch_vccnz .LBB101_5
.LBB101_4:
	v_cvt_f32_u32_e32 v1, s12
	s_sub_co_i32 s10, 0, s12
	s_mov_b32 s23, 0
	s_delay_alu instid0(VALU_DEP_1) | instskip(SKIP_1) | instid1(TRANS32_DEP_1)
	v_rcp_iflag_f32_e32 v1, v1
	v_nop
	v_mul_f32_e32 v1, 0x4f7ffffe, v1
	s_delay_alu instid0(VALU_DEP_1) | instskip(NEXT) | instid1(VALU_DEP_1)
	v_cvt_u32_f32_e32 v1, v1
	v_readfirstlane_b32 s7, v1
	s_mul_i32 s10, s10, s7
	s_delay_alu instid0(SALU_CYCLE_1) | instskip(NEXT) | instid1(SALU_CYCLE_1)
	s_mul_hi_u32 s10, s7, s10
	s_add_co_i32 s7, s7, s10
	s_delay_alu instid0(SALU_CYCLE_1) | instskip(NEXT) | instid1(SALU_CYCLE_1)
	s_mul_hi_u32 s7, s2, s7
	s_mul_i32 s10, s7, s12
	s_add_co_i32 s11, s7, 1
	s_sub_co_i32 s10, s2, s10
	s_delay_alu instid0(SALU_CYCLE_1)
	s_sub_co_i32 s18, s10, s12
	s_cmp_ge_u32 s10, s12
	s_cselect_b32 s7, s11, s7
	s_cselect_b32 s10, s18, s10
	s_add_co_i32 s11, s7, 1
	s_cmp_ge_u32 s10, s12
	s_cselect_b32 s22, s11, s7
.LBB101_5:
	s_delay_alu instid0(SALU_CYCLE_1)
	s_mul_u64 s[12:13], s[22:23], s[12:13]
	v_mov_b64_e32 v[6:7], 0
	s_sub_nc_u64 s[2:3], s[2:3], s[12:13]
	v_mov_b32_e32 v1, 0
	s_lshl_b64 s[2:3], s[2:3], 3
	s_wait_kmcnt 0x0
	s_add_nc_u64 s[2:3], s[8:9], s[2:3]
	s_load_b128 s[8:11], s[0:1], 0x38
	s_load_b64 s[20:21], s[2:3], 0x0
	s_wait_kmcnt 0x0
	s_lshl_b64 s[2:3], s[20:21], 3
	s_delay_alu instid0(SALU_CYCLE_1)
	s_add_nc_u64 s[2:3], s[16:17], s[2:3]
	s_load_b128 s[16:19], s[2:3], 0x0
	s_wait_xcnt 0x0
	s_lshl_b64 s[2:3], s[22:23], 9
	s_mul_u64 s[22:23], s[20:21], s[10:11]
	v_dual_mov_b32 v5, s3 :: v_dual_bitop2_b32 v4, s2, v0 bitop3:0x54
	s_delay_alu instid0(VALU_DEP_1)
	v_cmp_gt_i64_e64 s2, s[14:15], v[4:5]
	s_and_saveexec_b32 s3, s2
	s_cbranch_execz .LBB101_7
; %bb.6:
	v_add_nc_u64_e32 v[6:7], s[22:23], v[4:5]
	s_delay_alu instid0(VALU_DEP_1)
	v_lshl_add_u64 v[6:7], v[6:7], 3, s[8:9]
	global_load_b64 v[6:7], v[6:7], off
	s_wait_loadcnt_dscnt 0x0
	v_mul_f64_e32 v[6:7], v[2:3], v[6:7]
.LBB101_7:
	s_or_b32 exec_lo, exec_lo, s3
	s_load_b64 s[14:15], s[0:1], 0x48
	s_wait_kmcnt 0x0
	v_cmp_ge_i64_e64 s3, s[16:17], s[18:19]
	v_mov_b64_e32 v[16:17], 1.0
	s_wait_loadcnt_dscnt 0x0
	v_lshl_add_u64 v[2:3], v[4:5], 3, s[8:9]
	s_and_b32 vcc_lo, exec_lo, s3
	v_cmp_eq_u32_e64 s3, 0, v0
	s_cbranch_vccnz .LBB101_43
; %bb.8:
	s_clause 0x1
	s_load_b128 s[28:31], s[0:1], 0x28
	s_load_b64 s[8:9], s[0:1], 0x58
	v_dual_mov_b32 v5, 0 :: v_dual_lshlrev_b32 v4, 3, v0
	s_wait_xcnt 0x0
	s_lshl_b64 s[0:1], s[12:13], 2
	v_mov_b64_e32 v[12:13], 1.0
	s_mov_b32 s25, 0
	s_mov_b32 s24, s4
	s_cmp_lg_u32 s6, 0
	s_add_nc_u64 s[26:27], s[14:15], s[0:1]
	v_or_b32_e32 v20, 0x1000, v4
	v_cmp_ne_u32_e64 s0, 0, v0
	s_sub_nc_u64 s[16:17], s[16:17], s[24:25]
	s_cselect_b32 s4, -1, 0
	s_cmp_eq_u32 s6, 0
	s_sub_nc_u64 s[18:19], s[18:19], s[24:25]
	s_cselect_b32 s1, -1, 0
	s_wait_kmcnt 0x0
	v_add_nc_u64_e32 v[8:9], s[28:29], v[4:5]
	v_add_nc_u64_e32 v[10:11], s[30:31], v[4:5]
	s_add_nc_u64 s[28:29], s[20:21], s[24:25]
	s_mov_b64 s[30:31], s[16:17]
	s_delay_alu instid0(SALU_CYCLE_1) | instskip(NEXT) | instid1(SALU_CYCLE_1)
	s_sub_co_i32 s7, s30, s16
	s_and_b32 s7, s7, 0x1ff
	s_delay_alu instid0(SALU_CYCLE_1)
	s_cmp_lg_u32 s7, 0
	s_cbranch_scc1 .LBB101_12
.LBB101_9:
	v_mov_b64_e32 v[14:15], -1.0
	v_mov_b64_e32 v[16:17], -1
	s_sub_nc_u64 s[34:35], s[18:19], s[30:31]
	s_mov_b32 s17, exec_lo
	v_cmpx_gt_i64_e64 s[34:35], v[0:1]
	s_cbranch_execz .LBB101_11
; %bb.10:
	s_lshl_b64 s[34:35], s[30:31], 3
	s_delay_alu instid0(SALU_CYCLE_1)
	v_add_nc_u64_e32 v[14:15], s[34:35], v[8:9]
	global_load_b64 v[16:17], v[14:15], off
	s_wait_xcnt 0x0
	v_add_nc_u64_e32 v[14:15], s[34:35], v[10:11]
	global_load_b64 v[14:15], v[14:15], off
	s_wait_loadcnt 0x1
	v_sub_nc_u64_e64 v[16:17], v[16:17], s[24:25]
.LBB101_11:
	s_wait_xcnt 0x0
	s_or_b32 exec_lo, exec_lo, s17
	ds_store_b64 v4, v[16:17]
	s_wait_loadcnt 0x0
	ds_store_b64 v20, v[14:15]
.LBB101_12:                             ; =>This Loop Header: Depth=1
                                        ;     Child Loop BB101_35 Depth 2
	s_lshl_b32 s7, s7, 3
	s_wait_dscnt 0x0
	v_mov_b32_e32 v14, s7
	s_barrier_signal -1
	s_barrier_wait -1
	ds_load_2addr_stride64_b64 v[14:17], v14 offset1:8
	s_wait_dscnt 0x0
	v_cmp_neq_f64_e32 vcc_lo, 0, v[16:17]
	v_readfirstlane_b32 s34, v14
	v_readfirstlane_b32 s35, v15
	s_cmp_lg_u64 s[34:35], s[20:21]
	s_cselect_b32 s7, -1, 0
	s_delay_alu instid0(SALU_CYCLE_1) | instskip(NEXT) | instid1(SALU_CYCLE_1)
	s_or_b32 s7, s4, s7
	s_or_b32 vcc_lo, vcc_lo, s7
	v_cndmask_b32_e32 v15, 0x3ff00000, v17, vcc_lo
	v_cndmask_b32_e32 v14, 0, v16, vcc_lo
	s_nor_b32 s17, s0, vcc_lo
	s_delay_alu instid0(SALU_CYCLE_1)
	s_and_saveexec_b32 s7, s17
	s_cbranch_execz .LBB101_16
; %bb.13:                               ;   in Loop: Header=BB101_12 Depth=1
	v_mbcnt_lo_u32_b32 v14, exec_lo, 0
	s_mov_b32 s17, exec_lo
	s_delay_alu instid0(VALU_DEP_1)
	v_cmpx_eq_u32_e32 0, v14
	s_cbranch_execz .LBB101_15
; %bb.14:                               ;   in Loop: Header=BB101_12 Depth=1
	v_mov_b64_e32 v[14:15], s[28:29]
	global_atomic_min_u64 v5, v[14:15], s[8:9] scope:SCOPE_DEV
.LBB101_15:                             ;   in Loop: Header=BB101_12 Depth=1
	s_wait_xcnt 0x0
	s_or_b32 exec_lo, exec_lo, s17
	v_mov_b64_e32 v[14:15], 1.0
.LBB101_16:                             ;   in Loop: Header=BB101_12 Depth=1
	s_or_b32 exec_lo, exec_lo, s7
	s_mov_b32 s33, -1
	s_mov_b32 s7, 0
	s_cmp_lt_i32 s5, 1
	s_mov_b32 s17, 0
                                        ; implicit-def: $vgpr16_vgpr17
	s_cbranch_scc0 .LBB101_23
; %bb.17:                               ;   in Loop: Header=BB101_12 Depth=1
	s_and_b32 vcc_lo, exec_lo, s33
	s_mov_b32 s33, 4
	s_cbranch_vccnz .LBB101_28
.LBB101_18:                             ;   in Loop: Header=BB101_12 Depth=1
	v_mov_b64_e32 v[18:19], v[6:7]
	s_and_b32 vcc_lo, exec_lo, s17
	s_cbranch_vccnz .LBB101_33
.LBB101_19:                             ;   in Loop: Header=BB101_12 Depth=1
	s_and_b32 vcc_lo, exec_lo, s7
	s_cbranch_vccnz .LBB101_39
.LBB101_20:                             ;   in Loop: Header=BB101_12 Depth=1
	s_mov_b32 s7, -1
	s_cmp_gt_i32 s33, 3
	s_mov_b32 s17, -1
	s_cbranch_scc0 .LBB101_40
.LBB101_21:                             ;   in Loop: Header=BB101_12 Depth=1
	s_and_not1_b32 vcc_lo, exec_lo, s17
	s_cbranch_vccz .LBB101_41
.LBB101_22:                             ;   in Loop: Header=BB101_12 Depth=1
	s_and_not1_b32 vcc_lo, exec_lo, s7
	s_cbranch_vccnz .LBB101_42
	s_branch .LBB101_44
.LBB101_23:                             ;   in Loop: Header=BB101_12 Depth=1
	s_cmp_eq_u32 s5, 1
	s_mov_b32 s17, -1
                                        ; implicit-def: $vgpr16_vgpr17
	s_cbranch_scc0 .LBB101_27
; %bb.24:                               ;   in Loop: Header=BB101_12 Depth=1
	v_cmp_ge_i64_e64 s17, s[34:35], s[20:21]
	v_mov_b64_e32 v[16:17], v[12:13]
	s_and_b32 vcc_lo, exec_lo, s17
	s_mov_b32 s17, 0
	s_cbranch_vccz .LBB101_27
; %bb.25:                               ;   in Loop: Header=BB101_12 Depth=1
	s_cmp_eq_u64 s[34:35], s[20:21]
	s_mov_b32 s17, -1
                                        ; implicit-def: $vgpr16_vgpr17
	s_cbranch_scc0 .LBB101_27
; %bb.26:                               ;   in Loop: Header=BB101_12 Depth=1
	v_div_scale_f64 v[16:17], null, v[14:15], v[14:15], 1.0
	v_div_scale_f64 v[24:25], vcc_lo, 1.0, v[14:15], 1.0
	s_mov_b32 s17, 0
	v_rcp_f64_e32 v[18:19], v[16:17]
	v_nop
	s_delay_alu instid0(TRANS32_DEP_1) | instskip(NEXT) | instid1(VALU_DEP_1)
	v_fma_f64 v[22:23], -v[16:17], v[18:19], 1.0
	v_fmac_f64_e32 v[18:19], v[18:19], v[22:23]
	s_delay_alu instid0(VALU_DEP_1) | instskip(NEXT) | instid1(VALU_DEP_1)
	v_fma_f64 v[22:23], -v[16:17], v[18:19], 1.0
	v_fmac_f64_e32 v[18:19], v[18:19], v[22:23]
	s_delay_alu instid0(VALU_DEP_1) | instskip(NEXT) | instid1(VALU_DEP_1)
	v_mul_f64_e32 v[22:23], v[24:25], v[18:19]
	v_fma_f64 v[16:17], -v[16:17], v[22:23], v[24:25]
	s_delay_alu instid0(VALU_DEP_1) | instskip(NEXT) | instid1(VALU_DEP_1)
	v_div_fmas_f64 v[16:17], v[16:17], v[18:19], v[22:23]
	v_div_fixup_f64 v[16:17], v[16:17], v[14:15], 1.0
	s_delay_alu instid0(VALU_DEP_1)
	v_dual_cndmask_b32 v17, v13, v17, s1 :: v_dual_cndmask_b32 v16, v12, v16, s1
.LBB101_27:                             ;   in Loop: Header=BB101_12 Depth=1
	s_mov_b32 s33, 4
	s_branch .LBB101_18
.LBB101_28:                             ;   in Loop: Header=BB101_12 Depth=1
	s_cmp_eq_u32 s5, 0
	s_cbranch_scc1 .LBB101_30
; %bb.29:                               ;   in Loop: Header=BB101_12 Depth=1
	s_mov_b32 s17, -1
	s_branch .LBB101_32
.LBB101_30:                             ;   in Loop: Header=BB101_12 Depth=1
	v_cmp_le_i64_e64 s17, s[34:35], s[20:21]
	s_and_b32 vcc_lo, exec_lo, s17
	s_mov_b32 s17, 0
	s_cbranch_vccz .LBB101_32
; %bb.31:                               ;   in Loop: Header=BB101_12 Depth=1
	s_cmp_lg_u64 s[34:35], s[20:21]
	s_mov_b32 s7, -1
	s_cselect_b32 s17, -1, 0
.LBB101_32:                             ;   in Loop: Header=BB101_12 Depth=1
	v_mov_b64_e32 v[16:17], v[12:13]
	s_mov_b32 s33, 2
	v_mov_b64_e32 v[18:19], v[6:7]
	s_and_b32 vcc_lo, exec_lo, s17
	s_cbranch_vccz .LBB101_19
.LBB101_33:                             ;   in Loop: Header=BB101_12 Depth=1
	s_and_saveexec_b32 s7, s3
	s_cbranch_execz .LBB101_36
; %bb.34:                               ;   in Loop: Header=BB101_12 Depth=1
	s_lshl_b64 s[36:37], s[34:35], 2
	s_delay_alu instid0(SALU_CYCLE_1)
	s_add_nc_u64 s[36:37], s[26:27], s[36:37]
	global_load_b32 v16, v5, s[36:37] scope:SCOPE_DEV
	s_wait_loadcnt 0x0
	v_cmp_ne_u32_e32 vcc_lo, 0, v16
	s_cbranch_vccnz .LBB101_36
.LBB101_35:                             ;   Parent Loop BB101_12 Depth=1
                                        ; =>  This Inner Loop Header: Depth=2
	global_load_b32 v16, v5, s[36:37] scope:SCOPE_DEV
	s_wait_loadcnt 0x0
	v_cmp_eq_u32_e32 vcc_lo, 0, v16
	s_cbranch_vccnz .LBB101_35
.LBB101_36:                             ;   in Loop: Header=BB101_12 Depth=1
	s_wait_xcnt 0x0
	s_or_b32 exec_lo, exec_lo, s7
	v_mov_b64_e32 v[18:19], 0
	s_wait_storecnt 0x0
	s_barrier_signal -1
	s_barrier_wait -1
	global_inv scope:SCOPE_DEV
	s_and_saveexec_b32 s7, s2
	s_cbranch_execz .LBB101_38
; %bb.37:                               ;   in Loop: Header=BB101_12 Depth=1
	s_mul_u64 s[34:35], s[34:35], s[10:11]
	s_delay_alu instid0(SALU_CYCLE_1)
	v_lshl_add_u64 v[16:17], s[34:35], 3, v[2:3]
	global_load_b64 v[16:17], v[16:17], off
	s_wait_loadcnt 0x0
	v_fma_f64 v[18:19], -v[14:15], v[16:17], v[6:7]
.LBB101_38:                             ;   in Loop: Header=BB101_12 Depth=1
	s_or_b32 exec_lo, exec_lo, s7
	v_mov_b64_e32 v[16:17], v[12:13]
	s_mov_b32 s33, 0
	s_branch .LBB101_20
.LBB101_39:                             ;   in Loop: Header=BB101_12 Depth=1
	v_div_scale_f64 v[16:17], null, v[14:15], v[14:15], 1.0
	v_div_scale_f64 v[24:25], vcc_lo, 1.0, v[14:15], 1.0
	s_mov_b32 s33, 2
	v_rcp_f64_e32 v[18:19], v[16:17]
	v_nop
	s_delay_alu instid0(TRANS32_DEP_1) | instskip(NEXT) | instid1(VALU_DEP_1)
	v_fma_f64 v[22:23], -v[16:17], v[18:19], 1.0
	v_fmac_f64_e32 v[18:19], v[18:19], v[22:23]
	s_delay_alu instid0(VALU_DEP_1) | instskip(NEXT) | instid1(VALU_DEP_1)
	v_fma_f64 v[22:23], -v[16:17], v[18:19], 1.0
	v_fmac_f64_e32 v[18:19], v[18:19], v[22:23]
	s_delay_alu instid0(VALU_DEP_1) | instskip(NEXT) | instid1(VALU_DEP_1)
	v_mul_f64_e32 v[22:23], v[24:25], v[18:19]
	v_fma_f64 v[16:17], -v[16:17], v[22:23], v[24:25]
	s_delay_alu instid0(VALU_DEP_1) | instskip(SKIP_1) | instid1(VALU_DEP_2)
	v_div_fmas_f64 v[16:17], v[16:17], v[18:19], v[22:23]
	v_mov_b64_e32 v[18:19], v[6:7]
	v_div_fixup_f64 v[14:15], v[16:17], v[14:15], 1.0
	s_delay_alu instid0(VALU_DEP_1)
	v_dual_cndmask_b32 v17, v13, v15, s1 :: v_dual_cndmask_b32 v16, v12, v14, s1
	s_mov_b32 s7, -1
	s_cmp_gt_i32 s33, 3
	s_mov_b32 s17, -1
	s_cbranch_scc1 .LBB101_21
.LBB101_40:                             ;   in Loop: Header=BB101_12 Depth=1
	s_cmp_eq_u32 s33, 0
	s_cselect_b32 s17, -1, 0
	s_delay_alu instid0(SALU_CYCLE_1)
	s_and_not1_b32 vcc_lo, exec_lo, s17
	s_cbranch_vccnz .LBB101_22
.LBB101_41:                             ;   in Loop: Header=BB101_12 Depth=1
	s_add_nc_u64 s[30:31], s[30:31], 1
	s_delay_alu instid0(SALU_CYCLE_1)
	v_cmp_ge_i64_e64 s7, s[30:31], s[18:19]
	s_and_not1_b32 vcc_lo, exec_lo, s7
	s_cbranch_vccz .LBB101_44
.LBB101_42:                             ;   in Loop: Header=BB101_12 Depth=1
	s_delay_alu instid0(VALU_DEP_1) | instskip(SKIP_2) | instid1(SALU_CYCLE_1)
	v_mov_b64_e32 v[6:7], v[18:19]
	v_mov_b64_e32 v[12:13], v[16:17]
	s_sub_co_i32 s7, s30, s16
	s_and_b32 s7, s7, 0x1ff
	s_delay_alu instid0(SALU_CYCLE_1)
	s_cmp_lg_u32 s7, 0
	s_cbranch_scc1 .LBB101_12
	s_branch .LBB101_9
.LBB101_43:
	v_mov_b64_e32 v[18:19], v[6:7]
.LBB101_44:
	s_and_saveexec_b32 s0, s2
	s_cbranch_execz .LBB101_46
; %bb.45:
	s_delay_alu instid0(VALU_DEP_1) | instskip(SKIP_3) | instid1(VALU_DEP_2)
	v_mul_f64_e32 v[4:5], v[16:17], v[18:19]
	s_cmp_eq_u32 s6, 0
	v_lshl_add_u64 v[2:3], s[22:23], 3, v[2:3]
	s_cselect_b32 vcc_lo, -1, 0
	v_dual_cndmask_b32 v5, v19, v5 :: v_dual_cndmask_b32 v4, v18, v4
	global_store_b64 v[2:3], v[4:5], off
.LBB101_46:
	s_wait_xcnt 0x0
	s_or_b32 exec_lo, exec_lo, s0
	global_wb scope:SCOPE_DEV
	s_wait_loadcnt 0x0
	s_wait_storecnt 0x0
	global_inv scope:SCOPE_DEV
	s_wait_loadcnt 0x0
	s_barrier_signal -1
	s_barrier_wait -1
	s_mov_b32 s0, exec_lo
	v_cmpx_eq_u32_e32 0, v0
	s_cbranch_execz .LBB101_48
; %bb.47:
	s_lshl_b64 s[0:1], s[20:21], 2
	v_dual_mov_b32 v0, 0 :: v_dual_mov_b32 v1, 1
	s_add_nc_u64 s[0:1], s[14:15], s[0:1]
	s_lshl_b64 s[2:3], s[12:13], 2
	s_delay_alu instid0(SALU_CYCLE_1)
	s_add_nc_u64 s[0:1], s[0:1], s[2:3]
	global_store_b32 v0, v1, s[0:1] scope:SCOPE_DEV
.LBB101_48:
	s_endpgm
.LBB101_49:
                                        ; implicit-def: $sgpr22_sgpr23
	s_clause 0x1
	s_load_b64 s[8:9], s[0:1], 0x50
	s_load_b64 s[16:17], s[0:1], 0x20
	s_branch .LBB101_4
	.section	.rodata,"a",@progbits
	.p2align	6, 0x0
	.amdhsa_kernel _ZN9rocsparseL5csrsmILj512ELj64ELb0ElldEEv20rocsparse_operation_T3_S2_NS_24const_host_device_scalarIT4_EEPKT2_PKS2_PKS4_PS4_lPiSA_PS2_21rocsparse_index_base_20rocsparse_fill_mode_20rocsparse_diag_type_b
		.amdhsa_group_segment_fixed_size 8192
		.amdhsa_private_segment_fixed_size 0
		.amdhsa_kernarg_size 112
		.amdhsa_user_sgpr_count 2
		.amdhsa_user_sgpr_dispatch_ptr 0
		.amdhsa_user_sgpr_queue_ptr 0
		.amdhsa_user_sgpr_kernarg_segment_ptr 1
		.amdhsa_user_sgpr_dispatch_id 0
		.amdhsa_user_sgpr_kernarg_preload_length 0
		.amdhsa_user_sgpr_kernarg_preload_offset 0
		.amdhsa_user_sgpr_private_segment_size 0
		.amdhsa_wavefront_size32 1
		.amdhsa_uses_dynamic_stack 0
		.amdhsa_enable_private_segment 0
		.amdhsa_system_sgpr_workgroup_id_x 1
		.amdhsa_system_sgpr_workgroup_id_y 0
		.amdhsa_system_sgpr_workgroup_id_z 0
		.amdhsa_system_sgpr_workgroup_info 0
		.amdhsa_system_vgpr_workitem_id 0
		.amdhsa_next_free_vgpr 26
		.amdhsa_next_free_sgpr 38
		.amdhsa_named_barrier_count 0
		.amdhsa_reserve_vcc 1
		.amdhsa_float_round_mode_32 0
		.amdhsa_float_round_mode_16_64 0
		.amdhsa_float_denorm_mode_32 3
		.amdhsa_float_denorm_mode_16_64 3
		.amdhsa_fp16_overflow 0
		.amdhsa_memory_ordered 1
		.amdhsa_forward_progress 1
		.amdhsa_inst_pref_size 18
		.amdhsa_round_robin_scheduling 0
		.amdhsa_exception_fp_ieee_invalid_op 0
		.amdhsa_exception_fp_denorm_src 0
		.amdhsa_exception_fp_ieee_div_zero 0
		.amdhsa_exception_fp_ieee_overflow 0
		.amdhsa_exception_fp_ieee_underflow 0
		.amdhsa_exception_fp_ieee_inexact 0
		.amdhsa_exception_int_div_zero 0
	.end_amdhsa_kernel
	.section	.text._ZN9rocsparseL5csrsmILj512ELj64ELb0ElldEEv20rocsparse_operation_T3_S2_NS_24const_host_device_scalarIT4_EEPKT2_PKS2_PKS4_PS4_lPiSA_PS2_21rocsparse_index_base_20rocsparse_fill_mode_20rocsparse_diag_type_b,"axG",@progbits,_ZN9rocsparseL5csrsmILj512ELj64ELb0ElldEEv20rocsparse_operation_T3_S2_NS_24const_host_device_scalarIT4_EEPKT2_PKS2_PKS4_PS4_lPiSA_PS2_21rocsparse_index_base_20rocsparse_fill_mode_20rocsparse_diag_type_b,comdat
.Lfunc_end101:
	.size	_ZN9rocsparseL5csrsmILj512ELj64ELb0ElldEEv20rocsparse_operation_T3_S2_NS_24const_host_device_scalarIT4_EEPKT2_PKS2_PKS4_PS4_lPiSA_PS2_21rocsparse_index_base_20rocsparse_fill_mode_20rocsparse_diag_type_b, .Lfunc_end101-_ZN9rocsparseL5csrsmILj512ELj64ELb0ElldEEv20rocsparse_operation_T3_S2_NS_24const_host_device_scalarIT4_EEPKT2_PKS2_PKS4_PS4_lPiSA_PS2_21rocsparse_index_base_20rocsparse_fill_mode_20rocsparse_diag_type_b
                                        ; -- End function
	.set _ZN9rocsparseL5csrsmILj512ELj64ELb0ElldEEv20rocsparse_operation_T3_S2_NS_24const_host_device_scalarIT4_EEPKT2_PKS2_PKS4_PS4_lPiSA_PS2_21rocsparse_index_base_20rocsparse_fill_mode_20rocsparse_diag_type_b.num_vgpr, 26
	.set _ZN9rocsparseL5csrsmILj512ELj64ELb0ElldEEv20rocsparse_operation_T3_S2_NS_24const_host_device_scalarIT4_EEPKT2_PKS2_PKS4_PS4_lPiSA_PS2_21rocsparse_index_base_20rocsparse_fill_mode_20rocsparse_diag_type_b.num_agpr, 0
	.set _ZN9rocsparseL5csrsmILj512ELj64ELb0ElldEEv20rocsparse_operation_T3_S2_NS_24const_host_device_scalarIT4_EEPKT2_PKS2_PKS4_PS4_lPiSA_PS2_21rocsparse_index_base_20rocsparse_fill_mode_20rocsparse_diag_type_b.numbered_sgpr, 38
	.set _ZN9rocsparseL5csrsmILj512ELj64ELb0ElldEEv20rocsparse_operation_T3_S2_NS_24const_host_device_scalarIT4_EEPKT2_PKS2_PKS4_PS4_lPiSA_PS2_21rocsparse_index_base_20rocsparse_fill_mode_20rocsparse_diag_type_b.num_named_barrier, 0
	.set _ZN9rocsparseL5csrsmILj512ELj64ELb0ElldEEv20rocsparse_operation_T3_S2_NS_24const_host_device_scalarIT4_EEPKT2_PKS2_PKS4_PS4_lPiSA_PS2_21rocsparse_index_base_20rocsparse_fill_mode_20rocsparse_diag_type_b.private_seg_size, 0
	.set _ZN9rocsparseL5csrsmILj512ELj64ELb0ElldEEv20rocsparse_operation_T3_S2_NS_24const_host_device_scalarIT4_EEPKT2_PKS2_PKS4_PS4_lPiSA_PS2_21rocsparse_index_base_20rocsparse_fill_mode_20rocsparse_diag_type_b.uses_vcc, 1
	.set _ZN9rocsparseL5csrsmILj512ELj64ELb0ElldEEv20rocsparse_operation_T3_S2_NS_24const_host_device_scalarIT4_EEPKT2_PKS2_PKS4_PS4_lPiSA_PS2_21rocsparse_index_base_20rocsparse_fill_mode_20rocsparse_diag_type_b.uses_flat_scratch, 0
	.set _ZN9rocsparseL5csrsmILj512ELj64ELb0ElldEEv20rocsparse_operation_T3_S2_NS_24const_host_device_scalarIT4_EEPKT2_PKS2_PKS4_PS4_lPiSA_PS2_21rocsparse_index_base_20rocsparse_fill_mode_20rocsparse_diag_type_b.has_dyn_sized_stack, 0
	.set _ZN9rocsparseL5csrsmILj512ELj64ELb0ElldEEv20rocsparse_operation_T3_S2_NS_24const_host_device_scalarIT4_EEPKT2_PKS2_PKS4_PS4_lPiSA_PS2_21rocsparse_index_base_20rocsparse_fill_mode_20rocsparse_diag_type_b.has_recursion, 0
	.set _ZN9rocsparseL5csrsmILj512ELj64ELb0ElldEEv20rocsparse_operation_T3_S2_NS_24const_host_device_scalarIT4_EEPKT2_PKS2_PKS4_PS4_lPiSA_PS2_21rocsparse_index_base_20rocsparse_fill_mode_20rocsparse_diag_type_b.has_indirect_call, 0
	.section	.AMDGPU.csdata,"",@progbits
; Kernel info:
; codeLenInByte = 2300
; TotalNumSgprs: 40
; NumVgprs: 26
; ScratchSize: 0
; MemoryBound: 0
; FloatMode: 240
; IeeeMode: 1
; LDSByteSize: 8192 bytes/workgroup (compile time only)
; SGPRBlocks: 0
; VGPRBlocks: 1
; NumSGPRsForWavesPerEU: 40
; NumVGPRsForWavesPerEU: 26
; NamedBarCnt: 0
; Occupancy: 16
; WaveLimiterHint : 1
; COMPUTE_PGM_RSRC2:SCRATCH_EN: 0
; COMPUTE_PGM_RSRC2:USER_SGPR: 2
; COMPUTE_PGM_RSRC2:TRAP_HANDLER: 0
; COMPUTE_PGM_RSRC2:TGID_X_EN: 1
; COMPUTE_PGM_RSRC2:TGID_Y_EN: 0
; COMPUTE_PGM_RSRC2:TGID_Z_EN: 0
; COMPUTE_PGM_RSRC2:TIDIG_COMP_CNT: 0
	.section	.text._ZN9rocsparseL5csrsmILj1024ELj64ELb1ElldEEv20rocsparse_operation_T3_S2_NS_24const_host_device_scalarIT4_EEPKT2_PKS2_PKS4_PS4_lPiSA_PS2_21rocsparse_index_base_20rocsparse_fill_mode_20rocsparse_diag_type_b,"axG",@progbits,_ZN9rocsparseL5csrsmILj1024ELj64ELb1ElldEEv20rocsparse_operation_T3_S2_NS_24const_host_device_scalarIT4_EEPKT2_PKS2_PKS4_PS4_lPiSA_PS2_21rocsparse_index_base_20rocsparse_fill_mode_20rocsparse_diag_type_b,comdat
	.globl	_ZN9rocsparseL5csrsmILj1024ELj64ELb1ElldEEv20rocsparse_operation_T3_S2_NS_24const_host_device_scalarIT4_EEPKT2_PKS2_PKS4_PS4_lPiSA_PS2_21rocsparse_index_base_20rocsparse_fill_mode_20rocsparse_diag_type_b ; -- Begin function _ZN9rocsparseL5csrsmILj1024ELj64ELb1ElldEEv20rocsparse_operation_T3_S2_NS_24const_host_device_scalarIT4_EEPKT2_PKS2_PKS4_PS4_lPiSA_PS2_21rocsparse_index_base_20rocsparse_fill_mode_20rocsparse_diag_type_b
	.p2align	8
	.type	_ZN9rocsparseL5csrsmILj1024ELj64ELb1ElldEEv20rocsparse_operation_T3_S2_NS_24const_host_device_scalarIT4_EEPKT2_PKS2_PKS4_PS4_lPiSA_PS2_21rocsparse_index_base_20rocsparse_fill_mode_20rocsparse_diag_type_b,@function
_ZN9rocsparseL5csrsmILj1024ELj64ELb1ElldEEv20rocsparse_operation_T3_S2_NS_24const_host_device_scalarIT4_EEPKT2_PKS2_PKS4_PS4_lPiSA_PS2_21rocsparse_index_base_20rocsparse_fill_mode_20rocsparse_diag_type_b: ; @_ZN9rocsparseL5csrsmILj1024ELj64ELb1ElldEEv20rocsparse_operation_T3_S2_NS_24const_host_device_scalarIT4_EEPKT2_PKS2_PKS4_PS4_lPiSA_PS2_21rocsparse_index_base_20rocsparse_fill_mode_20rocsparse_diag_type_b
; %bb.0:
	s_clause 0x2
	s_load_b128 s[4:7], s[0:1], 0x60
	s_load_b64 s[2:3], s[0:1], 0x18
	s_load_b128 s[12:15], s[0:1], 0x8
	s_wait_kmcnt 0x0
	s_bitcmp1_b32 s7, 0
	v_mov_b64_e32 v[2:3], s[2:3]
	s_cselect_b32 s7, -1, 0
	s_delay_alu instid0(SALU_CYCLE_1)
	s_and_b32 vcc_lo, exec_lo, s7
	s_cbranch_vccnz .LBB102_2
; %bb.1:
	v_mov_b32_e32 v1, 0
	flat_load_b64 v[2:3], v1, s[2:3]
.LBB102_2:
	s_wait_xcnt 0x0
	s_bfe_u32 s2, ttmp6, 0x4000c
	s_and_b32 s3, ttmp6, 15
	s_add_co_i32 s2, s2, 1
	s_getreg_b32 s7, hwreg(HW_REG_IB_STS2, 6, 4)
	s_mul_i32 s2, ttmp9, s2
	s_delay_alu instid0(SALU_CYCLE_1)
	s_add_co_i32 s3, s3, s2
	s_cmp_eq_u32 s7, 0
	s_cselect_b32 s2, ttmp9, s3
	s_and_b64 s[8:9], s[12:13], 0xffffffff00000000
	s_mov_b32 s3, 0
	s_cmp_lg_u64 s[8:9], 0
	s_cbranch_scc0 .LBB102_52
; %bb.3:
	s_ashr_i32 s8, s13, 31
	s_mov_b32 s21, s3
	s_mov_b32 s9, s8
	;; [unrolled: 1-line block ×3, first 2 shown]
	s_add_nc_u64 s[10:11], s[12:13], s[8:9]
	s_delay_alu instid0(SALU_CYCLE_1) | instskip(NEXT) | instid1(SALU_CYCLE_1)
	s_xor_b64 s[10:11], s[10:11], s[8:9]
	s_cvt_f32_u32 s7, s10
	s_cvt_f32_u32 s16, s11
	s_sub_nc_u64 s[18:19], 0, s[10:11]
	s_delay_alu instid0(SALU_CYCLE_2) | instskip(NEXT) | instid1(SALU_CYCLE_3)
	s_fmamk_f32 s7, s16, 0x4f800000, s7
	v_s_rcp_f32 s7, s7
	s_delay_alu instid0(TRANS32_DEP_1) | instskip(NEXT) | instid1(SALU_CYCLE_3)
	s_mul_f32 s7, s7, 0x5f7ffffc
	s_mul_f32 s16, s7, 0x2f800000
	s_delay_alu instid0(SALU_CYCLE_3) | instskip(NEXT) | instid1(SALU_CYCLE_3)
	s_trunc_f32 s16, s16
	s_fmamk_f32 s7, s16, 0xcf800000, s7
	s_cvt_u32_f32 s17, s16
	s_delay_alu instid0(SALU_CYCLE_2) | instskip(NEXT) | instid1(SALU_CYCLE_3)
	s_cvt_u32_f32 s16, s7
	s_mul_u64 s[22:23], s[18:19], s[16:17]
	s_delay_alu instid0(SALU_CYCLE_1)
	s_mul_hi_u32 s27, s16, s23
	s_mul_i32 s26, s16, s23
	s_mul_hi_u32 s20, s16, s22
	s_mul_i32 s24, s17, s22
	s_add_nc_u64 s[20:21], s[20:21], s[26:27]
	s_mul_hi_u32 s7, s17, s22
	s_mul_hi_u32 s28, s17, s23
	s_add_co_u32 s20, s20, s24
	s_add_co_ci_u32 s24, s21, s7
	s_mul_i32 s22, s17, s23
	s_add_co_ci_u32 s23, s28, 0
	s_delay_alu instid0(SALU_CYCLE_1) | instskip(SKIP_3) | instid1(SALU_CYCLE_1)
	s_add_nc_u64 s[20:21], s[24:25], s[22:23]
	s_mov_b32 s23, s3
	s_add_co_u32 s16, s16, s20
	s_cselect_b32 s7, -1, 0
	s_cmp_lg_u32 s7, 0
	s_add_co_ci_u32 s17, s17, s21
	s_mov_b32 s21, s3
	s_mul_u64 s[18:19], s[18:19], s[16:17]
	s_delay_alu instid0(SALU_CYCLE_1)
	s_mul_hi_u32 s25, s16, s19
	s_mul_i32 s24, s16, s19
	s_mul_hi_u32 s20, s16, s18
	s_mul_i32 s22, s17, s18
	s_add_nc_u64 s[20:21], s[20:21], s[24:25]
	s_mul_hi_u32 s7, s17, s18
	s_mul_hi_u32 s26, s17, s19
	s_mul_i32 s18, s17, s19
	s_add_co_u32 s19, s20, s22
	s_add_co_ci_u32 s22, s21, s7
	s_add_co_ci_u32 s19, s26, 0
	s_add_nc_u64 s[20:21], s[2:3], 0
	s_add_nc_u64 s[18:19], s[22:23], s[18:19]
	s_delay_alu instid0(SALU_CYCLE_1) | instskip(SKIP_1) | instid1(SALU_CYCLE_1)
	s_add_co_u32 s7, s16, s18
	s_cselect_b32 s16, -1, 0
	s_cmp_lg_u32 s16, 0
	s_add_co_ci_u32 s18, s17, s19
	s_xor_b64 s[16:17], s[20:21], 0
	s_mov_b32 s19, s3
	s_mul_hi_u32 s21, s16, s18
	s_mul_i32 s20, s16, s18
	s_mul_hi_u32 s22, s16, s7
	s_mul_hi_u32 s25, s17, s7
	s_mul_i32 s7, s17, s7
	s_add_nc_u64 s[20:21], s[22:23], s[20:21]
	s_mul_hi_u32 s24, s17, s18
	s_add_co_u32 s7, s20, s7
	s_mul_i32 s22, s17, s18
	s_add_co_ci_u32 s18, s21, s25
	s_add_co_ci_u32 s23, s24, 0
	s_delay_alu instid0(SALU_CYCLE_1) | instskip(NEXT) | instid1(SALU_CYCLE_1)
	s_add_nc_u64 s[18:19], s[18:19], s[22:23]
	s_and_b64 s[20:21], s[18:19], 0xffffffff00000000
	s_delay_alu instid0(SALU_CYCLE_1) | instskip(NEXT) | instid1(SALU_CYCLE_1)
	s_or_b32 s20, s20, s18
	s_mul_u64 s[18:19], s[10:11], s[20:21]
	s_delay_alu instid0(SALU_CYCLE_1)
	s_sub_co_u32 s7, s16, s18
	s_cselect_b32 s16, -1, 0
	s_sub_co_i32 s18, s17, s19
	s_cmp_lg_u32 s16, 0
	s_sub_co_ci_u32 s18, s18, s11
	s_sub_co_u32 s22, s7, s10
	s_cselect_b32 s23, -1, 0
	s_delay_alu instid0(SALU_CYCLE_1) | instskip(SKIP_1) | instid1(SALU_CYCLE_1)
	s_cmp_lg_u32 s23, 0
	s_sub_co_ci_u32 s18, s18, 0
	s_cmp_ge_u32 s18, s11
	s_cselect_b32 s24, -1, 0
	s_cmp_ge_u32 s22, s10
	s_add_nc_u64 s[22:23], s[20:21], 1
	s_cselect_b32 s25, -1, 0
	s_cmp_eq_u32 s18, s11
	s_cselect_b32 s18, s25, s24
	s_add_nc_u64 s[24:25], s[20:21], 2
	s_cmp_lg_u32 s18, 0
	s_cselect_b32 s18, s24, s22
	s_cselect_b32 s22, s25, s23
	s_cmp_lg_u32 s16, 0
	s_sub_co_ci_u32 s16, s17, s19
	s_delay_alu instid0(SALU_CYCLE_1)
	s_cmp_ge_u32 s16, s11
	s_cselect_b32 s17, -1, 0
	s_cmp_ge_u32 s7, s10
	s_cselect_b32 s7, -1, 0
	s_cmp_eq_u32 s16, s11
	s_cselect_b32 s7, s7, s17
	s_delay_alu instid0(SALU_CYCLE_1) | instskip(SKIP_4) | instid1(SALU_CYCLE_1)
	s_cmp_lg_u32 s7, 0
	s_mov_b32 s7, s3
	s_cselect_b32 s11, s22, s21
	s_cselect_b32 s10, s18, s20
	s_xor_b64 s[8:9], 0, s[8:9]
	s_xor_b64 s[10:11], s[10:11], s[8:9]
	s_delay_alu instid0(SALU_CYCLE_1)
	s_sub_nc_u64 s[22:23], s[10:11], s[8:9]
	s_clause 0x1
	s_load_b64 s[8:9], s[0:1], 0x50
	s_load_b64 s[16:17], s[0:1], 0x20
	s_and_not1_b32 vcc_lo, exec_lo, s7
	s_cbranch_vccnz .LBB102_5
.LBB102_4:
	v_cvt_f32_u32_e32 v1, s12
	s_sub_co_i32 s10, 0, s12
	s_mov_b32 s23, 0
	s_delay_alu instid0(VALU_DEP_1) | instskip(SKIP_1) | instid1(TRANS32_DEP_1)
	v_rcp_iflag_f32_e32 v1, v1
	v_nop
	v_mul_f32_e32 v1, 0x4f7ffffe, v1
	s_delay_alu instid0(VALU_DEP_1) | instskip(NEXT) | instid1(VALU_DEP_1)
	v_cvt_u32_f32_e32 v1, v1
	v_readfirstlane_b32 s7, v1
	s_mul_i32 s10, s10, s7
	s_delay_alu instid0(SALU_CYCLE_1) | instskip(NEXT) | instid1(SALU_CYCLE_1)
	s_mul_hi_u32 s10, s7, s10
	s_add_co_i32 s7, s7, s10
	s_delay_alu instid0(SALU_CYCLE_1) | instskip(NEXT) | instid1(SALU_CYCLE_1)
	s_mul_hi_u32 s7, s2, s7
	s_mul_i32 s10, s7, s12
	s_add_co_i32 s11, s7, 1
	s_sub_co_i32 s10, s2, s10
	s_delay_alu instid0(SALU_CYCLE_1)
	s_sub_co_i32 s18, s10, s12
	s_cmp_ge_u32 s10, s12
	s_cselect_b32 s7, s11, s7
	s_cselect_b32 s10, s18, s10
	s_add_co_i32 s11, s7, 1
	s_cmp_ge_u32 s10, s12
	s_cselect_b32 s22, s11, s7
.LBB102_5:
	s_delay_alu instid0(SALU_CYCLE_1)
	s_mul_u64 s[12:13], s[22:23], s[12:13]
	v_mov_b64_e32 v[6:7], 0
	s_sub_nc_u64 s[2:3], s[2:3], s[12:13]
	v_mov_b32_e32 v1, 0
	s_lshl_b64 s[2:3], s[2:3], 3
	s_wait_kmcnt 0x0
	s_add_nc_u64 s[2:3], s[8:9], s[2:3]
	s_load_b128 s[8:11], s[0:1], 0x38
	s_load_b64 s[20:21], s[2:3], 0x0
	s_wait_kmcnt 0x0
	s_lshl_b64 s[2:3], s[20:21], 3
	s_delay_alu instid0(SALU_CYCLE_1)
	s_add_nc_u64 s[2:3], s[16:17], s[2:3]
	s_load_b128 s[16:19], s[2:3], 0x0
	s_wait_xcnt 0x0
	s_lshl_b64 s[2:3], s[22:23], 10
	s_mul_u64 s[22:23], s[20:21], s[10:11]
	v_dual_mov_b32 v5, s3 :: v_dual_bitop2_b32 v4, s2, v0 bitop3:0x54
	s_delay_alu instid0(VALU_DEP_1)
	v_cmp_gt_i64_e64 s2, s[14:15], v[4:5]
	s_and_saveexec_b32 s3, s2
	s_cbranch_execz .LBB102_7
; %bb.6:
	v_add_nc_u64_e32 v[6:7], s[22:23], v[4:5]
	s_delay_alu instid0(VALU_DEP_1)
	v_lshl_add_u64 v[6:7], v[6:7], 3, s[8:9]
	global_load_b64 v[6:7], v[6:7], off
	s_wait_loadcnt_dscnt 0x0
	v_mul_f64_e32 v[6:7], v[2:3], v[6:7]
.LBB102_7:
	s_or_b32 exec_lo, exec_lo, s3
	s_load_b64 s[14:15], s[0:1], 0x48
	s_wait_kmcnt 0x0
	v_cmp_ge_i64_e64 s3, s[16:17], s[18:19]
	v_mov_b64_e32 v[16:17], 1.0
	s_wait_loadcnt_dscnt 0x0
	v_lshl_add_u64 v[2:3], v[4:5], 3, s[8:9]
	s_and_b32 vcc_lo, exec_lo, s3
	v_cmp_eq_u32_e64 s3, 0, v0
	s_cbranch_vccnz .LBB102_46
; %bb.8:
	s_clause 0x1
	s_load_b128 s[28:31], s[0:1], 0x28
	s_load_b64 s[8:9], s[0:1], 0x58
	v_dual_mov_b32 v5, 0 :: v_dual_lshlrev_b32 v4, 3, v0
	s_wait_xcnt 0x0
	s_lshl_b64 s[0:1], s[12:13], 2
	v_mov_b64_e32 v[12:13], 1.0
	s_mov_b32 s25, 0
	s_mov_b32 s24, s4
	s_cmp_lg_u32 s6, 0
	s_add_nc_u64 s[26:27], s[14:15], s[0:1]
	v_or_b32_e32 v20, 0x2000, v4
	v_cmp_ne_u32_e64 s0, 0, v0
	s_sub_nc_u64 s[16:17], s[16:17], s[24:25]
	s_cselect_b32 s4, -1, 0
	s_cmp_eq_u32 s6, 0
	s_sub_nc_u64 s[18:19], s[18:19], s[24:25]
	s_cselect_b32 s1, -1, 0
	s_wait_kmcnt 0x0
	v_add_nc_u64_e32 v[8:9], s[28:29], v[4:5]
	v_add_nc_u64_e32 v[10:11], s[30:31], v[4:5]
	s_add_nc_u64 s[28:29], s[20:21], s[24:25]
	s_mov_b64 s[30:31], s[16:17]
	s_delay_alu instid0(SALU_CYCLE_1) | instskip(NEXT) | instid1(SALU_CYCLE_1)
	s_sub_co_i32 s7, s30, s16
	s_and_b32 s7, s7, 0x3ff
	s_delay_alu instid0(SALU_CYCLE_1)
	s_cmp_lg_u32 s7, 0
	s_cbranch_scc1 .LBB102_12
.LBB102_9:
	v_mov_b64_e32 v[14:15], -1.0
	v_mov_b64_e32 v[16:17], -1
	s_sub_nc_u64 s[34:35], s[18:19], s[30:31]
	s_mov_b32 s17, exec_lo
	v_cmpx_gt_i64_e64 s[34:35], v[0:1]
	s_cbranch_execz .LBB102_11
; %bb.10:
	s_lshl_b64 s[34:35], s[30:31], 3
	s_delay_alu instid0(SALU_CYCLE_1)
	v_add_nc_u64_e32 v[14:15], s[34:35], v[8:9]
	global_load_b64 v[16:17], v[14:15], off
	s_wait_xcnt 0x0
	v_add_nc_u64_e32 v[14:15], s[34:35], v[10:11]
	global_load_b64 v[14:15], v[14:15], off
	s_wait_loadcnt 0x1
	v_sub_nc_u64_e64 v[16:17], v[16:17], s[24:25]
.LBB102_11:
	s_wait_xcnt 0x0
	s_or_b32 exec_lo, exec_lo, s17
	ds_store_b64 v4, v[16:17]
	s_wait_loadcnt 0x0
	ds_store_b64 v20, v[14:15]
.LBB102_12:                             ; =>This Loop Header: Depth=1
                                        ;     Child Loop BB102_44 Depth 2
                                        ;       Child Loop BB102_45 Depth 3
	s_lshl_b32 s7, s7, 3
	s_wait_dscnt 0x0
	v_mov_b32_e32 v14, s7
	s_barrier_signal -1
	s_barrier_wait -1
	ds_load_2addr_stride64_b64 v[14:17], v14 offset1:16
	s_wait_dscnt 0x0
	v_cmp_neq_f64_e32 vcc_lo, 0, v[16:17]
	v_readfirstlane_b32 s34, v14
	v_readfirstlane_b32 s35, v15
	s_cmp_lg_u64 s[34:35], s[20:21]
	s_cselect_b32 s7, -1, 0
	s_delay_alu instid0(SALU_CYCLE_1) | instskip(NEXT) | instid1(SALU_CYCLE_1)
	s_or_b32 s7, s4, s7
	s_or_b32 vcc_lo, vcc_lo, s7
	v_cndmask_b32_e32 v15, 0x3ff00000, v17, vcc_lo
	v_cndmask_b32_e32 v14, 0, v16, vcc_lo
	s_nor_b32 s17, s0, vcc_lo
	s_delay_alu instid0(SALU_CYCLE_1)
	s_and_saveexec_b32 s7, s17
	s_cbranch_execz .LBB102_16
; %bb.13:                               ;   in Loop: Header=BB102_12 Depth=1
	v_mbcnt_lo_u32_b32 v14, exec_lo, 0
	s_mov_b32 s17, exec_lo
	s_delay_alu instid0(VALU_DEP_1)
	v_cmpx_eq_u32_e32 0, v14
	s_cbranch_execz .LBB102_15
; %bb.14:                               ;   in Loop: Header=BB102_12 Depth=1
	v_mov_b64_e32 v[14:15], s[28:29]
	global_atomic_min_u64 v5, v[14:15], s[8:9] scope:SCOPE_DEV
.LBB102_15:                             ;   in Loop: Header=BB102_12 Depth=1
	s_wait_xcnt 0x0
	s_or_b32 exec_lo, exec_lo, s17
	v_mov_b64_e32 v[14:15], 1.0
.LBB102_16:                             ;   in Loop: Header=BB102_12 Depth=1
	s_or_b32 exec_lo, exec_lo, s7
	s_mov_b32 s33, -1
	s_mov_b32 s7, 0
	s_cmp_lt_i32 s5, 1
	s_mov_b32 s17, 0
                                        ; implicit-def: $vgpr16_vgpr17
	s_cbranch_scc0 .LBB102_23
; %bb.17:                               ;   in Loop: Header=BB102_12 Depth=1
	s_and_b32 vcc_lo, exec_lo, s33
	s_mov_b32 s33, 4
	s_cbranch_vccnz .LBB102_28
.LBB102_18:                             ;   in Loop: Header=BB102_12 Depth=1
	v_mov_b64_e32 v[18:19], v[6:7]
	s_and_b32 vcc_lo, exec_lo, s17
	s_cbranch_vccnz .LBB102_33
.LBB102_19:                             ;   in Loop: Header=BB102_12 Depth=1
	s_and_b32 vcc_lo, exec_lo, s7
	s_cbranch_vccnz .LBB102_38
.LBB102_20:                             ;   in Loop: Header=BB102_12 Depth=1
	s_mov_b32 s7, -1
	s_cmp_gt_i32 s33, 3
	s_mov_b32 s17, -1
	s_cbranch_scc0 .LBB102_39
.LBB102_21:                             ;   in Loop: Header=BB102_12 Depth=1
	s_and_not1_b32 vcc_lo, exec_lo, s17
	s_cbranch_vccz .LBB102_40
.LBB102_22:                             ;   in Loop: Header=BB102_12 Depth=1
	s_and_not1_b32 vcc_lo, exec_lo, s7
	s_cbranch_vccnz .LBB102_41
	s_branch .LBB102_47
.LBB102_23:                             ;   in Loop: Header=BB102_12 Depth=1
	s_cmp_eq_u32 s5, 1
	s_mov_b32 s17, -1
                                        ; implicit-def: $vgpr16_vgpr17
	s_cbranch_scc0 .LBB102_27
; %bb.24:                               ;   in Loop: Header=BB102_12 Depth=1
	v_cmp_ge_i64_e64 s17, s[34:35], s[20:21]
	v_mov_b64_e32 v[16:17], v[12:13]
	s_and_b32 vcc_lo, exec_lo, s17
	s_mov_b32 s17, 0
	s_cbranch_vccz .LBB102_27
; %bb.25:                               ;   in Loop: Header=BB102_12 Depth=1
	s_cmp_eq_u64 s[34:35], s[20:21]
	s_mov_b32 s17, -1
                                        ; implicit-def: $vgpr16_vgpr17
	s_cbranch_scc0 .LBB102_27
; %bb.26:                               ;   in Loop: Header=BB102_12 Depth=1
	v_div_scale_f64 v[16:17], null, v[14:15], v[14:15], 1.0
	v_div_scale_f64 v[24:25], vcc_lo, 1.0, v[14:15], 1.0
	s_mov_b32 s17, 0
	v_rcp_f64_e32 v[18:19], v[16:17]
	v_nop
	s_delay_alu instid0(TRANS32_DEP_1) | instskip(NEXT) | instid1(VALU_DEP_1)
	v_fma_f64 v[22:23], -v[16:17], v[18:19], 1.0
	v_fmac_f64_e32 v[18:19], v[18:19], v[22:23]
	s_delay_alu instid0(VALU_DEP_1) | instskip(NEXT) | instid1(VALU_DEP_1)
	v_fma_f64 v[22:23], -v[16:17], v[18:19], 1.0
	v_fmac_f64_e32 v[18:19], v[18:19], v[22:23]
	s_delay_alu instid0(VALU_DEP_1) | instskip(NEXT) | instid1(VALU_DEP_1)
	v_mul_f64_e32 v[22:23], v[24:25], v[18:19]
	v_fma_f64 v[16:17], -v[16:17], v[22:23], v[24:25]
	s_delay_alu instid0(VALU_DEP_1) | instskip(NEXT) | instid1(VALU_DEP_1)
	v_div_fmas_f64 v[16:17], v[16:17], v[18:19], v[22:23]
	v_div_fixup_f64 v[16:17], v[16:17], v[14:15], 1.0
	s_delay_alu instid0(VALU_DEP_1)
	v_dual_cndmask_b32 v17, v13, v17, s1 :: v_dual_cndmask_b32 v16, v12, v16, s1
.LBB102_27:                             ;   in Loop: Header=BB102_12 Depth=1
	s_mov_b32 s33, 4
	s_branch .LBB102_18
.LBB102_28:                             ;   in Loop: Header=BB102_12 Depth=1
	s_cmp_eq_u32 s5, 0
	s_cbranch_scc1 .LBB102_30
; %bb.29:                               ;   in Loop: Header=BB102_12 Depth=1
	s_mov_b32 s17, -1
	s_branch .LBB102_32
.LBB102_30:                             ;   in Loop: Header=BB102_12 Depth=1
	v_cmp_le_i64_e64 s17, s[34:35], s[20:21]
	s_and_b32 vcc_lo, exec_lo, s17
	s_mov_b32 s17, 0
	s_cbranch_vccz .LBB102_32
; %bb.31:                               ;   in Loop: Header=BB102_12 Depth=1
	s_cmp_lg_u64 s[34:35], s[20:21]
	s_mov_b32 s7, -1
	s_cselect_b32 s17, -1, 0
.LBB102_32:                             ;   in Loop: Header=BB102_12 Depth=1
	v_mov_b64_e32 v[16:17], v[12:13]
	s_mov_b32 s33, 2
	v_mov_b64_e32 v[18:19], v[6:7]
	s_and_b32 vcc_lo, exec_lo, s17
	s_cbranch_vccz .LBB102_19
.LBB102_33:                             ;   in Loop: Header=BB102_12 Depth=1
	s_and_saveexec_b32 s7, s3
	s_cbranch_execz .LBB102_35
; %bb.34:                               ;   in Loop: Header=BB102_12 Depth=1
	s_lshl_b64 s[36:37], s[34:35], 2
	s_delay_alu instid0(SALU_CYCLE_1)
	s_add_nc_u64 s[36:37], s[26:27], s[36:37]
	global_load_b32 v16, v5, s[36:37] scope:SCOPE_DEV
	s_wait_loadcnt 0x0
	v_cmp_ne_u32_e32 vcc_lo, 0, v16
	s_cbranch_vccz .LBB102_42
.LBB102_35:                             ;   in Loop: Header=BB102_12 Depth=1
	s_wait_xcnt 0x0
	s_or_b32 exec_lo, exec_lo, s7
	v_mov_b64_e32 v[18:19], 0
	s_wait_storecnt 0x0
	s_barrier_signal -1
	s_barrier_wait -1
	global_inv scope:SCOPE_DEV
	s_and_saveexec_b32 s7, s2
	s_cbranch_execz .LBB102_37
; %bb.36:                               ;   in Loop: Header=BB102_12 Depth=1
	s_mul_u64 s[34:35], s[34:35], s[10:11]
	s_delay_alu instid0(SALU_CYCLE_1)
	v_lshl_add_u64 v[16:17], s[34:35], 3, v[2:3]
	global_load_b64 v[16:17], v[16:17], off
	s_wait_loadcnt 0x0
	v_fma_f64 v[18:19], -v[14:15], v[16:17], v[6:7]
.LBB102_37:                             ;   in Loop: Header=BB102_12 Depth=1
	s_or_b32 exec_lo, exec_lo, s7
	v_mov_b64_e32 v[16:17], v[12:13]
	s_mov_b32 s33, 0
	s_branch .LBB102_20
.LBB102_38:                             ;   in Loop: Header=BB102_12 Depth=1
	v_div_scale_f64 v[16:17], null, v[14:15], v[14:15], 1.0
	v_div_scale_f64 v[24:25], vcc_lo, 1.0, v[14:15], 1.0
	s_mov_b32 s33, 2
	v_rcp_f64_e32 v[18:19], v[16:17]
	v_nop
	s_delay_alu instid0(TRANS32_DEP_1) | instskip(NEXT) | instid1(VALU_DEP_1)
	v_fma_f64 v[22:23], -v[16:17], v[18:19], 1.0
	v_fmac_f64_e32 v[18:19], v[18:19], v[22:23]
	s_delay_alu instid0(VALU_DEP_1) | instskip(NEXT) | instid1(VALU_DEP_1)
	v_fma_f64 v[22:23], -v[16:17], v[18:19], 1.0
	v_fmac_f64_e32 v[18:19], v[18:19], v[22:23]
	s_delay_alu instid0(VALU_DEP_1) | instskip(NEXT) | instid1(VALU_DEP_1)
	v_mul_f64_e32 v[22:23], v[24:25], v[18:19]
	v_fma_f64 v[16:17], -v[16:17], v[22:23], v[24:25]
	s_delay_alu instid0(VALU_DEP_1) | instskip(SKIP_1) | instid1(VALU_DEP_2)
	v_div_fmas_f64 v[16:17], v[16:17], v[18:19], v[22:23]
	v_mov_b64_e32 v[18:19], v[6:7]
	v_div_fixup_f64 v[14:15], v[16:17], v[14:15], 1.0
	s_delay_alu instid0(VALU_DEP_1)
	v_dual_cndmask_b32 v17, v13, v15, s1 :: v_dual_cndmask_b32 v16, v12, v14, s1
	s_mov_b32 s7, -1
	s_cmp_gt_i32 s33, 3
	s_mov_b32 s17, -1
	s_cbranch_scc1 .LBB102_21
.LBB102_39:                             ;   in Loop: Header=BB102_12 Depth=1
	s_cmp_eq_u32 s33, 0
	s_cselect_b32 s17, -1, 0
	s_delay_alu instid0(SALU_CYCLE_1)
	s_and_not1_b32 vcc_lo, exec_lo, s17
	s_cbranch_vccnz .LBB102_22
.LBB102_40:                             ;   in Loop: Header=BB102_12 Depth=1
	s_add_nc_u64 s[30:31], s[30:31], 1
	s_delay_alu instid0(SALU_CYCLE_1)
	v_cmp_ge_i64_e64 s7, s[30:31], s[18:19]
	s_and_not1_b32 vcc_lo, exec_lo, s7
	s_cbranch_vccz .LBB102_47
.LBB102_41:                             ;   in Loop: Header=BB102_12 Depth=1
	s_delay_alu instid0(VALU_DEP_1) | instskip(SKIP_2) | instid1(SALU_CYCLE_1)
	v_mov_b64_e32 v[6:7], v[18:19]
	v_mov_b64_e32 v[12:13], v[16:17]
	s_sub_co_i32 s7, s30, s16
	s_and_b32 s7, s7, 0x3ff
	s_delay_alu instid0(SALU_CYCLE_1)
	s_cmp_lg_u32 s7, 0
	s_cbranch_scc1 .LBB102_12
	s_branch .LBB102_9
.LBB102_42:                             ;   in Loop: Header=BB102_12 Depth=1
	s_mov_b32 s17, 0
	s_branch .LBB102_44
.LBB102_43:                             ;   in Loop: Header=BB102_44 Depth=2
	global_load_b32 v16, v5, s[36:37] scope:SCOPE_DEV
	s_cmp_lt_u32 s17, 0xf43
	s_cselect_b32 s33, -1, 0
	s_delay_alu instid0(SALU_CYCLE_1)
	s_cmp_lg_u32 s33, 0
	s_add_co_ci_u32 s17, s17, 0
	s_wait_loadcnt 0x0
	v_cmp_ne_u32_e32 vcc_lo, 0, v16
	s_cbranch_vccnz .LBB102_35
.LBB102_44:                             ;   Parent Loop BB102_12 Depth=1
                                        ; =>  This Loop Header: Depth=2
                                        ;       Child Loop BB102_45 Depth 3
	s_cmp_eq_u32 s17, 0
	s_mov_b32 s33, s17
	s_cbranch_scc1 .LBB102_43
.LBB102_45:                             ;   Parent Loop BB102_12 Depth=1
                                        ;     Parent Loop BB102_44 Depth=2
                                        ; =>    This Inner Loop Header: Depth=3
	s_add_co_i32 s33, s33, -1
	s_sleep 1
	s_cmp_eq_u32 s33, 0
	s_cbranch_scc0 .LBB102_45
	s_branch .LBB102_43
.LBB102_46:
	v_mov_b64_e32 v[18:19], v[6:7]
.LBB102_47:
	s_and_saveexec_b32 s0, s2
	s_cbranch_execz .LBB102_49
; %bb.48:
	s_delay_alu instid0(VALU_DEP_1) | instskip(SKIP_3) | instid1(VALU_DEP_2)
	v_mul_f64_e32 v[4:5], v[16:17], v[18:19]
	s_cmp_eq_u32 s6, 0
	v_lshl_add_u64 v[2:3], s[22:23], 3, v[2:3]
	s_cselect_b32 vcc_lo, -1, 0
	v_dual_cndmask_b32 v5, v19, v5 :: v_dual_cndmask_b32 v4, v18, v4
	global_store_b64 v[2:3], v[4:5], off
.LBB102_49:
	s_wait_xcnt 0x0
	s_or_b32 exec_lo, exec_lo, s0
	global_wb scope:SCOPE_DEV
	s_wait_loadcnt 0x0
	s_wait_storecnt 0x0
	global_inv scope:SCOPE_DEV
	s_wait_loadcnt 0x0
	s_barrier_signal -1
	s_barrier_wait -1
	s_mov_b32 s0, exec_lo
	v_cmpx_eq_u32_e32 0, v0
	s_cbranch_execz .LBB102_51
; %bb.50:
	s_lshl_b64 s[0:1], s[20:21], 2
	v_dual_mov_b32 v0, 0 :: v_dual_mov_b32 v1, 1
	s_add_nc_u64 s[0:1], s[14:15], s[0:1]
	s_lshl_b64 s[2:3], s[12:13], 2
	s_delay_alu instid0(SALU_CYCLE_1)
	s_add_nc_u64 s[0:1], s[0:1], s[2:3]
	global_store_b32 v0, v1, s[0:1] scope:SCOPE_DEV
.LBB102_51:
	s_endpgm
.LBB102_52:
                                        ; implicit-def: $sgpr22_sgpr23
	s_clause 0x1
	s_load_b64 s[8:9], s[0:1], 0x50
	s_load_b64 s[16:17], s[0:1], 0x20
	s_branch .LBB102_4
	.section	.rodata,"a",@progbits
	.p2align	6, 0x0
	.amdhsa_kernel _ZN9rocsparseL5csrsmILj1024ELj64ELb1ElldEEv20rocsparse_operation_T3_S2_NS_24const_host_device_scalarIT4_EEPKT2_PKS2_PKS4_PS4_lPiSA_PS2_21rocsparse_index_base_20rocsparse_fill_mode_20rocsparse_diag_type_b
		.amdhsa_group_segment_fixed_size 16384
		.amdhsa_private_segment_fixed_size 0
		.amdhsa_kernarg_size 112
		.amdhsa_user_sgpr_count 2
		.amdhsa_user_sgpr_dispatch_ptr 0
		.amdhsa_user_sgpr_queue_ptr 0
		.amdhsa_user_sgpr_kernarg_segment_ptr 1
		.amdhsa_user_sgpr_dispatch_id 0
		.amdhsa_user_sgpr_kernarg_preload_length 0
		.amdhsa_user_sgpr_kernarg_preload_offset 0
		.amdhsa_user_sgpr_private_segment_size 0
		.amdhsa_wavefront_size32 1
		.amdhsa_uses_dynamic_stack 0
		.amdhsa_enable_private_segment 0
		.amdhsa_system_sgpr_workgroup_id_x 1
		.amdhsa_system_sgpr_workgroup_id_y 0
		.amdhsa_system_sgpr_workgroup_id_z 0
		.amdhsa_system_sgpr_workgroup_info 0
		.amdhsa_system_vgpr_workitem_id 0
		.amdhsa_next_free_vgpr 26
		.amdhsa_next_free_sgpr 38
		.amdhsa_named_barrier_count 0
		.amdhsa_reserve_vcc 1
		.amdhsa_float_round_mode_32 0
		.amdhsa_float_round_mode_16_64 0
		.amdhsa_float_denorm_mode_32 3
		.amdhsa_float_denorm_mode_16_64 3
		.amdhsa_fp16_overflow 0
		.amdhsa_memory_ordered 1
		.amdhsa_forward_progress 1
		.amdhsa_inst_pref_size 19
		.amdhsa_round_robin_scheduling 0
		.amdhsa_exception_fp_ieee_invalid_op 0
		.amdhsa_exception_fp_denorm_src 0
		.amdhsa_exception_fp_ieee_div_zero 0
		.amdhsa_exception_fp_ieee_overflow 0
		.amdhsa_exception_fp_ieee_underflow 0
		.amdhsa_exception_fp_ieee_inexact 0
		.amdhsa_exception_int_div_zero 0
	.end_amdhsa_kernel
	.section	.text._ZN9rocsparseL5csrsmILj1024ELj64ELb1ElldEEv20rocsparse_operation_T3_S2_NS_24const_host_device_scalarIT4_EEPKT2_PKS2_PKS4_PS4_lPiSA_PS2_21rocsparse_index_base_20rocsparse_fill_mode_20rocsparse_diag_type_b,"axG",@progbits,_ZN9rocsparseL5csrsmILj1024ELj64ELb1ElldEEv20rocsparse_operation_T3_S2_NS_24const_host_device_scalarIT4_EEPKT2_PKS2_PKS4_PS4_lPiSA_PS2_21rocsparse_index_base_20rocsparse_fill_mode_20rocsparse_diag_type_b,comdat
.Lfunc_end102:
	.size	_ZN9rocsparseL5csrsmILj1024ELj64ELb1ElldEEv20rocsparse_operation_T3_S2_NS_24const_host_device_scalarIT4_EEPKT2_PKS2_PKS4_PS4_lPiSA_PS2_21rocsparse_index_base_20rocsparse_fill_mode_20rocsparse_diag_type_b, .Lfunc_end102-_ZN9rocsparseL5csrsmILj1024ELj64ELb1ElldEEv20rocsparse_operation_T3_S2_NS_24const_host_device_scalarIT4_EEPKT2_PKS2_PKS4_PS4_lPiSA_PS2_21rocsparse_index_base_20rocsparse_fill_mode_20rocsparse_diag_type_b
                                        ; -- End function
	.set _ZN9rocsparseL5csrsmILj1024ELj64ELb1ElldEEv20rocsparse_operation_T3_S2_NS_24const_host_device_scalarIT4_EEPKT2_PKS2_PKS4_PS4_lPiSA_PS2_21rocsparse_index_base_20rocsparse_fill_mode_20rocsparse_diag_type_b.num_vgpr, 26
	.set _ZN9rocsparseL5csrsmILj1024ELj64ELb1ElldEEv20rocsparse_operation_T3_S2_NS_24const_host_device_scalarIT4_EEPKT2_PKS2_PKS4_PS4_lPiSA_PS2_21rocsparse_index_base_20rocsparse_fill_mode_20rocsparse_diag_type_b.num_agpr, 0
	.set _ZN9rocsparseL5csrsmILj1024ELj64ELb1ElldEEv20rocsparse_operation_T3_S2_NS_24const_host_device_scalarIT4_EEPKT2_PKS2_PKS4_PS4_lPiSA_PS2_21rocsparse_index_base_20rocsparse_fill_mode_20rocsparse_diag_type_b.numbered_sgpr, 38
	.set _ZN9rocsparseL5csrsmILj1024ELj64ELb1ElldEEv20rocsparse_operation_T3_S2_NS_24const_host_device_scalarIT4_EEPKT2_PKS2_PKS4_PS4_lPiSA_PS2_21rocsparse_index_base_20rocsparse_fill_mode_20rocsparse_diag_type_b.num_named_barrier, 0
	.set _ZN9rocsparseL5csrsmILj1024ELj64ELb1ElldEEv20rocsparse_operation_T3_S2_NS_24const_host_device_scalarIT4_EEPKT2_PKS2_PKS4_PS4_lPiSA_PS2_21rocsparse_index_base_20rocsparse_fill_mode_20rocsparse_diag_type_b.private_seg_size, 0
	.set _ZN9rocsparseL5csrsmILj1024ELj64ELb1ElldEEv20rocsparse_operation_T3_S2_NS_24const_host_device_scalarIT4_EEPKT2_PKS2_PKS4_PS4_lPiSA_PS2_21rocsparse_index_base_20rocsparse_fill_mode_20rocsparse_diag_type_b.uses_vcc, 1
	.set _ZN9rocsparseL5csrsmILj1024ELj64ELb1ElldEEv20rocsparse_operation_T3_S2_NS_24const_host_device_scalarIT4_EEPKT2_PKS2_PKS4_PS4_lPiSA_PS2_21rocsparse_index_base_20rocsparse_fill_mode_20rocsparse_diag_type_b.uses_flat_scratch, 0
	.set _ZN9rocsparseL5csrsmILj1024ELj64ELb1ElldEEv20rocsparse_operation_T3_S2_NS_24const_host_device_scalarIT4_EEPKT2_PKS2_PKS4_PS4_lPiSA_PS2_21rocsparse_index_base_20rocsparse_fill_mode_20rocsparse_diag_type_b.has_dyn_sized_stack, 0
	.set _ZN9rocsparseL5csrsmILj1024ELj64ELb1ElldEEv20rocsparse_operation_T3_S2_NS_24const_host_device_scalarIT4_EEPKT2_PKS2_PKS4_PS4_lPiSA_PS2_21rocsparse_index_base_20rocsparse_fill_mode_20rocsparse_diag_type_b.has_recursion, 0
	.set _ZN9rocsparseL5csrsmILj1024ELj64ELb1ElldEEv20rocsparse_operation_T3_S2_NS_24const_host_device_scalarIT4_EEPKT2_PKS2_PKS4_PS4_lPiSA_PS2_21rocsparse_index_base_20rocsparse_fill_mode_20rocsparse_diag_type_b.has_indirect_call, 0
	.section	.AMDGPU.csdata,"",@progbits
; Kernel info:
; codeLenInByte = 2364
; TotalNumSgprs: 40
; NumVgprs: 26
; ScratchSize: 0
; MemoryBound: 0
; FloatMode: 240
; IeeeMode: 1
; LDSByteSize: 16384 bytes/workgroup (compile time only)
; SGPRBlocks: 0
; VGPRBlocks: 1
; NumSGPRsForWavesPerEU: 40
; NumVGPRsForWavesPerEU: 26
; NamedBarCnt: 0
; Occupancy: 16
; WaveLimiterHint : 1
; COMPUTE_PGM_RSRC2:SCRATCH_EN: 0
; COMPUTE_PGM_RSRC2:USER_SGPR: 2
; COMPUTE_PGM_RSRC2:TRAP_HANDLER: 0
; COMPUTE_PGM_RSRC2:TGID_X_EN: 1
; COMPUTE_PGM_RSRC2:TGID_Y_EN: 0
; COMPUTE_PGM_RSRC2:TGID_Z_EN: 0
; COMPUTE_PGM_RSRC2:TIDIG_COMP_CNT: 0
	.section	.text._ZN9rocsparseL5csrsmILj1024ELj64ELb0ElldEEv20rocsparse_operation_T3_S2_NS_24const_host_device_scalarIT4_EEPKT2_PKS2_PKS4_PS4_lPiSA_PS2_21rocsparse_index_base_20rocsparse_fill_mode_20rocsparse_diag_type_b,"axG",@progbits,_ZN9rocsparseL5csrsmILj1024ELj64ELb0ElldEEv20rocsparse_operation_T3_S2_NS_24const_host_device_scalarIT4_EEPKT2_PKS2_PKS4_PS4_lPiSA_PS2_21rocsparse_index_base_20rocsparse_fill_mode_20rocsparse_diag_type_b,comdat
	.globl	_ZN9rocsparseL5csrsmILj1024ELj64ELb0ElldEEv20rocsparse_operation_T3_S2_NS_24const_host_device_scalarIT4_EEPKT2_PKS2_PKS4_PS4_lPiSA_PS2_21rocsparse_index_base_20rocsparse_fill_mode_20rocsparse_diag_type_b ; -- Begin function _ZN9rocsparseL5csrsmILj1024ELj64ELb0ElldEEv20rocsparse_operation_T3_S2_NS_24const_host_device_scalarIT4_EEPKT2_PKS2_PKS4_PS4_lPiSA_PS2_21rocsparse_index_base_20rocsparse_fill_mode_20rocsparse_diag_type_b
	.p2align	8
	.type	_ZN9rocsparseL5csrsmILj1024ELj64ELb0ElldEEv20rocsparse_operation_T3_S2_NS_24const_host_device_scalarIT4_EEPKT2_PKS2_PKS4_PS4_lPiSA_PS2_21rocsparse_index_base_20rocsparse_fill_mode_20rocsparse_diag_type_b,@function
_ZN9rocsparseL5csrsmILj1024ELj64ELb0ElldEEv20rocsparse_operation_T3_S2_NS_24const_host_device_scalarIT4_EEPKT2_PKS2_PKS4_PS4_lPiSA_PS2_21rocsparse_index_base_20rocsparse_fill_mode_20rocsparse_diag_type_b: ; @_ZN9rocsparseL5csrsmILj1024ELj64ELb0ElldEEv20rocsparse_operation_T3_S2_NS_24const_host_device_scalarIT4_EEPKT2_PKS2_PKS4_PS4_lPiSA_PS2_21rocsparse_index_base_20rocsparse_fill_mode_20rocsparse_diag_type_b
; %bb.0:
	s_clause 0x2
	s_load_b128 s[4:7], s[0:1], 0x60
	s_load_b64 s[2:3], s[0:1], 0x18
	s_load_b128 s[12:15], s[0:1], 0x8
	s_wait_kmcnt 0x0
	s_bitcmp1_b32 s7, 0
	v_mov_b64_e32 v[2:3], s[2:3]
	s_cselect_b32 s7, -1, 0
	s_delay_alu instid0(SALU_CYCLE_1)
	s_and_b32 vcc_lo, exec_lo, s7
	s_cbranch_vccnz .LBB103_2
; %bb.1:
	v_mov_b32_e32 v1, 0
	flat_load_b64 v[2:3], v1, s[2:3]
.LBB103_2:
	s_wait_xcnt 0x0
	s_bfe_u32 s2, ttmp6, 0x4000c
	s_and_b32 s3, ttmp6, 15
	s_add_co_i32 s2, s2, 1
	s_getreg_b32 s7, hwreg(HW_REG_IB_STS2, 6, 4)
	s_mul_i32 s2, ttmp9, s2
	s_delay_alu instid0(SALU_CYCLE_1)
	s_add_co_i32 s3, s3, s2
	s_cmp_eq_u32 s7, 0
	s_cselect_b32 s2, ttmp9, s3
	s_and_b64 s[8:9], s[12:13], 0xffffffff00000000
	s_mov_b32 s3, 0
	s_cmp_lg_u64 s[8:9], 0
	s_cbranch_scc0 .LBB103_49
; %bb.3:
	s_ashr_i32 s8, s13, 31
	s_mov_b32 s21, s3
	s_mov_b32 s9, s8
	;; [unrolled: 1-line block ×3, first 2 shown]
	s_add_nc_u64 s[10:11], s[12:13], s[8:9]
	s_delay_alu instid0(SALU_CYCLE_1) | instskip(NEXT) | instid1(SALU_CYCLE_1)
	s_xor_b64 s[10:11], s[10:11], s[8:9]
	s_cvt_f32_u32 s7, s10
	s_cvt_f32_u32 s16, s11
	s_sub_nc_u64 s[18:19], 0, s[10:11]
	s_delay_alu instid0(SALU_CYCLE_2) | instskip(NEXT) | instid1(SALU_CYCLE_3)
	s_fmamk_f32 s7, s16, 0x4f800000, s7
	v_s_rcp_f32 s7, s7
	s_delay_alu instid0(TRANS32_DEP_1) | instskip(NEXT) | instid1(SALU_CYCLE_3)
	s_mul_f32 s7, s7, 0x5f7ffffc
	s_mul_f32 s16, s7, 0x2f800000
	s_delay_alu instid0(SALU_CYCLE_3) | instskip(NEXT) | instid1(SALU_CYCLE_3)
	s_trunc_f32 s16, s16
	s_fmamk_f32 s7, s16, 0xcf800000, s7
	s_cvt_u32_f32 s17, s16
	s_delay_alu instid0(SALU_CYCLE_2) | instskip(NEXT) | instid1(SALU_CYCLE_3)
	s_cvt_u32_f32 s16, s7
	s_mul_u64 s[22:23], s[18:19], s[16:17]
	s_delay_alu instid0(SALU_CYCLE_1)
	s_mul_hi_u32 s27, s16, s23
	s_mul_i32 s26, s16, s23
	s_mul_hi_u32 s20, s16, s22
	s_mul_i32 s24, s17, s22
	s_add_nc_u64 s[20:21], s[20:21], s[26:27]
	s_mul_hi_u32 s7, s17, s22
	s_mul_hi_u32 s28, s17, s23
	s_add_co_u32 s20, s20, s24
	s_add_co_ci_u32 s24, s21, s7
	s_mul_i32 s22, s17, s23
	s_add_co_ci_u32 s23, s28, 0
	s_delay_alu instid0(SALU_CYCLE_1) | instskip(SKIP_3) | instid1(SALU_CYCLE_1)
	s_add_nc_u64 s[20:21], s[24:25], s[22:23]
	s_mov_b32 s23, s3
	s_add_co_u32 s16, s16, s20
	s_cselect_b32 s7, -1, 0
	s_cmp_lg_u32 s7, 0
	s_add_co_ci_u32 s17, s17, s21
	s_mov_b32 s21, s3
	s_mul_u64 s[18:19], s[18:19], s[16:17]
	s_delay_alu instid0(SALU_CYCLE_1)
	s_mul_hi_u32 s25, s16, s19
	s_mul_i32 s24, s16, s19
	s_mul_hi_u32 s20, s16, s18
	s_mul_i32 s22, s17, s18
	s_add_nc_u64 s[20:21], s[20:21], s[24:25]
	s_mul_hi_u32 s7, s17, s18
	s_mul_hi_u32 s26, s17, s19
	s_mul_i32 s18, s17, s19
	s_add_co_u32 s19, s20, s22
	s_add_co_ci_u32 s22, s21, s7
	s_add_co_ci_u32 s19, s26, 0
	s_add_nc_u64 s[20:21], s[2:3], 0
	s_add_nc_u64 s[18:19], s[22:23], s[18:19]
	s_delay_alu instid0(SALU_CYCLE_1) | instskip(SKIP_1) | instid1(SALU_CYCLE_1)
	s_add_co_u32 s7, s16, s18
	s_cselect_b32 s16, -1, 0
	s_cmp_lg_u32 s16, 0
	s_add_co_ci_u32 s18, s17, s19
	s_xor_b64 s[16:17], s[20:21], 0
	s_mov_b32 s19, s3
	s_mul_hi_u32 s21, s16, s18
	s_mul_i32 s20, s16, s18
	s_mul_hi_u32 s22, s16, s7
	s_mul_hi_u32 s25, s17, s7
	s_mul_i32 s7, s17, s7
	s_add_nc_u64 s[20:21], s[22:23], s[20:21]
	s_mul_hi_u32 s24, s17, s18
	s_add_co_u32 s7, s20, s7
	s_mul_i32 s22, s17, s18
	s_add_co_ci_u32 s18, s21, s25
	s_add_co_ci_u32 s23, s24, 0
	s_delay_alu instid0(SALU_CYCLE_1) | instskip(NEXT) | instid1(SALU_CYCLE_1)
	s_add_nc_u64 s[18:19], s[18:19], s[22:23]
	s_and_b64 s[20:21], s[18:19], 0xffffffff00000000
	s_delay_alu instid0(SALU_CYCLE_1) | instskip(NEXT) | instid1(SALU_CYCLE_1)
	s_or_b32 s20, s20, s18
	s_mul_u64 s[18:19], s[10:11], s[20:21]
	s_delay_alu instid0(SALU_CYCLE_1)
	s_sub_co_u32 s7, s16, s18
	s_cselect_b32 s16, -1, 0
	s_sub_co_i32 s18, s17, s19
	s_cmp_lg_u32 s16, 0
	s_sub_co_ci_u32 s18, s18, s11
	s_sub_co_u32 s22, s7, s10
	s_cselect_b32 s23, -1, 0
	s_delay_alu instid0(SALU_CYCLE_1) | instskip(SKIP_1) | instid1(SALU_CYCLE_1)
	s_cmp_lg_u32 s23, 0
	s_sub_co_ci_u32 s18, s18, 0
	s_cmp_ge_u32 s18, s11
	s_cselect_b32 s24, -1, 0
	s_cmp_ge_u32 s22, s10
	s_add_nc_u64 s[22:23], s[20:21], 1
	s_cselect_b32 s25, -1, 0
	s_cmp_eq_u32 s18, s11
	s_cselect_b32 s18, s25, s24
	s_add_nc_u64 s[24:25], s[20:21], 2
	s_cmp_lg_u32 s18, 0
	s_cselect_b32 s18, s24, s22
	s_cselect_b32 s22, s25, s23
	s_cmp_lg_u32 s16, 0
	s_sub_co_ci_u32 s16, s17, s19
	s_delay_alu instid0(SALU_CYCLE_1)
	s_cmp_ge_u32 s16, s11
	s_cselect_b32 s17, -1, 0
	s_cmp_ge_u32 s7, s10
	s_cselect_b32 s7, -1, 0
	s_cmp_eq_u32 s16, s11
	s_cselect_b32 s7, s7, s17
	s_delay_alu instid0(SALU_CYCLE_1) | instskip(SKIP_4) | instid1(SALU_CYCLE_1)
	s_cmp_lg_u32 s7, 0
	s_mov_b32 s7, s3
	s_cselect_b32 s11, s22, s21
	s_cselect_b32 s10, s18, s20
	s_xor_b64 s[8:9], 0, s[8:9]
	s_xor_b64 s[10:11], s[10:11], s[8:9]
	s_delay_alu instid0(SALU_CYCLE_1)
	s_sub_nc_u64 s[22:23], s[10:11], s[8:9]
	s_clause 0x1
	s_load_b64 s[8:9], s[0:1], 0x50
	s_load_b64 s[16:17], s[0:1], 0x20
	s_and_not1_b32 vcc_lo, exec_lo, s7
	s_cbranch_vccnz .LBB103_5
.LBB103_4:
	v_cvt_f32_u32_e32 v1, s12
	s_sub_co_i32 s10, 0, s12
	s_mov_b32 s23, 0
	s_delay_alu instid0(VALU_DEP_1) | instskip(SKIP_1) | instid1(TRANS32_DEP_1)
	v_rcp_iflag_f32_e32 v1, v1
	v_nop
	v_mul_f32_e32 v1, 0x4f7ffffe, v1
	s_delay_alu instid0(VALU_DEP_1) | instskip(NEXT) | instid1(VALU_DEP_1)
	v_cvt_u32_f32_e32 v1, v1
	v_readfirstlane_b32 s7, v1
	s_mul_i32 s10, s10, s7
	s_delay_alu instid0(SALU_CYCLE_1) | instskip(NEXT) | instid1(SALU_CYCLE_1)
	s_mul_hi_u32 s10, s7, s10
	s_add_co_i32 s7, s7, s10
	s_delay_alu instid0(SALU_CYCLE_1) | instskip(NEXT) | instid1(SALU_CYCLE_1)
	s_mul_hi_u32 s7, s2, s7
	s_mul_i32 s10, s7, s12
	s_add_co_i32 s11, s7, 1
	s_sub_co_i32 s10, s2, s10
	s_delay_alu instid0(SALU_CYCLE_1)
	s_sub_co_i32 s18, s10, s12
	s_cmp_ge_u32 s10, s12
	s_cselect_b32 s7, s11, s7
	s_cselect_b32 s10, s18, s10
	s_add_co_i32 s11, s7, 1
	s_cmp_ge_u32 s10, s12
	s_cselect_b32 s22, s11, s7
.LBB103_5:
	s_delay_alu instid0(SALU_CYCLE_1)
	s_mul_u64 s[12:13], s[22:23], s[12:13]
	v_mov_b64_e32 v[6:7], 0
	s_sub_nc_u64 s[2:3], s[2:3], s[12:13]
	v_mov_b32_e32 v1, 0
	s_lshl_b64 s[2:3], s[2:3], 3
	s_wait_kmcnt 0x0
	s_add_nc_u64 s[2:3], s[8:9], s[2:3]
	s_load_b128 s[8:11], s[0:1], 0x38
	s_load_b64 s[20:21], s[2:3], 0x0
	s_wait_kmcnt 0x0
	s_lshl_b64 s[2:3], s[20:21], 3
	s_delay_alu instid0(SALU_CYCLE_1)
	s_add_nc_u64 s[2:3], s[16:17], s[2:3]
	s_load_b128 s[16:19], s[2:3], 0x0
	s_wait_xcnt 0x0
	s_lshl_b64 s[2:3], s[22:23], 10
	s_mul_u64 s[22:23], s[20:21], s[10:11]
	v_dual_mov_b32 v5, s3 :: v_dual_bitop2_b32 v4, s2, v0 bitop3:0x54
	s_delay_alu instid0(VALU_DEP_1)
	v_cmp_gt_i64_e64 s2, s[14:15], v[4:5]
	s_and_saveexec_b32 s3, s2
	s_cbranch_execz .LBB103_7
; %bb.6:
	v_add_nc_u64_e32 v[6:7], s[22:23], v[4:5]
	s_delay_alu instid0(VALU_DEP_1)
	v_lshl_add_u64 v[6:7], v[6:7], 3, s[8:9]
	global_load_b64 v[6:7], v[6:7], off
	s_wait_loadcnt_dscnt 0x0
	v_mul_f64_e32 v[6:7], v[2:3], v[6:7]
.LBB103_7:
	s_or_b32 exec_lo, exec_lo, s3
	s_load_b64 s[14:15], s[0:1], 0x48
	s_wait_kmcnt 0x0
	v_cmp_ge_i64_e64 s3, s[16:17], s[18:19]
	v_mov_b64_e32 v[16:17], 1.0
	s_wait_loadcnt_dscnt 0x0
	v_lshl_add_u64 v[2:3], v[4:5], 3, s[8:9]
	s_and_b32 vcc_lo, exec_lo, s3
	v_cmp_eq_u32_e64 s3, 0, v0
	s_cbranch_vccnz .LBB103_43
; %bb.8:
	s_clause 0x1
	s_load_b128 s[28:31], s[0:1], 0x28
	s_load_b64 s[8:9], s[0:1], 0x58
	v_dual_mov_b32 v5, 0 :: v_dual_lshlrev_b32 v4, 3, v0
	s_wait_xcnt 0x0
	s_lshl_b64 s[0:1], s[12:13], 2
	v_mov_b64_e32 v[12:13], 1.0
	s_mov_b32 s25, 0
	s_mov_b32 s24, s4
	s_cmp_lg_u32 s6, 0
	s_add_nc_u64 s[26:27], s[14:15], s[0:1]
	v_or_b32_e32 v20, 0x2000, v4
	v_cmp_ne_u32_e64 s0, 0, v0
	s_sub_nc_u64 s[16:17], s[16:17], s[24:25]
	s_cselect_b32 s4, -1, 0
	s_cmp_eq_u32 s6, 0
	s_sub_nc_u64 s[18:19], s[18:19], s[24:25]
	s_cselect_b32 s1, -1, 0
	s_wait_kmcnt 0x0
	v_add_nc_u64_e32 v[8:9], s[28:29], v[4:5]
	v_add_nc_u64_e32 v[10:11], s[30:31], v[4:5]
	s_add_nc_u64 s[28:29], s[20:21], s[24:25]
	s_mov_b64 s[30:31], s[16:17]
	s_delay_alu instid0(SALU_CYCLE_1) | instskip(NEXT) | instid1(SALU_CYCLE_1)
	s_sub_co_i32 s7, s30, s16
	s_and_b32 s7, s7, 0x3ff
	s_delay_alu instid0(SALU_CYCLE_1)
	s_cmp_lg_u32 s7, 0
	s_cbranch_scc1 .LBB103_12
.LBB103_9:
	v_mov_b64_e32 v[14:15], -1.0
	v_mov_b64_e32 v[16:17], -1
	s_sub_nc_u64 s[34:35], s[18:19], s[30:31]
	s_mov_b32 s17, exec_lo
	v_cmpx_gt_i64_e64 s[34:35], v[0:1]
	s_cbranch_execz .LBB103_11
; %bb.10:
	s_lshl_b64 s[34:35], s[30:31], 3
	s_delay_alu instid0(SALU_CYCLE_1)
	v_add_nc_u64_e32 v[14:15], s[34:35], v[8:9]
	global_load_b64 v[16:17], v[14:15], off
	s_wait_xcnt 0x0
	v_add_nc_u64_e32 v[14:15], s[34:35], v[10:11]
	global_load_b64 v[14:15], v[14:15], off
	s_wait_loadcnt 0x1
	v_sub_nc_u64_e64 v[16:17], v[16:17], s[24:25]
.LBB103_11:
	s_wait_xcnt 0x0
	s_or_b32 exec_lo, exec_lo, s17
	ds_store_b64 v4, v[16:17]
	s_wait_loadcnt 0x0
	ds_store_b64 v20, v[14:15]
.LBB103_12:                             ; =>This Loop Header: Depth=1
                                        ;     Child Loop BB103_35 Depth 2
	s_lshl_b32 s7, s7, 3
	s_wait_dscnt 0x0
	v_mov_b32_e32 v14, s7
	s_barrier_signal -1
	s_barrier_wait -1
	ds_load_2addr_stride64_b64 v[14:17], v14 offset1:16
	s_wait_dscnt 0x0
	v_cmp_neq_f64_e32 vcc_lo, 0, v[16:17]
	v_readfirstlane_b32 s34, v14
	v_readfirstlane_b32 s35, v15
	s_cmp_lg_u64 s[34:35], s[20:21]
	s_cselect_b32 s7, -1, 0
	s_delay_alu instid0(SALU_CYCLE_1) | instskip(NEXT) | instid1(SALU_CYCLE_1)
	s_or_b32 s7, s4, s7
	s_or_b32 vcc_lo, vcc_lo, s7
	v_cndmask_b32_e32 v15, 0x3ff00000, v17, vcc_lo
	v_cndmask_b32_e32 v14, 0, v16, vcc_lo
	s_nor_b32 s17, s0, vcc_lo
	s_delay_alu instid0(SALU_CYCLE_1)
	s_and_saveexec_b32 s7, s17
	s_cbranch_execz .LBB103_16
; %bb.13:                               ;   in Loop: Header=BB103_12 Depth=1
	v_mbcnt_lo_u32_b32 v14, exec_lo, 0
	s_mov_b32 s17, exec_lo
	s_delay_alu instid0(VALU_DEP_1)
	v_cmpx_eq_u32_e32 0, v14
	s_cbranch_execz .LBB103_15
; %bb.14:                               ;   in Loop: Header=BB103_12 Depth=1
	v_mov_b64_e32 v[14:15], s[28:29]
	global_atomic_min_u64 v5, v[14:15], s[8:9] scope:SCOPE_DEV
.LBB103_15:                             ;   in Loop: Header=BB103_12 Depth=1
	s_wait_xcnt 0x0
	s_or_b32 exec_lo, exec_lo, s17
	v_mov_b64_e32 v[14:15], 1.0
.LBB103_16:                             ;   in Loop: Header=BB103_12 Depth=1
	s_or_b32 exec_lo, exec_lo, s7
	s_mov_b32 s33, -1
	s_mov_b32 s7, 0
	s_cmp_lt_i32 s5, 1
	s_mov_b32 s17, 0
                                        ; implicit-def: $vgpr16_vgpr17
	s_cbranch_scc0 .LBB103_23
; %bb.17:                               ;   in Loop: Header=BB103_12 Depth=1
	s_and_b32 vcc_lo, exec_lo, s33
	s_mov_b32 s33, 4
	s_cbranch_vccnz .LBB103_28
.LBB103_18:                             ;   in Loop: Header=BB103_12 Depth=1
	v_mov_b64_e32 v[18:19], v[6:7]
	s_and_b32 vcc_lo, exec_lo, s17
	s_cbranch_vccnz .LBB103_33
.LBB103_19:                             ;   in Loop: Header=BB103_12 Depth=1
	s_and_b32 vcc_lo, exec_lo, s7
	s_cbranch_vccnz .LBB103_39
.LBB103_20:                             ;   in Loop: Header=BB103_12 Depth=1
	s_mov_b32 s7, -1
	s_cmp_gt_i32 s33, 3
	s_mov_b32 s17, -1
	s_cbranch_scc0 .LBB103_40
.LBB103_21:                             ;   in Loop: Header=BB103_12 Depth=1
	s_and_not1_b32 vcc_lo, exec_lo, s17
	s_cbranch_vccz .LBB103_41
.LBB103_22:                             ;   in Loop: Header=BB103_12 Depth=1
	s_and_not1_b32 vcc_lo, exec_lo, s7
	s_cbranch_vccnz .LBB103_42
	s_branch .LBB103_44
.LBB103_23:                             ;   in Loop: Header=BB103_12 Depth=1
	s_cmp_eq_u32 s5, 1
	s_mov_b32 s17, -1
                                        ; implicit-def: $vgpr16_vgpr17
	s_cbranch_scc0 .LBB103_27
; %bb.24:                               ;   in Loop: Header=BB103_12 Depth=1
	v_cmp_ge_i64_e64 s17, s[34:35], s[20:21]
	v_mov_b64_e32 v[16:17], v[12:13]
	s_and_b32 vcc_lo, exec_lo, s17
	s_mov_b32 s17, 0
	s_cbranch_vccz .LBB103_27
; %bb.25:                               ;   in Loop: Header=BB103_12 Depth=1
	s_cmp_eq_u64 s[34:35], s[20:21]
	s_mov_b32 s17, -1
                                        ; implicit-def: $vgpr16_vgpr17
	s_cbranch_scc0 .LBB103_27
; %bb.26:                               ;   in Loop: Header=BB103_12 Depth=1
	v_div_scale_f64 v[16:17], null, v[14:15], v[14:15], 1.0
	v_div_scale_f64 v[24:25], vcc_lo, 1.0, v[14:15], 1.0
	s_mov_b32 s17, 0
	v_rcp_f64_e32 v[18:19], v[16:17]
	v_nop
	s_delay_alu instid0(TRANS32_DEP_1) | instskip(NEXT) | instid1(VALU_DEP_1)
	v_fma_f64 v[22:23], -v[16:17], v[18:19], 1.0
	v_fmac_f64_e32 v[18:19], v[18:19], v[22:23]
	s_delay_alu instid0(VALU_DEP_1) | instskip(NEXT) | instid1(VALU_DEP_1)
	v_fma_f64 v[22:23], -v[16:17], v[18:19], 1.0
	v_fmac_f64_e32 v[18:19], v[18:19], v[22:23]
	s_delay_alu instid0(VALU_DEP_1) | instskip(NEXT) | instid1(VALU_DEP_1)
	v_mul_f64_e32 v[22:23], v[24:25], v[18:19]
	v_fma_f64 v[16:17], -v[16:17], v[22:23], v[24:25]
	s_delay_alu instid0(VALU_DEP_1) | instskip(NEXT) | instid1(VALU_DEP_1)
	v_div_fmas_f64 v[16:17], v[16:17], v[18:19], v[22:23]
	v_div_fixup_f64 v[16:17], v[16:17], v[14:15], 1.0
	s_delay_alu instid0(VALU_DEP_1)
	v_dual_cndmask_b32 v17, v13, v17, s1 :: v_dual_cndmask_b32 v16, v12, v16, s1
.LBB103_27:                             ;   in Loop: Header=BB103_12 Depth=1
	s_mov_b32 s33, 4
	s_branch .LBB103_18
.LBB103_28:                             ;   in Loop: Header=BB103_12 Depth=1
	s_cmp_eq_u32 s5, 0
	s_cbranch_scc1 .LBB103_30
; %bb.29:                               ;   in Loop: Header=BB103_12 Depth=1
	s_mov_b32 s17, -1
	s_branch .LBB103_32
.LBB103_30:                             ;   in Loop: Header=BB103_12 Depth=1
	v_cmp_le_i64_e64 s17, s[34:35], s[20:21]
	s_and_b32 vcc_lo, exec_lo, s17
	s_mov_b32 s17, 0
	s_cbranch_vccz .LBB103_32
; %bb.31:                               ;   in Loop: Header=BB103_12 Depth=1
	s_cmp_lg_u64 s[34:35], s[20:21]
	s_mov_b32 s7, -1
	s_cselect_b32 s17, -1, 0
.LBB103_32:                             ;   in Loop: Header=BB103_12 Depth=1
	v_mov_b64_e32 v[16:17], v[12:13]
	s_mov_b32 s33, 2
	v_mov_b64_e32 v[18:19], v[6:7]
	s_and_b32 vcc_lo, exec_lo, s17
	s_cbranch_vccz .LBB103_19
.LBB103_33:                             ;   in Loop: Header=BB103_12 Depth=1
	s_and_saveexec_b32 s7, s3
	s_cbranch_execz .LBB103_36
; %bb.34:                               ;   in Loop: Header=BB103_12 Depth=1
	s_lshl_b64 s[36:37], s[34:35], 2
	s_delay_alu instid0(SALU_CYCLE_1)
	s_add_nc_u64 s[36:37], s[26:27], s[36:37]
	global_load_b32 v16, v5, s[36:37] scope:SCOPE_DEV
	s_wait_loadcnt 0x0
	v_cmp_ne_u32_e32 vcc_lo, 0, v16
	s_cbranch_vccnz .LBB103_36
.LBB103_35:                             ;   Parent Loop BB103_12 Depth=1
                                        ; =>  This Inner Loop Header: Depth=2
	global_load_b32 v16, v5, s[36:37] scope:SCOPE_DEV
	s_wait_loadcnt 0x0
	v_cmp_eq_u32_e32 vcc_lo, 0, v16
	s_cbranch_vccnz .LBB103_35
.LBB103_36:                             ;   in Loop: Header=BB103_12 Depth=1
	s_wait_xcnt 0x0
	s_or_b32 exec_lo, exec_lo, s7
	v_mov_b64_e32 v[18:19], 0
	s_wait_storecnt 0x0
	s_barrier_signal -1
	s_barrier_wait -1
	global_inv scope:SCOPE_DEV
	s_and_saveexec_b32 s7, s2
	s_cbranch_execz .LBB103_38
; %bb.37:                               ;   in Loop: Header=BB103_12 Depth=1
	s_mul_u64 s[34:35], s[34:35], s[10:11]
	s_delay_alu instid0(SALU_CYCLE_1)
	v_lshl_add_u64 v[16:17], s[34:35], 3, v[2:3]
	global_load_b64 v[16:17], v[16:17], off
	s_wait_loadcnt 0x0
	v_fma_f64 v[18:19], -v[14:15], v[16:17], v[6:7]
.LBB103_38:                             ;   in Loop: Header=BB103_12 Depth=1
	s_or_b32 exec_lo, exec_lo, s7
	v_mov_b64_e32 v[16:17], v[12:13]
	s_mov_b32 s33, 0
	s_branch .LBB103_20
.LBB103_39:                             ;   in Loop: Header=BB103_12 Depth=1
	v_div_scale_f64 v[16:17], null, v[14:15], v[14:15], 1.0
	v_div_scale_f64 v[24:25], vcc_lo, 1.0, v[14:15], 1.0
	s_mov_b32 s33, 2
	v_rcp_f64_e32 v[18:19], v[16:17]
	v_nop
	s_delay_alu instid0(TRANS32_DEP_1) | instskip(NEXT) | instid1(VALU_DEP_1)
	v_fma_f64 v[22:23], -v[16:17], v[18:19], 1.0
	v_fmac_f64_e32 v[18:19], v[18:19], v[22:23]
	s_delay_alu instid0(VALU_DEP_1) | instskip(NEXT) | instid1(VALU_DEP_1)
	v_fma_f64 v[22:23], -v[16:17], v[18:19], 1.0
	v_fmac_f64_e32 v[18:19], v[18:19], v[22:23]
	s_delay_alu instid0(VALU_DEP_1) | instskip(NEXT) | instid1(VALU_DEP_1)
	v_mul_f64_e32 v[22:23], v[24:25], v[18:19]
	v_fma_f64 v[16:17], -v[16:17], v[22:23], v[24:25]
	s_delay_alu instid0(VALU_DEP_1) | instskip(SKIP_1) | instid1(VALU_DEP_2)
	v_div_fmas_f64 v[16:17], v[16:17], v[18:19], v[22:23]
	v_mov_b64_e32 v[18:19], v[6:7]
	v_div_fixup_f64 v[14:15], v[16:17], v[14:15], 1.0
	s_delay_alu instid0(VALU_DEP_1)
	v_dual_cndmask_b32 v17, v13, v15, s1 :: v_dual_cndmask_b32 v16, v12, v14, s1
	s_mov_b32 s7, -1
	s_cmp_gt_i32 s33, 3
	s_mov_b32 s17, -1
	s_cbranch_scc1 .LBB103_21
.LBB103_40:                             ;   in Loop: Header=BB103_12 Depth=1
	s_cmp_eq_u32 s33, 0
	s_cselect_b32 s17, -1, 0
	s_delay_alu instid0(SALU_CYCLE_1)
	s_and_not1_b32 vcc_lo, exec_lo, s17
	s_cbranch_vccnz .LBB103_22
.LBB103_41:                             ;   in Loop: Header=BB103_12 Depth=1
	s_add_nc_u64 s[30:31], s[30:31], 1
	s_delay_alu instid0(SALU_CYCLE_1)
	v_cmp_ge_i64_e64 s7, s[30:31], s[18:19]
	s_and_not1_b32 vcc_lo, exec_lo, s7
	s_cbranch_vccz .LBB103_44
.LBB103_42:                             ;   in Loop: Header=BB103_12 Depth=1
	s_delay_alu instid0(VALU_DEP_1) | instskip(SKIP_2) | instid1(SALU_CYCLE_1)
	v_mov_b64_e32 v[6:7], v[18:19]
	v_mov_b64_e32 v[12:13], v[16:17]
	s_sub_co_i32 s7, s30, s16
	s_and_b32 s7, s7, 0x3ff
	s_delay_alu instid0(SALU_CYCLE_1)
	s_cmp_lg_u32 s7, 0
	s_cbranch_scc1 .LBB103_12
	s_branch .LBB103_9
.LBB103_43:
	v_mov_b64_e32 v[18:19], v[6:7]
.LBB103_44:
	s_and_saveexec_b32 s0, s2
	s_cbranch_execz .LBB103_46
; %bb.45:
	s_delay_alu instid0(VALU_DEP_1) | instskip(SKIP_3) | instid1(VALU_DEP_2)
	v_mul_f64_e32 v[4:5], v[16:17], v[18:19]
	s_cmp_eq_u32 s6, 0
	v_lshl_add_u64 v[2:3], s[22:23], 3, v[2:3]
	s_cselect_b32 vcc_lo, -1, 0
	v_dual_cndmask_b32 v5, v19, v5 :: v_dual_cndmask_b32 v4, v18, v4
	global_store_b64 v[2:3], v[4:5], off
.LBB103_46:
	s_wait_xcnt 0x0
	s_or_b32 exec_lo, exec_lo, s0
	global_wb scope:SCOPE_DEV
	s_wait_loadcnt 0x0
	s_wait_storecnt 0x0
	global_inv scope:SCOPE_DEV
	s_wait_loadcnt 0x0
	s_barrier_signal -1
	s_barrier_wait -1
	s_mov_b32 s0, exec_lo
	v_cmpx_eq_u32_e32 0, v0
	s_cbranch_execz .LBB103_48
; %bb.47:
	s_lshl_b64 s[0:1], s[20:21], 2
	v_dual_mov_b32 v0, 0 :: v_dual_mov_b32 v1, 1
	s_add_nc_u64 s[0:1], s[14:15], s[0:1]
	s_lshl_b64 s[2:3], s[12:13], 2
	s_delay_alu instid0(SALU_CYCLE_1)
	s_add_nc_u64 s[0:1], s[0:1], s[2:3]
	global_store_b32 v0, v1, s[0:1] scope:SCOPE_DEV
.LBB103_48:
	s_endpgm
.LBB103_49:
                                        ; implicit-def: $sgpr22_sgpr23
	s_clause 0x1
	s_load_b64 s[8:9], s[0:1], 0x50
	s_load_b64 s[16:17], s[0:1], 0x20
	s_branch .LBB103_4
	.section	.rodata,"a",@progbits
	.p2align	6, 0x0
	.amdhsa_kernel _ZN9rocsparseL5csrsmILj1024ELj64ELb0ElldEEv20rocsparse_operation_T3_S2_NS_24const_host_device_scalarIT4_EEPKT2_PKS2_PKS4_PS4_lPiSA_PS2_21rocsparse_index_base_20rocsparse_fill_mode_20rocsparse_diag_type_b
		.amdhsa_group_segment_fixed_size 16384
		.amdhsa_private_segment_fixed_size 0
		.amdhsa_kernarg_size 112
		.amdhsa_user_sgpr_count 2
		.amdhsa_user_sgpr_dispatch_ptr 0
		.amdhsa_user_sgpr_queue_ptr 0
		.amdhsa_user_sgpr_kernarg_segment_ptr 1
		.amdhsa_user_sgpr_dispatch_id 0
		.amdhsa_user_sgpr_kernarg_preload_length 0
		.amdhsa_user_sgpr_kernarg_preload_offset 0
		.amdhsa_user_sgpr_private_segment_size 0
		.amdhsa_wavefront_size32 1
		.amdhsa_uses_dynamic_stack 0
		.amdhsa_enable_private_segment 0
		.amdhsa_system_sgpr_workgroup_id_x 1
		.amdhsa_system_sgpr_workgroup_id_y 0
		.amdhsa_system_sgpr_workgroup_id_z 0
		.amdhsa_system_sgpr_workgroup_info 0
		.amdhsa_system_vgpr_workitem_id 0
		.amdhsa_next_free_vgpr 26
		.amdhsa_next_free_sgpr 38
		.amdhsa_named_barrier_count 0
		.amdhsa_reserve_vcc 1
		.amdhsa_float_round_mode_32 0
		.amdhsa_float_round_mode_16_64 0
		.amdhsa_float_denorm_mode_32 3
		.amdhsa_float_denorm_mode_16_64 3
		.amdhsa_fp16_overflow 0
		.amdhsa_memory_ordered 1
		.amdhsa_forward_progress 1
		.amdhsa_inst_pref_size 18
		.amdhsa_round_robin_scheduling 0
		.amdhsa_exception_fp_ieee_invalid_op 0
		.amdhsa_exception_fp_denorm_src 0
		.amdhsa_exception_fp_ieee_div_zero 0
		.amdhsa_exception_fp_ieee_overflow 0
		.amdhsa_exception_fp_ieee_underflow 0
		.amdhsa_exception_fp_ieee_inexact 0
		.amdhsa_exception_int_div_zero 0
	.end_amdhsa_kernel
	.section	.text._ZN9rocsparseL5csrsmILj1024ELj64ELb0ElldEEv20rocsparse_operation_T3_S2_NS_24const_host_device_scalarIT4_EEPKT2_PKS2_PKS4_PS4_lPiSA_PS2_21rocsparse_index_base_20rocsparse_fill_mode_20rocsparse_diag_type_b,"axG",@progbits,_ZN9rocsparseL5csrsmILj1024ELj64ELb0ElldEEv20rocsparse_operation_T3_S2_NS_24const_host_device_scalarIT4_EEPKT2_PKS2_PKS4_PS4_lPiSA_PS2_21rocsparse_index_base_20rocsparse_fill_mode_20rocsparse_diag_type_b,comdat
.Lfunc_end103:
	.size	_ZN9rocsparseL5csrsmILj1024ELj64ELb0ElldEEv20rocsparse_operation_T3_S2_NS_24const_host_device_scalarIT4_EEPKT2_PKS2_PKS4_PS4_lPiSA_PS2_21rocsparse_index_base_20rocsparse_fill_mode_20rocsparse_diag_type_b, .Lfunc_end103-_ZN9rocsparseL5csrsmILj1024ELj64ELb0ElldEEv20rocsparse_operation_T3_S2_NS_24const_host_device_scalarIT4_EEPKT2_PKS2_PKS4_PS4_lPiSA_PS2_21rocsparse_index_base_20rocsparse_fill_mode_20rocsparse_diag_type_b
                                        ; -- End function
	.set _ZN9rocsparseL5csrsmILj1024ELj64ELb0ElldEEv20rocsparse_operation_T3_S2_NS_24const_host_device_scalarIT4_EEPKT2_PKS2_PKS4_PS4_lPiSA_PS2_21rocsparse_index_base_20rocsparse_fill_mode_20rocsparse_diag_type_b.num_vgpr, 26
	.set _ZN9rocsparseL5csrsmILj1024ELj64ELb0ElldEEv20rocsparse_operation_T3_S2_NS_24const_host_device_scalarIT4_EEPKT2_PKS2_PKS4_PS4_lPiSA_PS2_21rocsparse_index_base_20rocsparse_fill_mode_20rocsparse_diag_type_b.num_agpr, 0
	.set _ZN9rocsparseL5csrsmILj1024ELj64ELb0ElldEEv20rocsparse_operation_T3_S2_NS_24const_host_device_scalarIT4_EEPKT2_PKS2_PKS4_PS4_lPiSA_PS2_21rocsparse_index_base_20rocsparse_fill_mode_20rocsparse_diag_type_b.numbered_sgpr, 38
	.set _ZN9rocsparseL5csrsmILj1024ELj64ELb0ElldEEv20rocsparse_operation_T3_S2_NS_24const_host_device_scalarIT4_EEPKT2_PKS2_PKS4_PS4_lPiSA_PS2_21rocsparse_index_base_20rocsparse_fill_mode_20rocsparse_diag_type_b.num_named_barrier, 0
	.set _ZN9rocsparseL5csrsmILj1024ELj64ELb0ElldEEv20rocsparse_operation_T3_S2_NS_24const_host_device_scalarIT4_EEPKT2_PKS2_PKS4_PS4_lPiSA_PS2_21rocsparse_index_base_20rocsparse_fill_mode_20rocsparse_diag_type_b.private_seg_size, 0
	.set _ZN9rocsparseL5csrsmILj1024ELj64ELb0ElldEEv20rocsparse_operation_T3_S2_NS_24const_host_device_scalarIT4_EEPKT2_PKS2_PKS4_PS4_lPiSA_PS2_21rocsparse_index_base_20rocsparse_fill_mode_20rocsparse_diag_type_b.uses_vcc, 1
	.set _ZN9rocsparseL5csrsmILj1024ELj64ELb0ElldEEv20rocsparse_operation_T3_S2_NS_24const_host_device_scalarIT4_EEPKT2_PKS2_PKS4_PS4_lPiSA_PS2_21rocsparse_index_base_20rocsparse_fill_mode_20rocsparse_diag_type_b.uses_flat_scratch, 0
	.set _ZN9rocsparseL5csrsmILj1024ELj64ELb0ElldEEv20rocsparse_operation_T3_S2_NS_24const_host_device_scalarIT4_EEPKT2_PKS2_PKS4_PS4_lPiSA_PS2_21rocsparse_index_base_20rocsparse_fill_mode_20rocsparse_diag_type_b.has_dyn_sized_stack, 0
	.set _ZN9rocsparseL5csrsmILj1024ELj64ELb0ElldEEv20rocsparse_operation_T3_S2_NS_24const_host_device_scalarIT4_EEPKT2_PKS2_PKS4_PS4_lPiSA_PS2_21rocsparse_index_base_20rocsparse_fill_mode_20rocsparse_diag_type_b.has_recursion, 0
	.set _ZN9rocsparseL5csrsmILj1024ELj64ELb0ElldEEv20rocsparse_operation_T3_S2_NS_24const_host_device_scalarIT4_EEPKT2_PKS2_PKS4_PS4_lPiSA_PS2_21rocsparse_index_base_20rocsparse_fill_mode_20rocsparse_diag_type_b.has_indirect_call, 0
	.section	.AMDGPU.csdata,"",@progbits
; Kernel info:
; codeLenInByte = 2300
; TotalNumSgprs: 40
; NumVgprs: 26
; ScratchSize: 0
; MemoryBound: 0
; FloatMode: 240
; IeeeMode: 1
; LDSByteSize: 16384 bytes/workgroup (compile time only)
; SGPRBlocks: 0
; VGPRBlocks: 1
; NumSGPRsForWavesPerEU: 40
; NumVGPRsForWavesPerEU: 26
; NamedBarCnt: 0
; Occupancy: 16
; WaveLimiterHint : 1
; COMPUTE_PGM_RSRC2:SCRATCH_EN: 0
; COMPUTE_PGM_RSRC2:USER_SGPR: 2
; COMPUTE_PGM_RSRC2:TRAP_HANDLER: 0
; COMPUTE_PGM_RSRC2:TGID_X_EN: 1
; COMPUTE_PGM_RSRC2:TGID_Y_EN: 0
; COMPUTE_PGM_RSRC2:TGID_Z_EN: 0
; COMPUTE_PGM_RSRC2:TIDIG_COMP_CNT: 0
	.section	.text._ZN9rocsparseL5csrsmILj64ELj64ELb1Ell21rocsparse_complex_numIfEEEv20rocsparse_operation_T3_S4_NS_24const_host_device_scalarIT4_EEPKT2_PKS4_PKS6_PS6_lPiSC_PS4_21rocsparse_index_base_20rocsparse_fill_mode_20rocsparse_diag_type_b,"axG",@progbits,_ZN9rocsparseL5csrsmILj64ELj64ELb1Ell21rocsparse_complex_numIfEEEv20rocsparse_operation_T3_S4_NS_24const_host_device_scalarIT4_EEPKT2_PKS4_PKS6_PS6_lPiSC_PS4_21rocsparse_index_base_20rocsparse_fill_mode_20rocsparse_diag_type_b,comdat
	.globl	_ZN9rocsparseL5csrsmILj64ELj64ELb1Ell21rocsparse_complex_numIfEEEv20rocsparse_operation_T3_S4_NS_24const_host_device_scalarIT4_EEPKT2_PKS4_PKS6_PS6_lPiSC_PS4_21rocsparse_index_base_20rocsparse_fill_mode_20rocsparse_diag_type_b ; -- Begin function _ZN9rocsparseL5csrsmILj64ELj64ELb1Ell21rocsparse_complex_numIfEEEv20rocsparse_operation_T3_S4_NS_24const_host_device_scalarIT4_EEPKT2_PKS4_PKS6_PS6_lPiSC_PS4_21rocsparse_index_base_20rocsparse_fill_mode_20rocsparse_diag_type_b
	.p2align	8
	.type	_ZN9rocsparseL5csrsmILj64ELj64ELb1Ell21rocsparse_complex_numIfEEEv20rocsparse_operation_T3_S4_NS_24const_host_device_scalarIT4_EEPKT2_PKS4_PKS6_PS6_lPiSC_PS4_21rocsparse_index_base_20rocsparse_fill_mode_20rocsparse_diag_type_b,@function
_ZN9rocsparseL5csrsmILj64ELj64ELb1Ell21rocsparse_complex_numIfEEEv20rocsparse_operation_T3_S4_NS_24const_host_device_scalarIT4_EEPKT2_PKS4_PKS6_PS6_lPiSC_PS4_21rocsparse_index_base_20rocsparse_fill_mode_20rocsparse_diag_type_b: ; @_ZN9rocsparseL5csrsmILj64ELj64ELb1Ell21rocsparse_complex_numIfEEEv20rocsparse_operation_T3_S4_NS_24const_host_device_scalarIT4_EEPKT2_PKS4_PKS6_PS6_lPiSC_PS4_21rocsparse_index_base_20rocsparse_fill_mode_20rocsparse_diag_type_b
; %bb.0:
	s_clause 0x2
	s_load_b128 s[4:7], s[0:1], 0x60
	s_load_b64 s[2:3], s[0:1], 0x18
	s_load_b128 s[12:15], s[0:1], 0x8
	s_wait_kmcnt 0x0
	s_bitcmp1_b32 s7, 0
	s_mov_b32 s25, s2
	s_cselect_b32 s8, -1, 0
	s_delay_alu instid0(SALU_CYCLE_1)
	s_xor_b32 s7, s8, -1
	s_and_b32 vcc_lo, exec_lo, s8
	s_cbranch_vccnz .LBB104_2
; %bb.1:
	s_load_b32 s25, s[2:3], 0x0
.LBB104_2:
	s_and_not1_b32 vcc_lo, exec_lo, s7
	s_cbranch_vccnz .LBB104_4
; %bb.3:
	s_wait_xcnt 0x0
	s_load_b32 s3, s[2:3], 0x4
.LBB104_4:
	s_wait_xcnt 0x0
	s_bfe_u32 s2, ttmp6, 0x4000c
	s_and_b32 s7, ttmp6, 15
	s_add_co_i32 s2, s2, 1
	s_getreg_b32 s8, hwreg(HW_REG_IB_STS2, 6, 4)
	s_mul_i32 s2, ttmp9, s2
	s_mov_b32 s9, 0
	s_add_co_i32 s7, s7, s2
	s_cmp_eq_u32 s8, 0
	s_cselect_b32 s8, ttmp9, s7
	s_and_b64 s[10:11], s[12:13], 0xffffffff00000000
	s_delay_alu instid0(SALU_CYCLE_1)
	s_cmp_lg_u64 s[10:11], 0
	s_cbranch_scc0 .LBB104_64
; %bb.5:
	s_ashr_i32 s10, s13, 31
	s_mov_b32 s23, s9
	s_mov_b32 s11, s10
	;; [unrolled: 1-line block ×3, first 2 shown]
	s_add_nc_u64 s[16:17], s[12:13], s[10:11]
	s_delay_alu instid0(SALU_CYCLE_1) | instskip(NEXT) | instid1(SALU_CYCLE_1)
	s_xor_b64 s[16:17], s[16:17], s[10:11]
	s_cvt_f32_u32 s2, s16
	s_cvt_f32_u32 s7, s17
	s_sub_nc_u64 s[20:21], 0, s[16:17]
	s_delay_alu instid0(SALU_CYCLE_2) | instskip(NEXT) | instid1(SALU_CYCLE_3)
	s_fmamk_f32 s2, s7, 0x4f800000, s2
	v_s_rcp_f32 s2, s2
	s_delay_alu instid0(TRANS32_DEP_1) | instskip(NEXT) | instid1(SALU_CYCLE_3)
	s_mul_f32 s2, s2, 0x5f7ffffc
	s_mul_f32 s7, s2, 0x2f800000
	s_delay_alu instid0(SALU_CYCLE_3) | instskip(NEXT) | instid1(SALU_CYCLE_3)
	s_trunc_f32 s7, s7
	s_fmamk_f32 s2, s7, 0xcf800000, s2
	s_cvt_u32_f32 s19, s7
	s_delay_alu instid0(SALU_CYCLE_2) | instskip(NEXT) | instid1(SALU_CYCLE_3)
	s_cvt_u32_f32 s18, s2
	s_mul_u64 s[26:27], s[20:21], s[18:19]
	s_delay_alu instid0(SALU_CYCLE_1)
	s_mul_hi_u32 s31, s18, s27
	s_mul_i32 s30, s18, s27
	s_mul_hi_u32 s22, s18, s26
	s_mul_i32 s7, s19, s26
	s_add_nc_u64 s[22:23], s[22:23], s[30:31]
	s_mul_hi_u32 s2, s19, s26
	s_mul_hi_u32 s24, s19, s27
	s_add_co_u32 s7, s22, s7
	s_add_co_ci_u32 s28, s23, s2
	s_mul_i32 s26, s19, s27
	s_add_co_ci_u32 s27, s24, 0
	s_delay_alu instid0(SALU_CYCLE_1) | instskip(SKIP_3) | instid1(SALU_CYCLE_1)
	s_add_nc_u64 s[22:23], s[28:29], s[26:27]
	s_mov_b32 s27, s9
	s_add_co_u32 s18, s18, s22
	s_cselect_b32 s2, -1, 0
	s_cmp_lg_u32 s2, 0
	s_add_co_ci_u32 s19, s19, s23
	s_mov_b32 s23, s9
	s_mul_u64 s[20:21], s[20:21], s[18:19]
	s_delay_alu instid0(SALU_CYCLE_1)
	s_mul_hi_u32 s29, s18, s21
	s_mul_i32 s28, s18, s21
	s_mul_hi_u32 s22, s18, s20
	s_mul_i32 s7, s19, s20
	s_add_nc_u64 s[22:23], s[22:23], s[28:29]
	s_mul_hi_u32 s2, s19, s20
	s_mul_hi_u32 s24, s19, s21
	s_add_co_u32 s7, s22, s7
	s_add_co_ci_u32 s26, s23, s2
	s_mul_i32 s20, s19, s21
	s_add_co_ci_u32 s21, s24, 0
	s_add_nc_u64 s[22:23], s[8:9], 0
	s_add_nc_u64 s[20:21], s[26:27], s[20:21]
	s_delay_alu instid0(SALU_CYCLE_1) | instskip(SKIP_1) | instid1(SALU_CYCLE_1)
	s_add_co_u32 s2, s18, s20
	s_cselect_b32 s7, -1, 0
	s_cmp_lg_u32 s7, 0
	s_add_co_ci_u32 s7, s19, s21
	s_xor_b64 s[18:19], s[22:23], 0
	s_mov_b32 s21, s9
	s_mul_hi_u32 s23, s18, s7
	s_mul_i32 s22, s18, s7
	s_mul_hi_u32 s26, s18, s2
	s_mul_hi_u32 s20, s19, s2
	s_mul_i32 s2, s19, s2
	s_add_nc_u64 s[22:23], s[26:27], s[22:23]
	s_mul_hi_u32 s24, s19, s7
	s_add_co_u32 s2, s22, s2
	s_add_co_ci_u32 s20, s23, s20
	s_mul_i32 s26, s19, s7
	s_add_co_ci_u32 s27, s24, 0
	s_delay_alu instid0(SALU_CYCLE_1) | instskip(NEXT) | instid1(SALU_CYCLE_1)
	s_add_nc_u64 s[20:21], s[20:21], s[26:27]
	s_and_b64 s[22:23], s[20:21], 0xffffffff00000000
	s_delay_alu instid0(SALU_CYCLE_1) | instskip(NEXT) | instid1(SALU_CYCLE_1)
	s_or_b32 s22, s22, s20
	s_mul_u64 s[20:21], s[16:17], s[22:23]
	s_add_nc_u64 s[26:27], s[22:23], 1
	s_sub_co_u32 s2, s18, s20
	s_cselect_b32 s7, -1, 0
	s_sub_co_i32 s18, s19, s21
	s_cmp_lg_u32 s7, 0
	s_add_nc_u64 s[28:29], s[22:23], 2
	s_sub_co_ci_u32 s18, s18, s17
	s_sub_co_u32 s20, s2, s16
	s_cselect_b32 s24, -1, 0
	s_delay_alu instid0(SALU_CYCLE_1) | instskip(SKIP_1) | instid1(SALU_CYCLE_1)
	s_cmp_lg_u32 s24, 0
	s_sub_co_ci_u32 s18, s18, 0
	s_cmp_ge_u32 s18, s17
	s_cselect_b32 s24, -1, 0
	s_cmp_ge_u32 s20, s16
	s_cselect_b32 s20, -1, 0
	s_cmp_eq_u32 s18, s17
	s_cselect_b32 s18, s20, s24
	s_delay_alu instid0(SALU_CYCLE_1) | instskip(SKIP_4) | instid1(SALU_CYCLE_1)
	s_cmp_lg_u32 s18, 0
	s_cselect_b32 s18, s28, s26
	s_cselect_b32 s20, s29, s27
	s_cmp_lg_u32 s7, 0
	s_sub_co_ci_u32 s7, s19, s21
	s_cmp_ge_u32 s7, s17
	s_cselect_b32 s19, -1, 0
	s_cmp_ge_u32 s2, s16
	s_cselect_b32 s2, -1, 0
	s_cmp_eq_u32 s7, s17
	s_cselect_b32 s2, s2, s19
	s_delay_alu instid0(SALU_CYCLE_1) | instskip(SKIP_4) | instid1(SALU_CYCLE_1)
	s_cmp_lg_u32 s2, 0
	s_mov_b32 s2, s9
	s_cselect_b32 s17, s20, s23
	s_cselect_b32 s16, s18, s22
	s_xor_b64 s[10:11], 0, s[10:11]
	s_xor_b64 s[16:17], s[16:17], s[10:11]
	s_delay_alu instid0(SALU_CYCLE_1)
	s_sub_nc_u64 s[22:23], s[16:17], s[10:11]
	s_clause 0x1
	s_load_b64 s[10:11], s[0:1], 0x50
	s_load_b64 s[16:17], s[0:1], 0x20
	s_and_not1_b32 vcc_lo, exec_lo, s2
	s_cbranch_vccnz .LBB104_7
.LBB104_6:
	v_cvt_f32_u32_e32 v1, s12
	s_sub_co_i32 s7, 0, s12
	s_mov_b32 s23, 0
	s_delay_alu instid0(VALU_DEP_1) | instskip(SKIP_1) | instid1(TRANS32_DEP_1)
	v_rcp_iflag_f32_e32 v1, v1
	v_nop
	v_mul_f32_e32 v1, 0x4f7ffffe, v1
	s_delay_alu instid0(VALU_DEP_1) | instskip(NEXT) | instid1(VALU_DEP_1)
	v_cvt_u32_f32_e32 v1, v1
	v_readfirstlane_b32 s2, v1
	s_mul_i32 s7, s7, s2
	s_delay_alu instid0(SALU_CYCLE_1) | instskip(NEXT) | instid1(SALU_CYCLE_1)
	s_mul_hi_u32 s7, s2, s7
	s_add_co_i32 s2, s2, s7
	s_delay_alu instid0(SALU_CYCLE_1) | instskip(NEXT) | instid1(SALU_CYCLE_1)
	s_mul_hi_u32 s2, s8, s2
	s_mul_i32 s7, s2, s12
	s_add_co_i32 s18, s2, 1
	s_sub_co_i32 s7, s8, s7
	s_delay_alu instid0(SALU_CYCLE_1)
	s_sub_co_i32 s19, s7, s12
	s_cmp_ge_u32 s7, s12
	s_cselect_b32 s2, s18, s2
	s_cselect_b32 s7, s19, s7
	s_add_co_i32 s18, s2, 1
	s_cmp_ge_u32 s7, s12
	s_cselect_b32 s22, s18, s2
.LBB104_7:
	s_delay_alu instid0(SALU_CYCLE_1)
	s_mul_u64 s[12:13], s[22:23], s[12:13]
	s_load_b32 s7, s[0:1], 0x0
	s_sub_nc_u64 s[8:9], s[8:9], s[12:13]
	s_lshl_b64 s[22:23], s[22:23], 6
	s_lshl_b64 s[8:9], s[8:9], 3
	v_dual_mov_b32 v3, s23 :: v_dual_bitop2_b32 v2, s22, v0 bitop3:0x54
	s_wait_kmcnt 0x0
	s_add_nc_u64 s[18:19], s[10:11], s[8:9]
	s_load_b64 s[20:21], s[18:19], 0x0
	s_load_b128 s[8:11], s[0:1], 0x38
	v_mov_b32_e32 v1, 0
	v_cmp_gt_i64_e64 s2, s[14:15], v[2:3]
	s_wait_kmcnt 0x0
	s_lshl_b64 s[18:19], s[20:21], 3
	s_mul_u64 s[22:23], s[20:21], s[10:11]
	s_add_nc_u64 s[26:27], s[16:17], s[18:19]
	v_add_nc_u64_e32 v[6:7], s[22:23], v[2:3]
	s_load_b128 s[16:19], s[26:27], 0x0
	s_cmp_lg_u32 s7, 0x71
	s_cbranch_scc0 .LBB104_11
; %bb.8:
	v_mov_b64_e32 v[4:5], 0
	s_and_saveexec_b32 s7, s2
	s_cbranch_execz .LBB104_10
; %bb.9:
	v_lshl_add_u64 v[4:5], v[6:7], 3, s[8:9]
	s_xor_b32 s14, s3, 0x80000000
	s_delay_alu instid0(SALU_CYCLE_1) | instskip(SKIP_4) | instid1(VALU_DEP_1)
	v_dual_mov_b32 v9, s25 :: v_dual_mov_b32 v11, s14
	v_dual_mov_b32 v10, s25 :: v_dual_mov_b32 v8, s3
	global_load_b64 v[4:5], v[4:5], off
	s_wait_loadcnt 0x0
	v_pk_mul_f32 v[10:11], v[4:5], v[10:11] op_sel:[1,0]
	v_pk_fma_f32 v[4:5], v[8:9], v[4:5], v[10:11] op_sel_hi:[1,0,1]
.LBB104_10:
	s_or_b32 exec_lo, exec_lo, s7
	s_cbranch_execz .LBB104_12
	s_branch .LBB104_15
.LBB104_11:
                                        ; implicit-def: $vgpr4_vgpr5
.LBB104_12:
	v_mov_b64_e32 v[4:5], 0
	s_and_saveexec_b32 s7, s2
	s_cbranch_execz .LBB104_14
; %bb.13:
	v_lshl_add_u64 v[4:5], v[6:7], 3, s[8:9]
	s_mov_b32 s24, s3
	s_delay_alu instid0(SALU_CYCLE_1) | instskip(SKIP_3) | instid1(VALU_DEP_1)
	v_mov_b64_e32 v[6:7], s[24:25]
	global_load_b64 v[4:5], v[4:5], off
	s_wait_loadcnt 0x0
	v_pk_mul_f32 v[8:9], v[4:5], v[6:7] op_sel:[1,0] neg_hi:[1,0]
	v_pk_fma_f32 v[4:5], v[6:7], v[4:5], v[8:9] op_sel:[0,0,1] op_sel_hi:[1,0,0]
.LBB104_14:
	s_or_b32 exec_lo, exec_lo, s7
.LBB104_15:
	s_load_b64 s[14:15], s[0:1], 0x48
	s_wait_kmcnt 0x0
	v_cmp_ge_i64_e64 s3, s[16:17], s[18:19]
	v_dual_mov_b32 v9, 1.0 :: v_dual_mov_b32 v8, v4
	v_lshl_add_u64 v[2:3], v[2:3], 3, s[8:9]
	v_dual_mov_b32 v15, v5 :: v_dual_mov_b32 v20, 0
	s_delay_alu instid0(VALU_DEP_3)
	v_mov_b32_e32 v14, v9
	s_and_b32 vcc_lo, exec_lo, s3
	v_cmp_eq_u32_e64 s3, 0, v0
	s_cbranch_vccnz .LBB104_58
; %bb.16:
	s_clause 0x1
	s_load_b128 s[28:31], s[0:1], 0x28
	s_load_b64 s[8:9], s[0:1], 0x58
	v_dual_mov_b32 v4, 0 :: v_dual_lshlrev_b32 v6, 3, v0
	s_wait_xcnt 0x0
	s_mov_b32 s1, 0
	s_mov_b32 s0, s4
	s_lshl_b64 s[24:25], s[12:13], 2
	v_mov_b32_e32 v7, v4
	v_or_b32_e32 v21, 0x200, v6
	s_cmp_eq_u32 s6, 0
	s_sub_nc_u64 s[16:17], s[16:17], s[0:1]
	s_add_nc_u64 s[24:25], s[14:15], s[24:25]
	s_cselect_b32 s4, -1, 0
	s_sub_nc_u64 s[18:19], s[18:19], s[0:1]
	s_add_nc_u64 s[26:27], s[20:21], s[0:1]
	s_wait_kmcnt 0x0
	v_add_nc_u64_e32 v[10:11], s[28:29], v[6:7]
	v_add_nc_u64_e32 v[12:13], s[30:31], v[6:7]
	v_mov_b32_e32 v7, 0
	s_mov_b64 s[28:29], s[16:17]
	s_delay_alu instid0(SALU_CYCLE_1) | instskip(NEXT) | instid1(SALU_CYCLE_1)
	s_sub_co_i32 s7, s28, s16
	s_and_b32 s7, s7, 63
	s_delay_alu instid0(SALU_CYCLE_1)
	s_cmp_lg_u32 s7, 0
	s_cbranch_scc1 .LBB104_20
.LBB104_17:
	v_mov_b64_e32 v[18:19], -1
	v_dual_mov_b32 v17, 0 :: v_dual_mov_b32 v16, -1.0
	s_sub_nc_u64 s[30:31], s[18:19], s[28:29]
	s_mov_b32 s17, exec_lo
	v_cmpx_gt_i64_e64 s[30:31], v[0:1]
	s_cbranch_execz .LBB104_19
; %bb.18:
	s_lshl_b64 s[30:31], s[28:29], 3
	s_delay_alu instid0(SALU_CYCLE_1)
	v_add_nc_u64_e32 v[16:17], s[30:31], v[10:11]
	global_load_b64 v[18:19], v[16:17], off
	s_wait_xcnt 0x0
	v_add_nc_u64_e32 v[16:17], s[30:31], v[12:13]
	global_load_b64 v[16:17], v[16:17], off
	s_wait_loadcnt 0x1
	v_sub_nc_u64_e64 v[18:19], v[18:19], s[0:1]
.LBB104_19:
	s_wait_xcnt 0x0
	s_or_b32 exec_lo, exec_lo, s17
	ds_store_b64 v6, v[18:19]
	s_wait_loadcnt 0x0
	ds_store_b64 v21, v[16:17]
.LBB104_20:                             ; =>This Loop Header: Depth=1
                                        ;     Child Loop BB104_56 Depth 2
                                        ;       Child Loop BB104_57 Depth 3
	s_lshl_b32 s7, s7, 3
	s_wait_dscnt 0x0
	v_mov_b32_e32 v5, s7
	s_barrier_signal -1
	s_barrier_wait -1
	ds_load_2addr_stride64_b64 v[16:19], v5 offset1:1
	s_wait_dscnt 0x0
	v_readfirstlane_b32 s7, v18
	v_readfirstlane_b32 s33, v19
	;; [unrolled: 1-line block ×4, first 2 shown]
	s_cmp_eq_f32 s7, 0
	s_cselect_b32 s17, -1, 0
	s_cmp_eq_f32 s33, 0
	s_cselect_b32 s34, -1, 0
	s_delay_alu instid0(SALU_CYCLE_1)
	s_and_b32 s35, s17, s34
	s_cmp_eq_u64 s[30:31], s[20:21]
	s_cselect_b32 s34, -1, 0
	s_cmp_lg_u64 s[30:31], s[20:21]
	s_cselect_b32 s17, -1, 0
	s_and_b32 s35, s35, s34
	s_delay_alu instid0(SALU_CYCLE_1) | instskip(NEXT) | instid1(SALU_CYCLE_1)
	s_and_b32 s35, s4, s35
	s_and_b32 s36, s3, s35
	s_and_b32 s35, s35, exec_lo
	s_cselect_b32 s33, 0, s33
	s_cselect_b32 s7, 1.0, s7
	s_delay_alu instid0(SALU_CYCLE_1)
	v_dual_mov_b32 v22, s33 :: v_dual_mov_b32 v23, s7
	s_and_saveexec_b32 s7, s36
	s_cbranch_execz .LBB104_24
; %bb.21:                               ;   in Loop: Header=BB104_20 Depth=1
	v_mbcnt_lo_u32_b32 v5, exec_lo, 0
	s_mov_b32 s33, exec_lo
	s_delay_alu instid0(VALU_DEP_1)
	v_cmpx_eq_u32_e32 0, v5
	s_cbranch_execz .LBB104_23
; %bb.22:                               ;   in Loop: Header=BB104_20 Depth=1
	v_mov_b64_e32 v[16:17], s[26:27]
	global_atomic_min_u64 v4, v[16:17], s[8:9] scope:SCOPE_DEV
.LBB104_23:                             ;   in Loop: Header=BB104_20 Depth=1
	s_wait_xcnt 0x0
	s_or_b32 exec_lo, exec_lo, s33
	v_dual_mov_b32 v23, 1.0 :: v_dual_mov_b32 v22, 0
.LBB104_24:                             ;   in Loop: Header=BB104_20 Depth=1
	s_or_b32 exec_lo, exec_lo, s7
	s_mov_b32 s35, -1
	s_mov_b32 s7, 0
	s_cmp_lt_i32 s5, 1
	s_mov_b32 s33, 0
                                        ; implicit-def: $vgpr16_vgpr17
                                        ; implicit-def: $vgpr18_vgpr19
                                        ; implicit-def: $vgpr20
	s_cbranch_scc0 .LBB104_31
; %bb.25:                               ;   in Loop: Header=BB104_20 Depth=1
	s_and_b32 vcc_lo, exec_lo, s35
	s_mov_b32 s34, 4
	s_cbranch_vccnz .LBB104_38
.LBB104_26:                             ;   in Loop: Header=BB104_20 Depth=1
	s_and_b32 vcc_lo, exec_lo, s33
	s_cbranch_vccnz .LBB104_43
.LBB104_27:                             ;   in Loop: Header=BB104_20 Depth=1
	s_and_b32 vcc_lo, exec_lo, s7
	s_cbranch_vccnz .LBB104_48
.LBB104_28:                             ;   in Loop: Header=BB104_20 Depth=1
	s_mov_b32 s7, -1
	s_cmp_gt_i32 s34, 3
	s_mov_b32 s17, -1
	s_cbranch_scc0 .LBB104_51
.LBB104_29:                             ;   in Loop: Header=BB104_20 Depth=1
	s_and_not1_b32 vcc_lo, exec_lo, s17
	s_cbranch_vccz .LBB104_52
.LBB104_30:                             ;   in Loop: Header=BB104_20 Depth=1
	s_and_not1_b32 vcc_lo, exec_lo, s7
	s_cbranch_vccnz .LBB104_53
	s_branch .LBB104_59
.LBB104_31:                             ;   in Loop: Header=BB104_20 Depth=1
	s_cmp_eq_u32 s5, 1
	s_mov_b32 s33, -1
                                        ; implicit-def: $vgpr16_vgpr17
                                        ; implicit-def: $vgpr18_vgpr19
                                        ; implicit-def: $vgpr20
	s_cbranch_scc0 .LBB104_37
; %bb.32:                               ;   in Loop: Header=BB104_20 Depth=1
	v_cmp_ge_i64_e64 s33, s[30:31], s[20:21]
	v_mov_b64_e32 v[16:17], v[14:15]
	v_mov_b64_e32 v[18:19], v[8:9]
	v_mov_b32_e32 v20, v7
	s_and_b32 vcc_lo, exec_lo, s33
	s_mov_b32 s33, 0
	s_cbranch_vccz .LBB104_37
; %bb.33:                               ;   in Loop: Header=BB104_20 Depth=1
	s_and_b32 vcc_lo, exec_lo, s34
	s_mov_b32 s33, -1
                                        ; implicit-def: $vgpr16_vgpr17
                                        ; implicit-def: $vgpr18_vgpr19
                                        ; implicit-def: $vgpr20
	s_cbranch_vccz .LBB104_37
; %bb.34:                               ;   in Loop: Header=BB104_20 Depth=1
	v_mov_b64_e32 v[16:17], v[14:15]
	v_mov_b64_e32 v[18:19], v[8:9]
	v_mov_b32_e32 v20, v7
	s_and_not1_b32 vcc_lo, exec_lo, s4
	s_cbranch_vccnz .LBB104_36
; %bb.35:                               ;   in Loop: Header=BB104_20 Depth=1
	v_mul_f32_e32 v5, v22, v22
	s_delay_alu instid0(VALU_DEP_1) | instskip(NEXT) | instid1(VALU_DEP_1)
	v_fmac_f32_e32 v5, v23, v23
	v_div_scale_f32 v16, null, v5, v5, 1.0
	v_div_scale_f32 v19, vcc_lo, 1.0, v5, 1.0
	s_delay_alu instid0(VALU_DEP_2) | instskip(SKIP_1) | instid1(TRANS32_DEP_1)
	v_rcp_f32_e32 v17, v16
	v_nop
	v_fma_f32 v18, -v16, v17, 1.0
	s_delay_alu instid0(VALU_DEP_1) | instskip(NEXT) | instid1(VALU_DEP_1)
	v_fmac_f32_e32 v17, v18, v17
	v_mul_f32_e32 v18, v19, v17
	s_delay_alu instid0(VALU_DEP_1) | instskip(NEXT) | instid1(VALU_DEP_1)
	v_fma_f32 v20, -v16, v18, v19
	v_fmac_f32_e32 v18, v20, v17
	s_delay_alu instid0(VALU_DEP_1) | instskip(NEXT) | instid1(VALU_DEP_1)
	v_fma_f32 v16, -v16, v18, v19
	v_div_fmas_f32 v16, v16, v17, v18
	v_dual_fma_f32 v17, 0, v22, v23 :: v_dual_mov_b32 v18, v8
	s_delay_alu instid0(VALU_DEP_2) | instskip(SKIP_1) | instid1(VALU_DEP_1)
	v_div_fixup_f32 v5, v16, v5, 1.0
	v_fma_f32 v16, v23, 0, -v22
	v_dual_mul_f32 v19, v17, v5 :: v_dual_mul_f32 v20, v16, v5
	s_delay_alu instid0(VALU_DEP_1)
	v_dual_mov_b32 v17, v15 :: v_dual_mov_b32 v16, v19
.LBB104_36:                             ;   in Loop: Header=BB104_20 Depth=1
	s_mov_b32 s33, 0
.LBB104_37:                             ;   in Loop: Header=BB104_20 Depth=1
	s_mov_b32 s34, 4
	s_branch .LBB104_26
.LBB104_38:                             ;   in Loop: Header=BB104_20 Depth=1
	s_cmp_eq_u32 s5, 0
	s_cbranch_scc1 .LBB104_40
; %bb.39:                               ;   in Loop: Header=BB104_20 Depth=1
	s_mov_b32 s33, -1
	s_branch .LBB104_42
.LBB104_40:                             ;   in Loop: Header=BB104_20 Depth=1
	v_cmp_le_i64_e64 s33, s[30:31], s[20:21]
	s_and_b32 vcc_lo, exec_lo, s33
	s_mov_b32 s33, 0
	s_cbranch_vccz .LBB104_42
; %bb.41:                               ;   in Loop: Header=BB104_20 Depth=1
	s_mov_b32 s7, -1
	s_mov_b32 s33, s17
.LBB104_42:                             ;   in Loop: Header=BB104_20 Depth=1
	v_mov_b64_e32 v[16:17], v[14:15]
	v_mov_b64_e32 v[18:19], v[8:9]
	v_mov_b32_e32 v20, v7
	s_mov_b32 s34, 2
	s_and_b32 vcc_lo, exec_lo, s33
	s_cbranch_vccz .LBB104_27
.LBB104_43:                             ;   in Loop: Header=BB104_20 Depth=1
	s_and_saveexec_b32 s7, s3
	s_cbranch_execz .LBB104_45
; %bb.44:                               ;   in Loop: Header=BB104_20 Depth=1
	s_lshl_b64 s[34:35], s[30:31], 2
	s_delay_alu instid0(SALU_CYCLE_1)
	s_add_nc_u64 s[34:35], s[24:25], s[34:35]
	global_load_b32 v5, v4, s[34:35] scope:SCOPE_DEV
	s_wait_loadcnt 0x0
	v_cmp_ne_u32_e32 vcc_lo, 0, v5
	s_cbranch_vccz .LBB104_54
.LBB104_45:                             ;   in Loop: Header=BB104_20 Depth=1
	s_wait_xcnt 0x0
	s_or_b32 exec_lo, exec_lo, s7
	v_dual_mov_b32 v5, v9 :: v_dual_mov_b32 v16, v9
	v_mov_b32_e32 v17, v4
	s_wait_storecnt 0x0
	s_barrier_signal -1
	s_delay_alu instid0(VALU_DEP_2)
	v_mov_b64_e32 v[18:19], v[4:5]
	s_barrier_wait -1
	global_inv scope:SCOPE_DEV
	s_and_saveexec_b32 s7, s2
	s_cbranch_execz .LBB104_47
; %bb.46:                               ;   in Loop: Header=BB104_20 Depth=1
	s_mul_u64 s[30:31], s[30:31], s[10:11]
	s_delay_alu instid0(SALU_CYCLE_1) | instskip(SKIP_4) | instid1(VALU_DEP_2)
	v_lshl_add_u64 v[16:17], s[30:31], 3, v[2:3]
	global_load_b64 v[24:25], v[16:17], off
	s_wait_loadcnt 0x0
	v_dual_mov_b32 v16, v9 :: v_dual_fma_f32 v17, -v23, v24, v15
	v_dual_fma_f32 v5, -v22, v24, v8 :: v_dual_mov_b32 v19, v9
	v_fmac_f32_e32 v17, v22, v25
	s_delay_alu instid0(VALU_DEP_2)
	v_fma_f32 v18, -v23, v25, v5
.LBB104_47:                             ;   in Loop: Header=BB104_20 Depth=1
	s_or_b32 exec_lo, exec_lo, s7
	v_mov_b32_e32 v20, v7
	s_mov_b32 s34, 0
	s_branch .LBB104_28
.LBB104_48:                             ;   in Loop: Header=BB104_20 Depth=1
	s_and_not1_b32 vcc_lo, exec_lo, s4
	s_cbranch_vccnz .LBB104_50
; %bb.49:                               ;   in Loop: Header=BB104_20 Depth=1
	v_mul_f32_e32 v5, v22, v22
	s_delay_alu instid0(VALU_DEP_1) | instskip(NEXT) | instid1(VALU_DEP_1)
	v_fmac_f32_e32 v5, v23, v23
	v_div_scale_f32 v7, null, v5, v5, 1.0
	v_div_scale_f32 v16, vcc_lo, 1.0, v5, 1.0
	s_delay_alu instid0(VALU_DEP_2) | instskip(SKIP_1) | instid1(TRANS32_DEP_1)
	v_rcp_f32_e32 v9, v7
	v_nop
	v_fma_f32 v14, -v7, v9, 1.0
	s_delay_alu instid0(VALU_DEP_1) | instskip(NEXT) | instid1(VALU_DEP_1)
	v_fmac_f32_e32 v9, v14, v9
	v_mul_f32_e32 v14, v16, v9
	s_delay_alu instid0(VALU_DEP_1) | instskip(NEXT) | instid1(VALU_DEP_1)
	v_fma_f32 v17, -v7, v14, v16
	v_fmac_f32_e32 v14, v17, v9
	s_delay_alu instid0(VALU_DEP_1) | instskip(NEXT) | instid1(VALU_DEP_1)
	v_fma_f32 v7, -v7, v14, v16
	v_div_fmas_f32 v7, v7, v9, v14
	v_fma_f32 v14, v23, 0, -v22
	s_delay_alu instid0(VALU_DEP_2) | instskip(SKIP_1) | instid1(VALU_DEP_1)
	v_div_fixup_f32 v5, v7, v5, 1.0
	v_fma_f32 v7, 0, v22, v23
	v_dual_mul_f32 v9, v7, v5 :: v_dual_mul_f32 v7, v14, v5
	s_delay_alu instid0(VALU_DEP_1)
	v_mov_b32_e32 v14, v9
.LBB104_50:                             ;   in Loop: Header=BB104_20 Depth=1
	v_mov_b64_e32 v[18:19], v[8:9]
	s_delay_alu instid0(VALU_DEP_2) | instskip(NEXT) | instid1(VALU_DEP_4)
	v_mov_b64_e32 v[16:17], v[14:15]
	v_mov_b32_e32 v20, v7
	s_mov_b32 s34, 2
	s_mov_b32 s7, -1
	s_cmp_gt_i32 s34, 3
	s_mov_b32 s17, -1
	s_cbranch_scc1 .LBB104_29
.LBB104_51:                             ;   in Loop: Header=BB104_20 Depth=1
	s_cmp_eq_u32 s34, 0
	s_cselect_b32 s17, -1, 0
	s_delay_alu instid0(SALU_CYCLE_1)
	s_and_not1_b32 vcc_lo, exec_lo, s17
	s_cbranch_vccnz .LBB104_30
.LBB104_52:                             ;   in Loop: Header=BB104_20 Depth=1
	s_add_nc_u64 s[28:29], s[28:29], 1
	s_delay_alu instid0(SALU_CYCLE_1)
	v_cmp_ge_i64_e64 s7, s[28:29], s[18:19]
	s_and_not1_b32 vcc_lo, exec_lo, s7
	s_cbranch_vccz .LBB104_59
.LBB104_53:                             ;   in Loop: Header=BB104_20 Depth=1
	v_mov_b32_e32 v7, v20
	v_mov_b64_e32 v[8:9], v[18:19]
	v_mov_b64_e32 v[14:15], v[16:17]
	s_sub_co_i32 s7, s28, s16
	s_delay_alu instid0(SALU_CYCLE_1) | instskip(NEXT) | instid1(SALU_CYCLE_1)
	s_and_b32 s7, s7, 63
	s_cmp_lg_u32 s7, 0
	s_cbranch_scc1 .LBB104_20
	s_branch .LBB104_17
.LBB104_54:                             ;   in Loop: Header=BB104_20 Depth=1
	s_mov_b32 s17, 0
	s_branch .LBB104_56
.LBB104_55:                             ;   in Loop: Header=BB104_56 Depth=2
	global_load_b32 v5, v4, s[34:35] scope:SCOPE_DEV
	s_cmp_lt_u32 s17, 0xf43
	s_cselect_b32 s33, -1, 0
	s_delay_alu instid0(SALU_CYCLE_1)
	s_cmp_lg_u32 s33, 0
	s_add_co_ci_u32 s17, s17, 0
	s_wait_loadcnt 0x0
	v_cmp_ne_u32_e32 vcc_lo, 0, v5
	s_cbranch_vccnz .LBB104_45
.LBB104_56:                             ;   Parent Loop BB104_20 Depth=1
                                        ; =>  This Loop Header: Depth=2
                                        ;       Child Loop BB104_57 Depth 3
	s_cmp_eq_u32 s17, 0
	s_mov_b32 s33, s17
	s_cbranch_scc1 .LBB104_55
.LBB104_57:                             ;   Parent Loop BB104_20 Depth=1
                                        ;     Parent Loop BB104_56 Depth=2
                                        ; =>    This Inner Loop Header: Depth=3
	s_add_co_i32 s33, s33, -1
	s_sleep 1
	s_cmp_eq_u32 s33, 0
	s_cbranch_scc0 .LBB104_57
	s_branch .LBB104_55
.LBB104_58:
	v_mov_b64_e32 v[16:17], v[14:15]
	v_mov_b64_e32 v[18:19], v[8:9]
	s_and_saveexec_b32 s0, s2
	s_cbranch_execnz .LBB104_60
	s_branch .LBB104_61
.LBB104_59:
	v_dual_mov_b32 v4, v18 :: v_dual_mov_b32 v5, v17
	s_and_saveexec_b32 s0, s2
	s_cbranch_execz .LBB104_61
.LBB104_60:
	s_delay_alu instid0(VALU_DEP_1) | instskip(NEXT) | instid1(VALU_DEP_3)
	v_xor_b32_e32 v7, 0x80000000, v18
	v_mov_b32_e32 v6, v17
	s_cmp_eq_u32 s6, 0
	v_lshl_add_u64 v[2:3], s[22:23], 3, v[2:3]
	s_cselect_b32 vcc_lo, -1, 0
	s_delay_alu instid0(VALU_DEP_2) | instskip(NEXT) | instid1(VALU_DEP_1)
	v_pk_mul_f32 v[6:7], v[20:21], v[6:7] op_sel_hi:[0,1]
	v_pk_fma_f32 v[6:7], v[18:19], v[16:17], v[6:7]
	s_delay_alu instid0(VALU_DEP_1)
	v_dual_cndmask_b32 v9, v4, v6 :: v_dual_cndmask_b32 v8, v5, v7
	global_store_b64 v[2:3], v[8:9], off
.LBB104_61:
	s_wait_xcnt 0x0
	s_or_b32 exec_lo, exec_lo, s0
	global_wb scope:SCOPE_DEV
	s_wait_loadcnt 0x0
	s_wait_storecnt 0x0
	global_inv scope:SCOPE_DEV
	s_wait_loadcnt 0x0
	s_barrier_signal -1
	s_barrier_wait -1
	s_mov_b32 s0, exec_lo
	v_cmpx_eq_u32_e32 0, v0
	s_cbranch_execz .LBB104_63
; %bb.62:
	s_lshl_b64 s[0:1], s[20:21], 2
	v_dual_mov_b32 v0, 0 :: v_dual_mov_b32 v1, 1
	s_add_nc_u64 s[0:1], s[14:15], s[0:1]
	s_lshl_b64 s[2:3], s[12:13], 2
	s_delay_alu instid0(SALU_CYCLE_1)
	s_add_nc_u64 s[0:1], s[0:1], s[2:3]
	global_store_b32 v0, v1, s[0:1] scope:SCOPE_DEV
.LBB104_63:
	s_endpgm
.LBB104_64:
                                        ; implicit-def: $sgpr22_sgpr23
	s_clause 0x1
	s_load_b64 s[10:11], s[0:1], 0x50
	s_load_b64 s[16:17], s[0:1], 0x20
	s_branch .LBB104_6
	.section	.rodata,"a",@progbits
	.p2align	6, 0x0
	.amdhsa_kernel _ZN9rocsparseL5csrsmILj64ELj64ELb1Ell21rocsparse_complex_numIfEEEv20rocsparse_operation_T3_S4_NS_24const_host_device_scalarIT4_EEPKT2_PKS4_PKS6_PS6_lPiSC_PS4_21rocsparse_index_base_20rocsparse_fill_mode_20rocsparse_diag_type_b
		.amdhsa_group_segment_fixed_size 1024
		.amdhsa_private_segment_fixed_size 0
		.amdhsa_kernarg_size 112
		.amdhsa_user_sgpr_count 2
		.amdhsa_user_sgpr_dispatch_ptr 0
		.amdhsa_user_sgpr_queue_ptr 0
		.amdhsa_user_sgpr_kernarg_segment_ptr 1
		.amdhsa_user_sgpr_dispatch_id 0
		.amdhsa_user_sgpr_kernarg_preload_length 0
		.amdhsa_user_sgpr_kernarg_preload_offset 0
		.amdhsa_user_sgpr_private_segment_size 0
		.amdhsa_wavefront_size32 1
		.amdhsa_uses_dynamic_stack 0
		.amdhsa_enable_private_segment 0
		.amdhsa_system_sgpr_workgroup_id_x 1
		.amdhsa_system_sgpr_workgroup_id_y 0
		.amdhsa_system_sgpr_workgroup_id_z 0
		.amdhsa_system_sgpr_workgroup_info 0
		.amdhsa_system_vgpr_workitem_id 0
		.amdhsa_next_free_vgpr 26
		.amdhsa_next_free_sgpr 37
		.amdhsa_named_barrier_count 0
		.amdhsa_reserve_vcc 1
		.amdhsa_float_round_mode_32 0
		.amdhsa_float_round_mode_16_64 0
		.amdhsa_float_denorm_mode_32 3
		.amdhsa_float_denorm_mode_16_64 3
		.amdhsa_fp16_overflow 0
		.amdhsa_memory_ordered 1
		.amdhsa_forward_progress 1
		.amdhsa_inst_pref_size 22
		.amdhsa_round_robin_scheduling 0
		.amdhsa_exception_fp_ieee_invalid_op 0
		.amdhsa_exception_fp_denorm_src 0
		.amdhsa_exception_fp_ieee_div_zero 0
		.amdhsa_exception_fp_ieee_overflow 0
		.amdhsa_exception_fp_ieee_underflow 0
		.amdhsa_exception_fp_ieee_inexact 0
		.amdhsa_exception_int_div_zero 0
	.end_amdhsa_kernel
	.section	.text._ZN9rocsparseL5csrsmILj64ELj64ELb1Ell21rocsparse_complex_numIfEEEv20rocsparse_operation_T3_S4_NS_24const_host_device_scalarIT4_EEPKT2_PKS4_PKS6_PS6_lPiSC_PS4_21rocsparse_index_base_20rocsparse_fill_mode_20rocsparse_diag_type_b,"axG",@progbits,_ZN9rocsparseL5csrsmILj64ELj64ELb1Ell21rocsparse_complex_numIfEEEv20rocsparse_operation_T3_S4_NS_24const_host_device_scalarIT4_EEPKT2_PKS4_PKS6_PS6_lPiSC_PS4_21rocsparse_index_base_20rocsparse_fill_mode_20rocsparse_diag_type_b,comdat
.Lfunc_end104:
	.size	_ZN9rocsparseL5csrsmILj64ELj64ELb1Ell21rocsparse_complex_numIfEEEv20rocsparse_operation_T3_S4_NS_24const_host_device_scalarIT4_EEPKT2_PKS4_PKS6_PS6_lPiSC_PS4_21rocsparse_index_base_20rocsparse_fill_mode_20rocsparse_diag_type_b, .Lfunc_end104-_ZN9rocsparseL5csrsmILj64ELj64ELb1Ell21rocsparse_complex_numIfEEEv20rocsparse_operation_T3_S4_NS_24const_host_device_scalarIT4_EEPKT2_PKS4_PKS6_PS6_lPiSC_PS4_21rocsparse_index_base_20rocsparse_fill_mode_20rocsparse_diag_type_b
                                        ; -- End function
	.set _ZN9rocsparseL5csrsmILj64ELj64ELb1Ell21rocsparse_complex_numIfEEEv20rocsparse_operation_T3_S4_NS_24const_host_device_scalarIT4_EEPKT2_PKS4_PKS6_PS6_lPiSC_PS4_21rocsparse_index_base_20rocsparse_fill_mode_20rocsparse_diag_type_b.num_vgpr, 26
	.set _ZN9rocsparseL5csrsmILj64ELj64ELb1Ell21rocsparse_complex_numIfEEEv20rocsparse_operation_T3_S4_NS_24const_host_device_scalarIT4_EEPKT2_PKS4_PKS6_PS6_lPiSC_PS4_21rocsparse_index_base_20rocsparse_fill_mode_20rocsparse_diag_type_b.num_agpr, 0
	.set _ZN9rocsparseL5csrsmILj64ELj64ELb1Ell21rocsparse_complex_numIfEEEv20rocsparse_operation_T3_S4_NS_24const_host_device_scalarIT4_EEPKT2_PKS4_PKS6_PS6_lPiSC_PS4_21rocsparse_index_base_20rocsparse_fill_mode_20rocsparse_diag_type_b.numbered_sgpr, 37
	.set _ZN9rocsparseL5csrsmILj64ELj64ELb1Ell21rocsparse_complex_numIfEEEv20rocsparse_operation_T3_S4_NS_24const_host_device_scalarIT4_EEPKT2_PKS4_PKS6_PS6_lPiSC_PS4_21rocsparse_index_base_20rocsparse_fill_mode_20rocsparse_diag_type_b.num_named_barrier, 0
	.set _ZN9rocsparseL5csrsmILj64ELj64ELb1Ell21rocsparse_complex_numIfEEEv20rocsparse_operation_T3_S4_NS_24const_host_device_scalarIT4_EEPKT2_PKS4_PKS6_PS6_lPiSC_PS4_21rocsparse_index_base_20rocsparse_fill_mode_20rocsparse_diag_type_b.private_seg_size, 0
	.set _ZN9rocsparseL5csrsmILj64ELj64ELb1Ell21rocsparse_complex_numIfEEEv20rocsparse_operation_T3_S4_NS_24const_host_device_scalarIT4_EEPKT2_PKS4_PKS6_PS6_lPiSC_PS4_21rocsparse_index_base_20rocsparse_fill_mode_20rocsparse_diag_type_b.uses_vcc, 1
	.set _ZN9rocsparseL5csrsmILj64ELj64ELb1Ell21rocsparse_complex_numIfEEEv20rocsparse_operation_T3_S4_NS_24const_host_device_scalarIT4_EEPKT2_PKS4_PKS6_PS6_lPiSC_PS4_21rocsparse_index_base_20rocsparse_fill_mode_20rocsparse_diag_type_b.uses_flat_scratch, 0
	.set _ZN9rocsparseL5csrsmILj64ELj64ELb1Ell21rocsparse_complex_numIfEEEv20rocsparse_operation_T3_S4_NS_24const_host_device_scalarIT4_EEPKT2_PKS4_PKS6_PS6_lPiSC_PS4_21rocsparse_index_base_20rocsparse_fill_mode_20rocsparse_diag_type_b.has_dyn_sized_stack, 0
	.set _ZN9rocsparseL5csrsmILj64ELj64ELb1Ell21rocsparse_complex_numIfEEEv20rocsparse_operation_T3_S4_NS_24const_host_device_scalarIT4_EEPKT2_PKS4_PKS6_PS6_lPiSC_PS4_21rocsparse_index_base_20rocsparse_fill_mode_20rocsparse_diag_type_b.has_recursion, 0
	.set _ZN9rocsparseL5csrsmILj64ELj64ELb1Ell21rocsparse_complex_numIfEEEv20rocsparse_operation_T3_S4_NS_24const_host_device_scalarIT4_EEPKT2_PKS4_PKS6_PS6_lPiSC_PS4_21rocsparse_index_base_20rocsparse_fill_mode_20rocsparse_diag_type_b.has_indirect_call, 0
	.section	.AMDGPU.csdata,"",@progbits
; Kernel info:
; codeLenInByte = 2780
; TotalNumSgprs: 39
; NumVgprs: 26
; ScratchSize: 0
; MemoryBound: 0
; FloatMode: 240
; IeeeMode: 1
; LDSByteSize: 1024 bytes/workgroup (compile time only)
; SGPRBlocks: 0
; VGPRBlocks: 1
; NumSGPRsForWavesPerEU: 39
; NumVGPRsForWavesPerEU: 26
; NamedBarCnt: 0
; Occupancy: 16
; WaveLimiterHint : 1
; COMPUTE_PGM_RSRC2:SCRATCH_EN: 0
; COMPUTE_PGM_RSRC2:USER_SGPR: 2
; COMPUTE_PGM_RSRC2:TRAP_HANDLER: 0
; COMPUTE_PGM_RSRC2:TGID_X_EN: 1
; COMPUTE_PGM_RSRC2:TGID_Y_EN: 0
; COMPUTE_PGM_RSRC2:TGID_Z_EN: 0
; COMPUTE_PGM_RSRC2:TIDIG_COMP_CNT: 0
	.section	.text._ZN9rocsparseL5csrsmILj64ELj64ELb0Ell21rocsparse_complex_numIfEEEv20rocsparse_operation_T3_S4_NS_24const_host_device_scalarIT4_EEPKT2_PKS4_PKS6_PS6_lPiSC_PS4_21rocsparse_index_base_20rocsparse_fill_mode_20rocsparse_diag_type_b,"axG",@progbits,_ZN9rocsparseL5csrsmILj64ELj64ELb0Ell21rocsparse_complex_numIfEEEv20rocsparse_operation_T3_S4_NS_24const_host_device_scalarIT4_EEPKT2_PKS4_PKS6_PS6_lPiSC_PS4_21rocsparse_index_base_20rocsparse_fill_mode_20rocsparse_diag_type_b,comdat
	.globl	_ZN9rocsparseL5csrsmILj64ELj64ELb0Ell21rocsparse_complex_numIfEEEv20rocsparse_operation_T3_S4_NS_24const_host_device_scalarIT4_EEPKT2_PKS4_PKS6_PS6_lPiSC_PS4_21rocsparse_index_base_20rocsparse_fill_mode_20rocsparse_diag_type_b ; -- Begin function _ZN9rocsparseL5csrsmILj64ELj64ELb0Ell21rocsparse_complex_numIfEEEv20rocsparse_operation_T3_S4_NS_24const_host_device_scalarIT4_EEPKT2_PKS4_PKS6_PS6_lPiSC_PS4_21rocsparse_index_base_20rocsparse_fill_mode_20rocsparse_diag_type_b
	.p2align	8
	.type	_ZN9rocsparseL5csrsmILj64ELj64ELb0Ell21rocsparse_complex_numIfEEEv20rocsparse_operation_T3_S4_NS_24const_host_device_scalarIT4_EEPKT2_PKS4_PKS6_PS6_lPiSC_PS4_21rocsparse_index_base_20rocsparse_fill_mode_20rocsparse_diag_type_b,@function
_ZN9rocsparseL5csrsmILj64ELj64ELb0Ell21rocsparse_complex_numIfEEEv20rocsparse_operation_T3_S4_NS_24const_host_device_scalarIT4_EEPKT2_PKS4_PKS6_PS6_lPiSC_PS4_21rocsparse_index_base_20rocsparse_fill_mode_20rocsparse_diag_type_b: ; @_ZN9rocsparseL5csrsmILj64ELj64ELb0Ell21rocsparse_complex_numIfEEEv20rocsparse_operation_T3_S4_NS_24const_host_device_scalarIT4_EEPKT2_PKS4_PKS6_PS6_lPiSC_PS4_21rocsparse_index_base_20rocsparse_fill_mode_20rocsparse_diag_type_b
; %bb.0:
	s_clause 0x2
	s_load_b128 s[4:7], s[0:1], 0x60
	s_load_b64 s[2:3], s[0:1], 0x18
	s_load_b128 s[12:15], s[0:1], 0x8
	s_wait_kmcnt 0x0
	s_bitcmp1_b32 s7, 0
	s_mov_b32 s25, s2
	s_cselect_b32 s8, -1, 0
	s_delay_alu instid0(SALU_CYCLE_1)
	s_xor_b32 s7, s8, -1
	s_and_b32 vcc_lo, exec_lo, s8
	s_cbranch_vccnz .LBB105_2
; %bb.1:
	s_load_b32 s25, s[2:3], 0x0
.LBB105_2:
	s_and_not1_b32 vcc_lo, exec_lo, s7
	s_cbranch_vccnz .LBB105_4
; %bb.3:
	s_wait_xcnt 0x0
	s_load_b32 s3, s[2:3], 0x4
.LBB105_4:
	s_wait_xcnt 0x0
	s_bfe_u32 s2, ttmp6, 0x4000c
	s_and_b32 s7, ttmp6, 15
	s_add_co_i32 s2, s2, 1
	s_getreg_b32 s8, hwreg(HW_REG_IB_STS2, 6, 4)
	s_mul_i32 s2, ttmp9, s2
	s_mov_b32 s9, 0
	s_add_co_i32 s7, s7, s2
	s_cmp_eq_u32 s8, 0
	s_cselect_b32 s8, ttmp9, s7
	s_and_b64 s[10:11], s[12:13], 0xffffffff00000000
	s_delay_alu instid0(SALU_CYCLE_1)
	s_cmp_lg_u64 s[10:11], 0
	s_cbranch_scc0 .LBB105_61
; %bb.5:
	s_ashr_i32 s10, s13, 31
	s_mov_b32 s23, s9
	s_mov_b32 s11, s10
	;; [unrolled: 1-line block ×3, first 2 shown]
	s_add_nc_u64 s[16:17], s[12:13], s[10:11]
	s_delay_alu instid0(SALU_CYCLE_1) | instskip(NEXT) | instid1(SALU_CYCLE_1)
	s_xor_b64 s[16:17], s[16:17], s[10:11]
	s_cvt_f32_u32 s2, s16
	s_cvt_f32_u32 s7, s17
	s_sub_nc_u64 s[20:21], 0, s[16:17]
	s_delay_alu instid0(SALU_CYCLE_2) | instskip(NEXT) | instid1(SALU_CYCLE_3)
	s_fmamk_f32 s2, s7, 0x4f800000, s2
	v_s_rcp_f32 s2, s2
	s_delay_alu instid0(TRANS32_DEP_1) | instskip(NEXT) | instid1(SALU_CYCLE_3)
	s_mul_f32 s2, s2, 0x5f7ffffc
	s_mul_f32 s7, s2, 0x2f800000
	s_delay_alu instid0(SALU_CYCLE_3) | instskip(NEXT) | instid1(SALU_CYCLE_3)
	s_trunc_f32 s7, s7
	s_fmamk_f32 s2, s7, 0xcf800000, s2
	s_cvt_u32_f32 s19, s7
	s_delay_alu instid0(SALU_CYCLE_2) | instskip(NEXT) | instid1(SALU_CYCLE_3)
	s_cvt_u32_f32 s18, s2
	s_mul_u64 s[26:27], s[20:21], s[18:19]
	s_delay_alu instid0(SALU_CYCLE_1)
	s_mul_hi_u32 s31, s18, s27
	s_mul_i32 s30, s18, s27
	s_mul_hi_u32 s22, s18, s26
	s_mul_i32 s7, s19, s26
	s_add_nc_u64 s[22:23], s[22:23], s[30:31]
	s_mul_hi_u32 s2, s19, s26
	s_mul_hi_u32 s24, s19, s27
	s_add_co_u32 s7, s22, s7
	s_add_co_ci_u32 s28, s23, s2
	s_mul_i32 s26, s19, s27
	s_add_co_ci_u32 s27, s24, 0
	s_delay_alu instid0(SALU_CYCLE_1) | instskip(SKIP_3) | instid1(SALU_CYCLE_1)
	s_add_nc_u64 s[22:23], s[28:29], s[26:27]
	s_mov_b32 s27, s9
	s_add_co_u32 s18, s18, s22
	s_cselect_b32 s2, -1, 0
	s_cmp_lg_u32 s2, 0
	s_add_co_ci_u32 s19, s19, s23
	s_mov_b32 s23, s9
	s_mul_u64 s[20:21], s[20:21], s[18:19]
	s_delay_alu instid0(SALU_CYCLE_1)
	s_mul_hi_u32 s29, s18, s21
	s_mul_i32 s28, s18, s21
	s_mul_hi_u32 s22, s18, s20
	s_mul_i32 s7, s19, s20
	s_add_nc_u64 s[22:23], s[22:23], s[28:29]
	s_mul_hi_u32 s2, s19, s20
	s_mul_hi_u32 s24, s19, s21
	s_add_co_u32 s7, s22, s7
	s_add_co_ci_u32 s26, s23, s2
	s_mul_i32 s20, s19, s21
	s_add_co_ci_u32 s21, s24, 0
	s_add_nc_u64 s[22:23], s[8:9], 0
	s_add_nc_u64 s[20:21], s[26:27], s[20:21]
	s_delay_alu instid0(SALU_CYCLE_1) | instskip(SKIP_1) | instid1(SALU_CYCLE_1)
	s_add_co_u32 s2, s18, s20
	s_cselect_b32 s7, -1, 0
	s_cmp_lg_u32 s7, 0
	s_add_co_ci_u32 s7, s19, s21
	s_xor_b64 s[18:19], s[22:23], 0
	s_mov_b32 s21, s9
	s_mul_hi_u32 s23, s18, s7
	s_mul_i32 s22, s18, s7
	s_mul_hi_u32 s26, s18, s2
	s_mul_hi_u32 s20, s19, s2
	s_mul_i32 s2, s19, s2
	s_add_nc_u64 s[22:23], s[26:27], s[22:23]
	s_mul_hi_u32 s24, s19, s7
	s_add_co_u32 s2, s22, s2
	s_add_co_ci_u32 s20, s23, s20
	s_mul_i32 s26, s19, s7
	s_add_co_ci_u32 s27, s24, 0
	s_delay_alu instid0(SALU_CYCLE_1) | instskip(NEXT) | instid1(SALU_CYCLE_1)
	s_add_nc_u64 s[20:21], s[20:21], s[26:27]
	s_and_b64 s[22:23], s[20:21], 0xffffffff00000000
	s_delay_alu instid0(SALU_CYCLE_1) | instskip(NEXT) | instid1(SALU_CYCLE_1)
	s_or_b32 s22, s22, s20
	s_mul_u64 s[20:21], s[16:17], s[22:23]
	s_add_nc_u64 s[26:27], s[22:23], 1
	s_sub_co_u32 s2, s18, s20
	s_cselect_b32 s7, -1, 0
	s_sub_co_i32 s18, s19, s21
	s_cmp_lg_u32 s7, 0
	s_add_nc_u64 s[28:29], s[22:23], 2
	s_sub_co_ci_u32 s18, s18, s17
	s_sub_co_u32 s20, s2, s16
	s_cselect_b32 s24, -1, 0
	s_delay_alu instid0(SALU_CYCLE_1) | instskip(SKIP_1) | instid1(SALU_CYCLE_1)
	s_cmp_lg_u32 s24, 0
	s_sub_co_ci_u32 s18, s18, 0
	s_cmp_ge_u32 s18, s17
	s_cselect_b32 s24, -1, 0
	s_cmp_ge_u32 s20, s16
	s_cselect_b32 s20, -1, 0
	s_cmp_eq_u32 s18, s17
	s_cselect_b32 s18, s20, s24
	s_delay_alu instid0(SALU_CYCLE_1) | instskip(SKIP_4) | instid1(SALU_CYCLE_1)
	s_cmp_lg_u32 s18, 0
	s_cselect_b32 s18, s28, s26
	s_cselect_b32 s20, s29, s27
	s_cmp_lg_u32 s7, 0
	s_sub_co_ci_u32 s7, s19, s21
	s_cmp_ge_u32 s7, s17
	s_cselect_b32 s19, -1, 0
	s_cmp_ge_u32 s2, s16
	s_cselect_b32 s2, -1, 0
	s_cmp_eq_u32 s7, s17
	s_cselect_b32 s2, s2, s19
	s_delay_alu instid0(SALU_CYCLE_1) | instskip(SKIP_4) | instid1(SALU_CYCLE_1)
	s_cmp_lg_u32 s2, 0
	s_mov_b32 s2, s9
	s_cselect_b32 s17, s20, s23
	s_cselect_b32 s16, s18, s22
	s_xor_b64 s[10:11], 0, s[10:11]
	s_xor_b64 s[16:17], s[16:17], s[10:11]
	s_delay_alu instid0(SALU_CYCLE_1)
	s_sub_nc_u64 s[22:23], s[16:17], s[10:11]
	s_clause 0x1
	s_load_b64 s[10:11], s[0:1], 0x50
	s_load_b64 s[16:17], s[0:1], 0x20
	s_and_not1_b32 vcc_lo, exec_lo, s2
	s_cbranch_vccnz .LBB105_7
.LBB105_6:
	v_cvt_f32_u32_e32 v1, s12
	s_sub_co_i32 s7, 0, s12
	s_mov_b32 s23, 0
	s_delay_alu instid0(VALU_DEP_1) | instskip(SKIP_1) | instid1(TRANS32_DEP_1)
	v_rcp_iflag_f32_e32 v1, v1
	v_nop
	v_mul_f32_e32 v1, 0x4f7ffffe, v1
	s_delay_alu instid0(VALU_DEP_1) | instskip(NEXT) | instid1(VALU_DEP_1)
	v_cvt_u32_f32_e32 v1, v1
	v_readfirstlane_b32 s2, v1
	s_mul_i32 s7, s7, s2
	s_delay_alu instid0(SALU_CYCLE_1) | instskip(NEXT) | instid1(SALU_CYCLE_1)
	s_mul_hi_u32 s7, s2, s7
	s_add_co_i32 s2, s2, s7
	s_delay_alu instid0(SALU_CYCLE_1) | instskip(NEXT) | instid1(SALU_CYCLE_1)
	s_mul_hi_u32 s2, s8, s2
	s_mul_i32 s7, s2, s12
	s_add_co_i32 s18, s2, 1
	s_sub_co_i32 s7, s8, s7
	s_delay_alu instid0(SALU_CYCLE_1)
	s_sub_co_i32 s19, s7, s12
	s_cmp_ge_u32 s7, s12
	s_cselect_b32 s2, s18, s2
	s_cselect_b32 s7, s19, s7
	s_add_co_i32 s18, s2, 1
	s_cmp_ge_u32 s7, s12
	s_cselect_b32 s22, s18, s2
.LBB105_7:
	s_delay_alu instid0(SALU_CYCLE_1)
	s_mul_u64 s[12:13], s[22:23], s[12:13]
	s_load_b32 s7, s[0:1], 0x0
	s_sub_nc_u64 s[8:9], s[8:9], s[12:13]
	s_lshl_b64 s[22:23], s[22:23], 6
	s_lshl_b64 s[8:9], s[8:9], 3
	v_dual_mov_b32 v3, s23 :: v_dual_bitop2_b32 v2, s22, v0 bitop3:0x54
	s_wait_kmcnt 0x0
	s_add_nc_u64 s[18:19], s[10:11], s[8:9]
	s_load_b64 s[20:21], s[18:19], 0x0
	s_load_b128 s[8:11], s[0:1], 0x38
	v_mov_b32_e32 v1, 0
	v_cmp_gt_i64_e64 s2, s[14:15], v[2:3]
	s_wait_kmcnt 0x0
	s_lshl_b64 s[18:19], s[20:21], 3
	s_mul_u64 s[22:23], s[20:21], s[10:11]
	s_add_nc_u64 s[26:27], s[16:17], s[18:19]
	v_add_nc_u64_e32 v[6:7], s[22:23], v[2:3]
	s_load_b128 s[16:19], s[26:27], 0x0
	s_cmp_lg_u32 s7, 0x71
	s_cbranch_scc0 .LBB105_11
; %bb.8:
	v_mov_b64_e32 v[4:5], 0
	s_and_saveexec_b32 s7, s2
	s_cbranch_execz .LBB105_10
; %bb.9:
	v_lshl_add_u64 v[4:5], v[6:7], 3, s[8:9]
	s_xor_b32 s14, s3, 0x80000000
	s_delay_alu instid0(SALU_CYCLE_1) | instskip(SKIP_4) | instid1(VALU_DEP_1)
	v_dual_mov_b32 v9, s25 :: v_dual_mov_b32 v11, s14
	v_dual_mov_b32 v10, s25 :: v_dual_mov_b32 v8, s3
	global_load_b64 v[4:5], v[4:5], off
	s_wait_loadcnt 0x0
	v_pk_mul_f32 v[10:11], v[4:5], v[10:11] op_sel:[1,0]
	v_pk_fma_f32 v[4:5], v[8:9], v[4:5], v[10:11] op_sel_hi:[1,0,1]
.LBB105_10:
	s_or_b32 exec_lo, exec_lo, s7
	s_cbranch_execz .LBB105_12
	s_branch .LBB105_15
.LBB105_11:
                                        ; implicit-def: $vgpr4_vgpr5
.LBB105_12:
	v_mov_b64_e32 v[4:5], 0
	s_and_saveexec_b32 s7, s2
	s_cbranch_execz .LBB105_14
; %bb.13:
	v_lshl_add_u64 v[4:5], v[6:7], 3, s[8:9]
	s_mov_b32 s24, s3
	s_delay_alu instid0(SALU_CYCLE_1) | instskip(SKIP_3) | instid1(VALU_DEP_1)
	v_mov_b64_e32 v[6:7], s[24:25]
	global_load_b64 v[4:5], v[4:5], off
	s_wait_loadcnt 0x0
	v_pk_mul_f32 v[8:9], v[4:5], v[6:7] op_sel:[1,0] neg_hi:[1,0]
	v_pk_fma_f32 v[4:5], v[6:7], v[4:5], v[8:9] op_sel:[0,0,1] op_sel_hi:[1,0,0]
.LBB105_14:
	s_or_b32 exec_lo, exec_lo, s7
.LBB105_15:
	s_load_b64 s[14:15], s[0:1], 0x48
	s_wait_kmcnt 0x0
	v_cmp_ge_i64_e64 s3, s[16:17], s[18:19]
	v_dual_mov_b32 v9, 1.0 :: v_dual_mov_b32 v8, v4
	v_lshl_add_u64 v[2:3], v[2:3], 3, s[8:9]
	v_dual_mov_b32 v15, v5 :: v_dual_mov_b32 v20, 0
	s_delay_alu instid0(VALU_DEP_3)
	v_mov_b32_e32 v14, v9
	s_and_b32 vcc_lo, exec_lo, s3
	v_cmp_eq_u32_e64 s3, 0, v0
	s_cbranch_vccnz .LBB105_55
; %bb.16:
	s_clause 0x1
	s_load_b128 s[28:31], s[0:1], 0x28
	s_load_b64 s[8:9], s[0:1], 0x58
	v_dual_mov_b32 v4, 0 :: v_dual_lshlrev_b32 v6, 3, v0
	s_wait_xcnt 0x0
	s_mov_b32 s1, 0
	s_mov_b32 s0, s4
	s_lshl_b64 s[24:25], s[12:13], 2
	v_mov_b32_e32 v7, v4
	v_or_b32_e32 v21, 0x200, v6
	s_cmp_eq_u32 s6, 0
	s_sub_nc_u64 s[16:17], s[16:17], s[0:1]
	s_add_nc_u64 s[24:25], s[14:15], s[24:25]
	s_cselect_b32 s4, -1, 0
	s_sub_nc_u64 s[18:19], s[18:19], s[0:1]
	s_add_nc_u64 s[26:27], s[20:21], s[0:1]
	s_wait_kmcnt 0x0
	v_add_nc_u64_e32 v[10:11], s[28:29], v[6:7]
	v_add_nc_u64_e32 v[12:13], s[30:31], v[6:7]
	v_mov_b32_e32 v7, 0
	s_mov_b64 s[28:29], s[16:17]
	s_delay_alu instid0(SALU_CYCLE_1) | instskip(NEXT) | instid1(SALU_CYCLE_1)
	s_sub_co_i32 s7, s28, s16
	s_and_b32 s7, s7, 63
	s_delay_alu instid0(SALU_CYCLE_1)
	s_cmp_lg_u32 s7, 0
	s_cbranch_scc1 .LBB105_20
.LBB105_17:
	v_mov_b64_e32 v[18:19], -1
	v_dual_mov_b32 v17, 0 :: v_dual_mov_b32 v16, -1.0
	s_sub_nc_u64 s[30:31], s[18:19], s[28:29]
	s_mov_b32 s17, exec_lo
	v_cmpx_gt_i64_e64 s[30:31], v[0:1]
	s_cbranch_execz .LBB105_19
; %bb.18:
	s_lshl_b64 s[30:31], s[28:29], 3
	s_delay_alu instid0(SALU_CYCLE_1)
	v_add_nc_u64_e32 v[16:17], s[30:31], v[10:11]
	global_load_b64 v[18:19], v[16:17], off
	s_wait_xcnt 0x0
	v_add_nc_u64_e32 v[16:17], s[30:31], v[12:13]
	global_load_b64 v[16:17], v[16:17], off
	s_wait_loadcnt 0x1
	v_sub_nc_u64_e64 v[18:19], v[18:19], s[0:1]
.LBB105_19:
	s_wait_xcnt 0x0
	s_or_b32 exec_lo, exec_lo, s17
	ds_store_b64 v6, v[18:19]
	s_wait_loadcnt 0x0
	ds_store_b64 v21, v[16:17]
.LBB105_20:                             ; =>This Loop Header: Depth=1
                                        ;     Child Loop BB105_45 Depth 2
	s_lshl_b32 s7, s7, 3
	s_wait_dscnt 0x0
	v_mov_b32_e32 v5, s7
	s_barrier_signal -1
	s_barrier_wait -1
	ds_load_2addr_stride64_b64 v[16:19], v5 offset1:1
	s_wait_dscnt 0x0
	v_readfirstlane_b32 s7, v18
	v_readfirstlane_b32 s33, v19
	;; [unrolled: 1-line block ×4, first 2 shown]
	s_cmp_eq_f32 s7, 0
	s_cselect_b32 s17, -1, 0
	s_cmp_eq_f32 s33, 0
	s_cselect_b32 s34, -1, 0
	s_delay_alu instid0(SALU_CYCLE_1)
	s_and_b32 s35, s17, s34
	s_cmp_eq_u64 s[30:31], s[20:21]
	s_cselect_b32 s34, -1, 0
	s_cmp_lg_u64 s[30:31], s[20:21]
	s_cselect_b32 s17, -1, 0
	s_and_b32 s35, s35, s34
	s_delay_alu instid0(SALU_CYCLE_1) | instskip(NEXT) | instid1(SALU_CYCLE_1)
	s_and_b32 s35, s4, s35
	s_and_b32 s36, s3, s35
	s_and_b32 s35, s35, exec_lo
	s_cselect_b32 s33, 0, s33
	s_cselect_b32 s7, 1.0, s7
	s_delay_alu instid0(SALU_CYCLE_1)
	v_dual_mov_b32 v22, s33 :: v_dual_mov_b32 v23, s7
	s_and_saveexec_b32 s7, s36
	s_cbranch_execz .LBB105_24
; %bb.21:                               ;   in Loop: Header=BB105_20 Depth=1
	v_mbcnt_lo_u32_b32 v5, exec_lo, 0
	s_mov_b32 s33, exec_lo
	s_delay_alu instid0(VALU_DEP_1)
	v_cmpx_eq_u32_e32 0, v5
	s_cbranch_execz .LBB105_23
; %bb.22:                               ;   in Loop: Header=BB105_20 Depth=1
	v_mov_b64_e32 v[16:17], s[26:27]
	global_atomic_min_u64 v4, v[16:17], s[8:9] scope:SCOPE_DEV
.LBB105_23:                             ;   in Loop: Header=BB105_20 Depth=1
	s_wait_xcnt 0x0
	s_or_b32 exec_lo, exec_lo, s33
	v_dual_mov_b32 v23, 1.0 :: v_dual_mov_b32 v22, 0
.LBB105_24:                             ;   in Loop: Header=BB105_20 Depth=1
	s_or_b32 exec_lo, exec_lo, s7
	s_mov_b32 s35, -1
	s_mov_b32 s7, 0
	s_cmp_lt_i32 s5, 1
	s_mov_b32 s33, 0
                                        ; implicit-def: $vgpr16_vgpr17
                                        ; implicit-def: $vgpr18_vgpr19
                                        ; implicit-def: $vgpr20
	s_cbranch_scc0 .LBB105_31
; %bb.25:                               ;   in Loop: Header=BB105_20 Depth=1
	s_and_b32 vcc_lo, exec_lo, s35
	s_mov_b32 s34, 4
	s_cbranch_vccnz .LBB105_38
.LBB105_26:                             ;   in Loop: Header=BB105_20 Depth=1
	s_and_b32 vcc_lo, exec_lo, s33
	s_cbranch_vccnz .LBB105_43
.LBB105_27:                             ;   in Loop: Header=BB105_20 Depth=1
	s_and_b32 vcc_lo, exec_lo, s7
	s_cbranch_vccnz .LBB105_49
.LBB105_28:                             ;   in Loop: Header=BB105_20 Depth=1
	s_mov_b32 s7, -1
	s_cmp_gt_i32 s34, 3
	s_mov_b32 s17, -1
	s_cbranch_scc0 .LBB105_52
.LBB105_29:                             ;   in Loop: Header=BB105_20 Depth=1
	s_and_not1_b32 vcc_lo, exec_lo, s17
	s_cbranch_vccz .LBB105_53
.LBB105_30:                             ;   in Loop: Header=BB105_20 Depth=1
	s_and_not1_b32 vcc_lo, exec_lo, s7
	s_cbranch_vccnz .LBB105_54
	s_branch .LBB105_56
.LBB105_31:                             ;   in Loop: Header=BB105_20 Depth=1
	s_cmp_eq_u32 s5, 1
	s_mov_b32 s33, -1
                                        ; implicit-def: $vgpr16_vgpr17
                                        ; implicit-def: $vgpr18_vgpr19
                                        ; implicit-def: $vgpr20
	s_cbranch_scc0 .LBB105_37
; %bb.32:                               ;   in Loop: Header=BB105_20 Depth=1
	v_cmp_ge_i64_e64 s33, s[30:31], s[20:21]
	v_mov_b64_e32 v[16:17], v[14:15]
	v_mov_b64_e32 v[18:19], v[8:9]
	v_mov_b32_e32 v20, v7
	s_and_b32 vcc_lo, exec_lo, s33
	s_mov_b32 s33, 0
	s_cbranch_vccz .LBB105_37
; %bb.33:                               ;   in Loop: Header=BB105_20 Depth=1
	s_and_b32 vcc_lo, exec_lo, s34
	s_mov_b32 s33, -1
                                        ; implicit-def: $vgpr16_vgpr17
                                        ; implicit-def: $vgpr18_vgpr19
                                        ; implicit-def: $vgpr20
	s_cbranch_vccz .LBB105_37
; %bb.34:                               ;   in Loop: Header=BB105_20 Depth=1
	v_mov_b64_e32 v[16:17], v[14:15]
	v_mov_b64_e32 v[18:19], v[8:9]
	v_mov_b32_e32 v20, v7
	s_and_not1_b32 vcc_lo, exec_lo, s4
	s_cbranch_vccnz .LBB105_36
; %bb.35:                               ;   in Loop: Header=BB105_20 Depth=1
	v_mul_f32_e32 v5, v22, v22
	s_delay_alu instid0(VALU_DEP_1) | instskip(NEXT) | instid1(VALU_DEP_1)
	v_fmac_f32_e32 v5, v23, v23
	v_div_scale_f32 v16, null, v5, v5, 1.0
	v_div_scale_f32 v19, vcc_lo, 1.0, v5, 1.0
	s_delay_alu instid0(VALU_DEP_2) | instskip(SKIP_1) | instid1(TRANS32_DEP_1)
	v_rcp_f32_e32 v17, v16
	v_nop
	v_fma_f32 v18, -v16, v17, 1.0
	s_delay_alu instid0(VALU_DEP_1) | instskip(NEXT) | instid1(VALU_DEP_1)
	v_fmac_f32_e32 v17, v18, v17
	v_mul_f32_e32 v18, v19, v17
	s_delay_alu instid0(VALU_DEP_1) | instskip(NEXT) | instid1(VALU_DEP_1)
	v_fma_f32 v20, -v16, v18, v19
	v_fmac_f32_e32 v18, v20, v17
	s_delay_alu instid0(VALU_DEP_1) | instskip(NEXT) | instid1(VALU_DEP_1)
	v_fma_f32 v16, -v16, v18, v19
	v_div_fmas_f32 v16, v16, v17, v18
	v_dual_fma_f32 v17, 0, v22, v23 :: v_dual_mov_b32 v18, v8
	s_delay_alu instid0(VALU_DEP_2) | instskip(SKIP_1) | instid1(VALU_DEP_1)
	v_div_fixup_f32 v5, v16, v5, 1.0
	v_fma_f32 v16, v23, 0, -v22
	v_dual_mul_f32 v19, v17, v5 :: v_dual_mul_f32 v20, v16, v5
	s_delay_alu instid0(VALU_DEP_1)
	v_dual_mov_b32 v17, v15 :: v_dual_mov_b32 v16, v19
.LBB105_36:                             ;   in Loop: Header=BB105_20 Depth=1
	s_mov_b32 s33, 0
.LBB105_37:                             ;   in Loop: Header=BB105_20 Depth=1
	s_mov_b32 s34, 4
	s_branch .LBB105_26
.LBB105_38:                             ;   in Loop: Header=BB105_20 Depth=1
	s_cmp_eq_u32 s5, 0
	s_cbranch_scc1 .LBB105_40
; %bb.39:                               ;   in Loop: Header=BB105_20 Depth=1
	s_mov_b32 s33, -1
	s_branch .LBB105_42
.LBB105_40:                             ;   in Loop: Header=BB105_20 Depth=1
	v_cmp_le_i64_e64 s33, s[30:31], s[20:21]
	s_and_b32 vcc_lo, exec_lo, s33
	s_mov_b32 s33, 0
	s_cbranch_vccz .LBB105_42
; %bb.41:                               ;   in Loop: Header=BB105_20 Depth=1
	s_mov_b32 s7, -1
	s_mov_b32 s33, s17
.LBB105_42:                             ;   in Loop: Header=BB105_20 Depth=1
	v_mov_b64_e32 v[16:17], v[14:15]
	v_mov_b64_e32 v[18:19], v[8:9]
	v_mov_b32_e32 v20, v7
	s_mov_b32 s34, 2
	s_and_b32 vcc_lo, exec_lo, s33
	s_cbranch_vccz .LBB105_27
.LBB105_43:                             ;   in Loop: Header=BB105_20 Depth=1
	s_and_saveexec_b32 s7, s3
	s_cbranch_execz .LBB105_46
; %bb.44:                               ;   in Loop: Header=BB105_20 Depth=1
	s_lshl_b64 s[34:35], s[30:31], 2
	s_delay_alu instid0(SALU_CYCLE_1)
	s_add_nc_u64 s[34:35], s[24:25], s[34:35]
	global_load_b32 v5, v4, s[34:35] scope:SCOPE_DEV
	s_wait_loadcnt 0x0
	v_cmp_ne_u32_e32 vcc_lo, 0, v5
	s_cbranch_vccnz .LBB105_46
.LBB105_45:                             ;   Parent Loop BB105_20 Depth=1
                                        ; =>  This Inner Loop Header: Depth=2
	global_load_b32 v5, v4, s[34:35] scope:SCOPE_DEV
	s_wait_loadcnt 0x0
	v_cmp_eq_u32_e32 vcc_lo, 0, v5
	s_cbranch_vccnz .LBB105_45
.LBB105_46:                             ;   in Loop: Header=BB105_20 Depth=1
	s_wait_xcnt 0x0
	s_or_b32 exec_lo, exec_lo, s7
	v_dual_mov_b32 v5, v9 :: v_dual_mov_b32 v16, v9
	v_mov_b32_e32 v17, v4
	s_wait_storecnt 0x0
	s_barrier_signal -1
	s_delay_alu instid0(VALU_DEP_2)
	v_mov_b64_e32 v[18:19], v[4:5]
	s_barrier_wait -1
	global_inv scope:SCOPE_DEV
	s_and_saveexec_b32 s7, s2
	s_cbranch_execz .LBB105_48
; %bb.47:                               ;   in Loop: Header=BB105_20 Depth=1
	s_mul_u64 s[30:31], s[30:31], s[10:11]
	s_delay_alu instid0(SALU_CYCLE_1) | instskip(SKIP_4) | instid1(VALU_DEP_2)
	v_lshl_add_u64 v[16:17], s[30:31], 3, v[2:3]
	global_load_b64 v[24:25], v[16:17], off
	s_wait_loadcnt 0x0
	v_dual_mov_b32 v16, v9 :: v_dual_fma_f32 v17, -v23, v24, v15
	v_dual_fma_f32 v5, -v22, v24, v8 :: v_dual_mov_b32 v19, v9
	v_fmac_f32_e32 v17, v22, v25
	s_delay_alu instid0(VALU_DEP_2)
	v_fma_f32 v18, -v23, v25, v5
.LBB105_48:                             ;   in Loop: Header=BB105_20 Depth=1
	s_or_b32 exec_lo, exec_lo, s7
	v_mov_b32_e32 v20, v7
	s_mov_b32 s34, 0
	s_branch .LBB105_28
.LBB105_49:                             ;   in Loop: Header=BB105_20 Depth=1
	s_and_not1_b32 vcc_lo, exec_lo, s4
	s_cbranch_vccnz .LBB105_51
; %bb.50:                               ;   in Loop: Header=BB105_20 Depth=1
	v_mul_f32_e32 v5, v22, v22
	s_delay_alu instid0(VALU_DEP_1) | instskip(NEXT) | instid1(VALU_DEP_1)
	v_fmac_f32_e32 v5, v23, v23
	v_div_scale_f32 v7, null, v5, v5, 1.0
	v_div_scale_f32 v16, vcc_lo, 1.0, v5, 1.0
	s_delay_alu instid0(VALU_DEP_2) | instskip(SKIP_1) | instid1(TRANS32_DEP_1)
	v_rcp_f32_e32 v9, v7
	v_nop
	v_fma_f32 v14, -v7, v9, 1.0
	s_delay_alu instid0(VALU_DEP_1) | instskip(NEXT) | instid1(VALU_DEP_1)
	v_fmac_f32_e32 v9, v14, v9
	v_mul_f32_e32 v14, v16, v9
	s_delay_alu instid0(VALU_DEP_1) | instskip(NEXT) | instid1(VALU_DEP_1)
	v_fma_f32 v17, -v7, v14, v16
	v_fmac_f32_e32 v14, v17, v9
	s_delay_alu instid0(VALU_DEP_1) | instskip(NEXT) | instid1(VALU_DEP_1)
	v_fma_f32 v7, -v7, v14, v16
	v_div_fmas_f32 v7, v7, v9, v14
	v_fma_f32 v14, v23, 0, -v22
	s_delay_alu instid0(VALU_DEP_2) | instskip(SKIP_1) | instid1(VALU_DEP_1)
	v_div_fixup_f32 v5, v7, v5, 1.0
	v_fma_f32 v7, 0, v22, v23
	v_dual_mul_f32 v9, v7, v5 :: v_dual_mul_f32 v7, v14, v5
	s_delay_alu instid0(VALU_DEP_1)
	v_mov_b32_e32 v14, v9
.LBB105_51:                             ;   in Loop: Header=BB105_20 Depth=1
	v_mov_b64_e32 v[18:19], v[8:9]
	s_delay_alu instid0(VALU_DEP_2) | instskip(NEXT) | instid1(VALU_DEP_4)
	v_mov_b64_e32 v[16:17], v[14:15]
	v_mov_b32_e32 v20, v7
	s_mov_b32 s34, 2
	s_mov_b32 s7, -1
	s_cmp_gt_i32 s34, 3
	s_mov_b32 s17, -1
	s_cbranch_scc1 .LBB105_29
.LBB105_52:                             ;   in Loop: Header=BB105_20 Depth=1
	s_cmp_eq_u32 s34, 0
	s_cselect_b32 s17, -1, 0
	s_delay_alu instid0(SALU_CYCLE_1)
	s_and_not1_b32 vcc_lo, exec_lo, s17
	s_cbranch_vccnz .LBB105_30
.LBB105_53:                             ;   in Loop: Header=BB105_20 Depth=1
	s_add_nc_u64 s[28:29], s[28:29], 1
	s_delay_alu instid0(SALU_CYCLE_1)
	v_cmp_ge_i64_e64 s7, s[28:29], s[18:19]
	s_and_not1_b32 vcc_lo, exec_lo, s7
	s_cbranch_vccz .LBB105_56
.LBB105_54:                             ;   in Loop: Header=BB105_20 Depth=1
	v_mov_b32_e32 v7, v20
	v_mov_b64_e32 v[8:9], v[18:19]
	v_mov_b64_e32 v[14:15], v[16:17]
	s_sub_co_i32 s7, s28, s16
	s_delay_alu instid0(SALU_CYCLE_1) | instskip(NEXT) | instid1(SALU_CYCLE_1)
	s_and_b32 s7, s7, 63
	s_cmp_lg_u32 s7, 0
	s_cbranch_scc1 .LBB105_20
	s_branch .LBB105_17
.LBB105_55:
	v_mov_b64_e32 v[16:17], v[14:15]
	v_mov_b64_e32 v[18:19], v[8:9]
	s_and_saveexec_b32 s0, s2
	s_cbranch_execnz .LBB105_57
	s_branch .LBB105_58
.LBB105_56:
	v_dual_mov_b32 v4, v18 :: v_dual_mov_b32 v5, v17
	s_and_saveexec_b32 s0, s2
	s_cbranch_execz .LBB105_58
.LBB105_57:
	s_delay_alu instid0(VALU_DEP_1) | instskip(NEXT) | instid1(VALU_DEP_3)
	v_xor_b32_e32 v7, 0x80000000, v18
	v_mov_b32_e32 v6, v17
	s_cmp_eq_u32 s6, 0
	v_lshl_add_u64 v[2:3], s[22:23], 3, v[2:3]
	s_cselect_b32 vcc_lo, -1, 0
	s_delay_alu instid0(VALU_DEP_2) | instskip(NEXT) | instid1(VALU_DEP_1)
	v_pk_mul_f32 v[6:7], v[20:21], v[6:7] op_sel_hi:[0,1]
	v_pk_fma_f32 v[6:7], v[18:19], v[16:17], v[6:7]
	s_delay_alu instid0(VALU_DEP_1)
	v_dual_cndmask_b32 v9, v4, v6 :: v_dual_cndmask_b32 v8, v5, v7
	global_store_b64 v[2:3], v[8:9], off
.LBB105_58:
	s_wait_xcnt 0x0
	s_or_b32 exec_lo, exec_lo, s0
	global_wb scope:SCOPE_DEV
	s_wait_loadcnt 0x0
	s_wait_storecnt 0x0
	global_inv scope:SCOPE_DEV
	s_wait_loadcnt 0x0
	s_barrier_signal -1
	s_barrier_wait -1
	s_mov_b32 s0, exec_lo
	v_cmpx_eq_u32_e32 0, v0
	s_cbranch_execz .LBB105_60
; %bb.59:
	s_lshl_b64 s[0:1], s[20:21], 2
	v_dual_mov_b32 v0, 0 :: v_dual_mov_b32 v1, 1
	s_add_nc_u64 s[0:1], s[14:15], s[0:1]
	s_lshl_b64 s[2:3], s[12:13], 2
	s_delay_alu instid0(SALU_CYCLE_1)
	s_add_nc_u64 s[0:1], s[0:1], s[2:3]
	global_store_b32 v0, v1, s[0:1] scope:SCOPE_DEV
.LBB105_60:
	s_endpgm
.LBB105_61:
                                        ; implicit-def: $sgpr22_sgpr23
	s_clause 0x1
	s_load_b64 s[10:11], s[0:1], 0x50
	s_load_b64 s[16:17], s[0:1], 0x20
	s_branch .LBB105_6
	.section	.rodata,"a",@progbits
	.p2align	6, 0x0
	.amdhsa_kernel _ZN9rocsparseL5csrsmILj64ELj64ELb0Ell21rocsparse_complex_numIfEEEv20rocsparse_operation_T3_S4_NS_24const_host_device_scalarIT4_EEPKT2_PKS4_PKS6_PS6_lPiSC_PS4_21rocsparse_index_base_20rocsparse_fill_mode_20rocsparse_diag_type_b
		.amdhsa_group_segment_fixed_size 1024
		.amdhsa_private_segment_fixed_size 0
		.amdhsa_kernarg_size 112
		.amdhsa_user_sgpr_count 2
		.amdhsa_user_sgpr_dispatch_ptr 0
		.amdhsa_user_sgpr_queue_ptr 0
		.amdhsa_user_sgpr_kernarg_segment_ptr 1
		.amdhsa_user_sgpr_dispatch_id 0
		.amdhsa_user_sgpr_kernarg_preload_length 0
		.amdhsa_user_sgpr_kernarg_preload_offset 0
		.amdhsa_user_sgpr_private_segment_size 0
		.amdhsa_wavefront_size32 1
		.amdhsa_uses_dynamic_stack 0
		.amdhsa_enable_private_segment 0
		.amdhsa_system_sgpr_workgroup_id_x 1
		.amdhsa_system_sgpr_workgroup_id_y 0
		.amdhsa_system_sgpr_workgroup_id_z 0
		.amdhsa_system_sgpr_workgroup_info 0
		.amdhsa_system_vgpr_workitem_id 0
		.amdhsa_next_free_vgpr 26
		.amdhsa_next_free_sgpr 37
		.amdhsa_named_barrier_count 0
		.amdhsa_reserve_vcc 1
		.amdhsa_float_round_mode_32 0
		.amdhsa_float_round_mode_16_64 0
		.amdhsa_float_denorm_mode_32 3
		.amdhsa_float_denorm_mode_16_64 3
		.amdhsa_fp16_overflow 0
		.amdhsa_memory_ordered 1
		.amdhsa_forward_progress 1
		.amdhsa_inst_pref_size 22
		.amdhsa_round_robin_scheduling 0
		.amdhsa_exception_fp_ieee_invalid_op 0
		.amdhsa_exception_fp_denorm_src 0
		.amdhsa_exception_fp_ieee_div_zero 0
		.amdhsa_exception_fp_ieee_overflow 0
		.amdhsa_exception_fp_ieee_underflow 0
		.amdhsa_exception_fp_ieee_inexact 0
		.amdhsa_exception_int_div_zero 0
	.end_amdhsa_kernel
	.section	.text._ZN9rocsparseL5csrsmILj64ELj64ELb0Ell21rocsparse_complex_numIfEEEv20rocsparse_operation_T3_S4_NS_24const_host_device_scalarIT4_EEPKT2_PKS4_PKS6_PS6_lPiSC_PS4_21rocsparse_index_base_20rocsparse_fill_mode_20rocsparse_diag_type_b,"axG",@progbits,_ZN9rocsparseL5csrsmILj64ELj64ELb0Ell21rocsparse_complex_numIfEEEv20rocsparse_operation_T3_S4_NS_24const_host_device_scalarIT4_EEPKT2_PKS4_PKS6_PS6_lPiSC_PS4_21rocsparse_index_base_20rocsparse_fill_mode_20rocsparse_diag_type_b,comdat
.Lfunc_end105:
	.size	_ZN9rocsparseL5csrsmILj64ELj64ELb0Ell21rocsparse_complex_numIfEEEv20rocsparse_operation_T3_S4_NS_24const_host_device_scalarIT4_EEPKT2_PKS4_PKS6_PS6_lPiSC_PS4_21rocsparse_index_base_20rocsparse_fill_mode_20rocsparse_diag_type_b, .Lfunc_end105-_ZN9rocsparseL5csrsmILj64ELj64ELb0Ell21rocsparse_complex_numIfEEEv20rocsparse_operation_T3_S4_NS_24const_host_device_scalarIT4_EEPKT2_PKS4_PKS6_PS6_lPiSC_PS4_21rocsparse_index_base_20rocsparse_fill_mode_20rocsparse_diag_type_b
                                        ; -- End function
	.set _ZN9rocsparseL5csrsmILj64ELj64ELb0Ell21rocsparse_complex_numIfEEEv20rocsparse_operation_T3_S4_NS_24const_host_device_scalarIT4_EEPKT2_PKS4_PKS6_PS6_lPiSC_PS4_21rocsparse_index_base_20rocsparse_fill_mode_20rocsparse_diag_type_b.num_vgpr, 26
	.set _ZN9rocsparseL5csrsmILj64ELj64ELb0Ell21rocsparse_complex_numIfEEEv20rocsparse_operation_T3_S4_NS_24const_host_device_scalarIT4_EEPKT2_PKS4_PKS6_PS6_lPiSC_PS4_21rocsparse_index_base_20rocsparse_fill_mode_20rocsparse_diag_type_b.num_agpr, 0
	.set _ZN9rocsparseL5csrsmILj64ELj64ELb0Ell21rocsparse_complex_numIfEEEv20rocsparse_operation_T3_S4_NS_24const_host_device_scalarIT4_EEPKT2_PKS4_PKS6_PS6_lPiSC_PS4_21rocsparse_index_base_20rocsparse_fill_mode_20rocsparse_diag_type_b.numbered_sgpr, 37
	.set _ZN9rocsparseL5csrsmILj64ELj64ELb0Ell21rocsparse_complex_numIfEEEv20rocsparse_operation_T3_S4_NS_24const_host_device_scalarIT4_EEPKT2_PKS4_PKS6_PS6_lPiSC_PS4_21rocsparse_index_base_20rocsparse_fill_mode_20rocsparse_diag_type_b.num_named_barrier, 0
	.set _ZN9rocsparseL5csrsmILj64ELj64ELb0Ell21rocsparse_complex_numIfEEEv20rocsparse_operation_T3_S4_NS_24const_host_device_scalarIT4_EEPKT2_PKS4_PKS6_PS6_lPiSC_PS4_21rocsparse_index_base_20rocsparse_fill_mode_20rocsparse_diag_type_b.private_seg_size, 0
	.set _ZN9rocsparseL5csrsmILj64ELj64ELb0Ell21rocsparse_complex_numIfEEEv20rocsparse_operation_T3_S4_NS_24const_host_device_scalarIT4_EEPKT2_PKS4_PKS6_PS6_lPiSC_PS4_21rocsparse_index_base_20rocsparse_fill_mode_20rocsparse_diag_type_b.uses_vcc, 1
	.set _ZN9rocsparseL5csrsmILj64ELj64ELb0Ell21rocsparse_complex_numIfEEEv20rocsparse_operation_T3_S4_NS_24const_host_device_scalarIT4_EEPKT2_PKS4_PKS6_PS6_lPiSC_PS4_21rocsparse_index_base_20rocsparse_fill_mode_20rocsparse_diag_type_b.uses_flat_scratch, 0
	.set _ZN9rocsparseL5csrsmILj64ELj64ELb0Ell21rocsparse_complex_numIfEEEv20rocsparse_operation_T3_S4_NS_24const_host_device_scalarIT4_EEPKT2_PKS4_PKS6_PS6_lPiSC_PS4_21rocsparse_index_base_20rocsparse_fill_mode_20rocsparse_diag_type_b.has_dyn_sized_stack, 0
	.set _ZN9rocsparseL5csrsmILj64ELj64ELb0Ell21rocsparse_complex_numIfEEEv20rocsparse_operation_T3_S4_NS_24const_host_device_scalarIT4_EEPKT2_PKS4_PKS6_PS6_lPiSC_PS4_21rocsparse_index_base_20rocsparse_fill_mode_20rocsparse_diag_type_b.has_recursion, 0
	.set _ZN9rocsparseL5csrsmILj64ELj64ELb0Ell21rocsparse_complex_numIfEEEv20rocsparse_operation_T3_S4_NS_24const_host_device_scalarIT4_EEPKT2_PKS4_PKS6_PS6_lPiSC_PS4_21rocsparse_index_base_20rocsparse_fill_mode_20rocsparse_diag_type_b.has_indirect_call, 0
	.section	.AMDGPU.csdata,"",@progbits
; Kernel info:
; codeLenInByte = 2716
; TotalNumSgprs: 39
; NumVgprs: 26
; ScratchSize: 0
; MemoryBound: 0
; FloatMode: 240
; IeeeMode: 1
; LDSByteSize: 1024 bytes/workgroup (compile time only)
; SGPRBlocks: 0
; VGPRBlocks: 1
; NumSGPRsForWavesPerEU: 39
; NumVGPRsForWavesPerEU: 26
; NamedBarCnt: 0
; Occupancy: 16
; WaveLimiterHint : 1
; COMPUTE_PGM_RSRC2:SCRATCH_EN: 0
; COMPUTE_PGM_RSRC2:USER_SGPR: 2
; COMPUTE_PGM_RSRC2:TRAP_HANDLER: 0
; COMPUTE_PGM_RSRC2:TGID_X_EN: 1
; COMPUTE_PGM_RSRC2:TGID_Y_EN: 0
; COMPUTE_PGM_RSRC2:TGID_Z_EN: 0
; COMPUTE_PGM_RSRC2:TIDIG_COMP_CNT: 0
	.section	.text._ZN9rocsparseL5csrsmILj128ELj64ELb1Ell21rocsparse_complex_numIfEEEv20rocsparse_operation_T3_S4_NS_24const_host_device_scalarIT4_EEPKT2_PKS4_PKS6_PS6_lPiSC_PS4_21rocsparse_index_base_20rocsparse_fill_mode_20rocsparse_diag_type_b,"axG",@progbits,_ZN9rocsparseL5csrsmILj128ELj64ELb1Ell21rocsparse_complex_numIfEEEv20rocsparse_operation_T3_S4_NS_24const_host_device_scalarIT4_EEPKT2_PKS4_PKS6_PS6_lPiSC_PS4_21rocsparse_index_base_20rocsparse_fill_mode_20rocsparse_diag_type_b,comdat
	.globl	_ZN9rocsparseL5csrsmILj128ELj64ELb1Ell21rocsparse_complex_numIfEEEv20rocsparse_operation_T3_S4_NS_24const_host_device_scalarIT4_EEPKT2_PKS4_PKS6_PS6_lPiSC_PS4_21rocsparse_index_base_20rocsparse_fill_mode_20rocsparse_diag_type_b ; -- Begin function _ZN9rocsparseL5csrsmILj128ELj64ELb1Ell21rocsparse_complex_numIfEEEv20rocsparse_operation_T3_S4_NS_24const_host_device_scalarIT4_EEPKT2_PKS4_PKS6_PS6_lPiSC_PS4_21rocsparse_index_base_20rocsparse_fill_mode_20rocsparse_diag_type_b
	.p2align	8
	.type	_ZN9rocsparseL5csrsmILj128ELj64ELb1Ell21rocsparse_complex_numIfEEEv20rocsparse_operation_T3_S4_NS_24const_host_device_scalarIT4_EEPKT2_PKS4_PKS6_PS6_lPiSC_PS4_21rocsparse_index_base_20rocsparse_fill_mode_20rocsparse_diag_type_b,@function
_ZN9rocsparseL5csrsmILj128ELj64ELb1Ell21rocsparse_complex_numIfEEEv20rocsparse_operation_T3_S4_NS_24const_host_device_scalarIT4_EEPKT2_PKS4_PKS6_PS6_lPiSC_PS4_21rocsparse_index_base_20rocsparse_fill_mode_20rocsparse_diag_type_b: ; @_ZN9rocsparseL5csrsmILj128ELj64ELb1Ell21rocsparse_complex_numIfEEEv20rocsparse_operation_T3_S4_NS_24const_host_device_scalarIT4_EEPKT2_PKS4_PKS6_PS6_lPiSC_PS4_21rocsparse_index_base_20rocsparse_fill_mode_20rocsparse_diag_type_b
; %bb.0:
	s_clause 0x2
	s_load_b128 s[4:7], s[0:1], 0x60
	s_load_b64 s[2:3], s[0:1], 0x18
	s_load_b128 s[12:15], s[0:1], 0x8
	s_wait_kmcnt 0x0
	s_bitcmp1_b32 s7, 0
	s_mov_b32 s25, s2
	s_cselect_b32 s8, -1, 0
	s_delay_alu instid0(SALU_CYCLE_1)
	s_xor_b32 s7, s8, -1
	s_and_b32 vcc_lo, exec_lo, s8
	s_cbranch_vccnz .LBB106_2
; %bb.1:
	s_load_b32 s25, s[2:3], 0x0
.LBB106_2:
	s_and_not1_b32 vcc_lo, exec_lo, s7
	s_cbranch_vccnz .LBB106_4
; %bb.3:
	s_wait_xcnt 0x0
	s_load_b32 s3, s[2:3], 0x4
.LBB106_4:
	s_wait_xcnt 0x0
	s_bfe_u32 s2, ttmp6, 0x4000c
	s_and_b32 s7, ttmp6, 15
	s_add_co_i32 s2, s2, 1
	s_getreg_b32 s8, hwreg(HW_REG_IB_STS2, 6, 4)
	s_mul_i32 s2, ttmp9, s2
	s_mov_b32 s9, 0
	s_add_co_i32 s7, s7, s2
	s_cmp_eq_u32 s8, 0
	s_cselect_b32 s8, ttmp9, s7
	s_and_b64 s[10:11], s[12:13], 0xffffffff00000000
	s_delay_alu instid0(SALU_CYCLE_1)
	s_cmp_lg_u64 s[10:11], 0
	s_cbranch_scc0 .LBB106_64
; %bb.5:
	s_ashr_i32 s10, s13, 31
	s_mov_b32 s23, s9
	s_mov_b32 s11, s10
	;; [unrolled: 1-line block ×3, first 2 shown]
	s_add_nc_u64 s[16:17], s[12:13], s[10:11]
	s_delay_alu instid0(SALU_CYCLE_1) | instskip(NEXT) | instid1(SALU_CYCLE_1)
	s_xor_b64 s[16:17], s[16:17], s[10:11]
	s_cvt_f32_u32 s2, s16
	s_cvt_f32_u32 s7, s17
	s_sub_nc_u64 s[20:21], 0, s[16:17]
	s_delay_alu instid0(SALU_CYCLE_2) | instskip(NEXT) | instid1(SALU_CYCLE_3)
	s_fmamk_f32 s2, s7, 0x4f800000, s2
	v_s_rcp_f32 s2, s2
	s_delay_alu instid0(TRANS32_DEP_1) | instskip(NEXT) | instid1(SALU_CYCLE_3)
	s_mul_f32 s2, s2, 0x5f7ffffc
	s_mul_f32 s7, s2, 0x2f800000
	s_delay_alu instid0(SALU_CYCLE_3) | instskip(NEXT) | instid1(SALU_CYCLE_3)
	s_trunc_f32 s7, s7
	s_fmamk_f32 s2, s7, 0xcf800000, s2
	s_cvt_u32_f32 s19, s7
	s_delay_alu instid0(SALU_CYCLE_2) | instskip(NEXT) | instid1(SALU_CYCLE_3)
	s_cvt_u32_f32 s18, s2
	s_mul_u64 s[26:27], s[20:21], s[18:19]
	s_delay_alu instid0(SALU_CYCLE_1)
	s_mul_hi_u32 s31, s18, s27
	s_mul_i32 s30, s18, s27
	s_mul_hi_u32 s22, s18, s26
	s_mul_i32 s7, s19, s26
	s_add_nc_u64 s[22:23], s[22:23], s[30:31]
	s_mul_hi_u32 s2, s19, s26
	s_mul_hi_u32 s24, s19, s27
	s_add_co_u32 s7, s22, s7
	s_add_co_ci_u32 s28, s23, s2
	s_mul_i32 s26, s19, s27
	s_add_co_ci_u32 s27, s24, 0
	s_delay_alu instid0(SALU_CYCLE_1) | instskip(SKIP_3) | instid1(SALU_CYCLE_1)
	s_add_nc_u64 s[22:23], s[28:29], s[26:27]
	s_mov_b32 s27, s9
	s_add_co_u32 s18, s18, s22
	s_cselect_b32 s2, -1, 0
	s_cmp_lg_u32 s2, 0
	s_add_co_ci_u32 s19, s19, s23
	s_mov_b32 s23, s9
	s_mul_u64 s[20:21], s[20:21], s[18:19]
	s_delay_alu instid0(SALU_CYCLE_1)
	s_mul_hi_u32 s29, s18, s21
	s_mul_i32 s28, s18, s21
	s_mul_hi_u32 s22, s18, s20
	s_mul_i32 s7, s19, s20
	s_add_nc_u64 s[22:23], s[22:23], s[28:29]
	s_mul_hi_u32 s2, s19, s20
	s_mul_hi_u32 s24, s19, s21
	s_add_co_u32 s7, s22, s7
	s_add_co_ci_u32 s26, s23, s2
	s_mul_i32 s20, s19, s21
	s_add_co_ci_u32 s21, s24, 0
	s_add_nc_u64 s[22:23], s[8:9], 0
	s_add_nc_u64 s[20:21], s[26:27], s[20:21]
	s_delay_alu instid0(SALU_CYCLE_1) | instskip(SKIP_1) | instid1(SALU_CYCLE_1)
	s_add_co_u32 s2, s18, s20
	s_cselect_b32 s7, -1, 0
	s_cmp_lg_u32 s7, 0
	s_add_co_ci_u32 s7, s19, s21
	s_xor_b64 s[18:19], s[22:23], 0
	s_mov_b32 s21, s9
	s_mul_hi_u32 s23, s18, s7
	s_mul_i32 s22, s18, s7
	s_mul_hi_u32 s26, s18, s2
	s_mul_hi_u32 s20, s19, s2
	s_mul_i32 s2, s19, s2
	s_add_nc_u64 s[22:23], s[26:27], s[22:23]
	s_mul_hi_u32 s24, s19, s7
	s_add_co_u32 s2, s22, s2
	s_add_co_ci_u32 s20, s23, s20
	s_mul_i32 s26, s19, s7
	s_add_co_ci_u32 s27, s24, 0
	s_delay_alu instid0(SALU_CYCLE_1) | instskip(NEXT) | instid1(SALU_CYCLE_1)
	s_add_nc_u64 s[20:21], s[20:21], s[26:27]
	s_and_b64 s[22:23], s[20:21], 0xffffffff00000000
	s_delay_alu instid0(SALU_CYCLE_1) | instskip(NEXT) | instid1(SALU_CYCLE_1)
	s_or_b32 s22, s22, s20
	s_mul_u64 s[20:21], s[16:17], s[22:23]
	s_add_nc_u64 s[26:27], s[22:23], 1
	s_sub_co_u32 s2, s18, s20
	s_cselect_b32 s7, -1, 0
	s_sub_co_i32 s18, s19, s21
	s_cmp_lg_u32 s7, 0
	s_add_nc_u64 s[28:29], s[22:23], 2
	s_sub_co_ci_u32 s18, s18, s17
	s_sub_co_u32 s20, s2, s16
	s_cselect_b32 s24, -1, 0
	s_delay_alu instid0(SALU_CYCLE_1) | instskip(SKIP_1) | instid1(SALU_CYCLE_1)
	s_cmp_lg_u32 s24, 0
	s_sub_co_ci_u32 s18, s18, 0
	s_cmp_ge_u32 s18, s17
	s_cselect_b32 s24, -1, 0
	s_cmp_ge_u32 s20, s16
	s_cselect_b32 s20, -1, 0
	s_cmp_eq_u32 s18, s17
	s_cselect_b32 s18, s20, s24
	s_delay_alu instid0(SALU_CYCLE_1) | instskip(SKIP_4) | instid1(SALU_CYCLE_1)
	s_cmp_lg_u32 s18, 0
	s_cselect_b32 s18, s28, s26
	s_cselect_b32 s20, s29, s27
	s_cmp_lg_u32 s7, 0
	s_sub_co_ci_u32 s7, s19, s21
	s_cmp_ge_u32 s7, s17
	s_cselect_b32 s19, -1, 0
	s_cmp_ge_u32 s2, s16
	s_cselect_b32 s2, -1, 0
	s_cmp_eq_u32 s7, s17
	s_cselect_b32 s2, s2, s19
	s_delay_alu instid0(SALU_CYCLE_1) | instskip(SKIP_4) | instid1(SALU_CYCLE_1)
	s_cmp_lg_u32 s2, 0
	s_mov_b32 s2, s9
	s_cselect_b32 s17, s20, s23
	s_cselect_b32 s16, s18, s22
	s_xor_b64 s[10:11], 0, s[10:11]
	s_xor_b64 s[16:17], s[16:17], s[10:11]
	s_delay_alu instid0(SALU_CYCLE_1)
	s_sub_nc_u64 s[22:23], s[16:17], s[10:11]
	s_clause 0x1
	s_load_b64 s[10:11], s[0:1], 0x50
	s_load_b64 s[16:17], s[0:1], 0x20
	s_and_not1_b32 vcc_lo, exec_lo, s2
	s_cbranch_vccnz .LBB106_7
.LBB106_6:
	v_cvt_f32_u32_e32 v1, s12
	s_sub_co_i32 s7, 0, s12
	s_mov_b32 s23, 0
	s_delay_alu instid0(VALU_DEP_1) | instskip(SKIP_1) | instid1(TRANS32_DEP_1)
	v_rcp_iflag_f32_e32 v1, v1
	v_nop
	v_mul_f32_e32 v1, 0x4f7ffffe, v1
	s_delay_alu instid0(VALU_DEP_1) | instskip(NEXT) | instid1(VALU_DEP_1)
	v_cvt_u32_f32_e32 v1, v1
	v_readfirstlane_b32 s2, v1
	s_mul_i32 s7, s7, s2
	s_delay_alu instid0(SALU_CYCLE_1) | instskip(NEXT) | instid1(SALU_CYCLE_1)
	s_mul_hi_u32 s7, s2, s7
	s_add_co_i32 s2, s2, s7
	s_delay_alu instid0(SALU_CYCLE_1) | instskip(NEXT) | instid1(SALU_CYCLE_1)
	s_mul_hi_u32 s2, s8, s2
	s_mul_i32 s7, s2, s12
	s_add_co_i32 s18, s2, 1
	s_sub_co_i32 s7, s8, s7
	s_delay_alu instid0(SALU_CYCLE_1)
	s_sub_co_i32 s19, s7, s12
	s_cmp_ge_u32 s7, s12
	s_cselect_b32 s2, s18, s2
	s_cselect_b32 s7, s19, s7
	s_add_co_i32 s18, s2, 1
	s_cmp_ge_u32 s7, s12
	s_cselect_b32 s22, s18, s2
.LBB106_7:
	s_delay_alu instid0(SALU_CYCLE_1)
	s_mul_u64 s[12:13], s[22:23], s[12:13]
	s_load_b32 s7, s[0:1], 0x0
	s_sub_nc_u64 s[8:9], s[8:9], s[12:13]
	s_lshl_b64 s[22:23], s[22:23], 7
	s_lshl_b64 s[8:9], s[8:9], 3
	v_dual_mov_b32 v3, s23 :: v_dual_bitop2_b32 v2, s22, v0 bitop3:0x54
	s_wait_kmcnt 0x0
	s_add_nc_u64 s[18:19], s[10:11], s[8:9]
	s_load_b64 s[20:21], s[18:19], 0x0
	s_load_b128 s[8:11], s[0:1], 0x38
	v_mov_b32_e32 v1, 0
	v_cmp_gt_i64_e64 s2, s[14:15], v[2:3]
	s_wait_kmcnt 0x0
	s_lshl_b64 s[18:19], s[20:21], 3
	s_mul_u64 s[22:23], s[20:21], s[10:11]
	s_add_nc_u64 s[26:27], s[16:17], s[18:19]
	v_add_nc_u64_e32 v[6:7], s[22:23], v[2:3]
	s_load_b128 s[16:19], s[26:27], 0x0
	s_cmp_lg_u32 s7, 0x71
	s_cbranch_scc0 .LBB106_11
; %bb.8:
	v_mov_b64_e32 v[4:5], 0
	s_and_saveexec_b32 s7, s2
	s_cbranch_execz .LBB106_10
; %bb.9:
	v_lshl_add_u64 v[4:5], v[6:7], 3, s[8:9]
	s_xor_b32 s14, s3, 0x80000000
	s_delay_alu instid0(SALU_CYCLE_1) | instskip(SKIP_4) | instid1(VALU_DEP_1)
	v_dual_mov_b32 v9, s25 :: v_dual_mov_b32 v11, s14
	v_dual_mov_b32 v10, s25 :: v_dual_mov_b32 v8, s3
	global_load_b64 v[4:5], v[4:5], off
	s_wait_loadcnt 0x0
	v_pk_mul_f32 v[10:11], v[4:5], v[10:11] op_sel:[1,0]
	v_pk_fma_f32 v[4:5], v[8:9], v[4:5], v[10:11] op_sel_hi:[1,0,1]
.LBB106_10:
	s_or_b32 exec_lo, exec_lo, s7
	s_cbranch_execz .LBB106_12
	s_branch .LBB106_15
.LBB106_11:
                                        ; implicit-def: $vgpr4_vgpr5
.LBB106_12:
	v_mov_b64_e32 v[4:5], 0
	s_and_saveexec_b32 s7, s2
	s_cbranch_execz .LBB106_14
; %bb.13:
	v_lshl_add_u64 v[4:5], v[6:7], 3, s[8:9]
	s_mov_b32 s24, s3
	s_delay_alu instid0(SALU_CYCLE_1) | instskip(SKIP_3) | instid1(VALU_DEP_1)
	v_mov_b64_e32 v[6:7], s[24:25]
	global_load_b64 v[4:5], v[4:5], off
	s_wait_loadcnt 0x0
	v_pk_mul_f32 v[8:9], v[4:5], v[6:7] op_sel:[1,0] neg_hi:[1,0]
	v_pk_fma_f32 v[4:5], v[6:7], v[4:5], v[8:9] op_sel:[0,0,1] op_sel_hi:[1,0,0]
.LBB106_14:
	s_or_b32 exec_lo, exec_lo, s7
.LBB106_15:
	s_load_b64 s[14:15], s[0:1], 0x48
	s_wait_kmcnt 0x0
	v_cmp_ge_i64_e64 s3, s[16:17], s[18:19]
	v_dual_mov_b32 v9, 1.0 :: v_dual_mov_b32 v8, v4
	v_lshl_add_u64 v[2:3], v[2:3], 3, s[8:9]
	v_dual_mov_b32 v15, v5 :: v_dual_mov_b32 v20, 0
	s_delay_alu instid0(VALU_DEP_3)
	v_mov_b32_e32 v14, v9
	s_and_b32 vcc_lo, exec_lo, s3
	v_cmp_eq_u32_e64 s3, 0, v0
	s_cbranch_vccnz .LBB106_58
; %bb.16:
	s_clause 0x1
	s_load_b128 s[28:31], s[0:1], 0x28
	s_load_b64 s[8:9], s[0:1], 0x58
	v_dual_mov_b32 v4, 0 :: v_dual_lshlrev_b32 v6, 3, v0
	s_wait_xcnt 0x0
	s_mov_b32 s1, 0
	s_mov_b32 s0, s4
	s_lshl_b64 s[24:25], s[12:13], 2
	v_mov_b32_e32 v7, v4
	v_or_b32_e32 v21, 0x400, v6
	s_cmp_eq_u32 s6, 0
	s_sub_nc_u64 s[16:17], s[16:17], s[0:1]
	s_add_nc_u64 s[24:25], s[14:15], s[24:25]
	s_cselect_b32 s4, -1, 0
	s_sub_nc_u64 s[18:19], s[18:19], s[0:1]
	s_add_nc_u64 s[26:27], s[20:21], s[0:1]
	s_wait_kmcnt 0x0
	v_add_nc_u64_e32 v[10:11], s[28:29], v[6:7]
	v_add_nc_u64_e32 v[12:13], s[30:31], v[6:7]
	v_mov_b32_e32 v7, 0
	s_mov_b64 s[28:29], s[16:17]
	s_delay_alu instid0(SALU_CYCLE_1) | instskip(NEXT) | instid1(SALU_CYCLE_1)
	s_sub_co_i32 s7, s28, s16
	s_and_b32 s7, s7, 0x7f
	s_delay_alu instid0(SALU_CYCLE_1)
	s_cmp_lg_u32 s7, 0
	s_cbranch_scc1 .LBB106_20
.LBB106_17:
	v_mov_b64_e32 v[18:19], -1
	v_dual_mov_b32 v17, 0 :: v_dual_mov_b32 v16, -1.0
	s_sub_nc_u64 s[30:31], s[18:19], s[28:29]
	s_mov_b32 s17, exec_lo
	v_cmpx_gt_i64_e64 s[30:31], v[0:1]
	s_cbranch_execz .LBB106_19
; %bb.18:
	s_lshl_b64 s[30:31], s[28:29], 3
	s_delay_alu instid0(SALU_CYCLE_1)
	v_add_nc_u64_e32 v[16:17], s[30:31], v[10:11]
	global_load_b64 v[18:19], v[16:17], off
	s_wait_xcnt 0x0
	v_add_nc_u64_e32 v[16:17], s[30:31], v[12:13]
	global_load_b64 v[16:17], v[16:17], off
	s_wait_loadcnt 0x1
	v_sub_nc_u64_e64 v[18:19], v[18:19], s[0:1]
.LBB106_19:
	s_wait_xcnt 0x0
	s_or_b32 exec_lo, exec_lo, s17
	ds_store_b64 v6, v[18:19]
	s_wait_loadcnt 0x0
	ds_store_b64 v21, v[16:17]
.LBB106_20:                             ; =>This Loop Header: Depth=1
                                        ;     Child Loop BB106_56 Depth 2
                                        ;       Child Loop BB106_57 Depth 3
	s_lshl_b32 s7, s7, 3
	s_wait_dscnt 0x0
	v_mov_b32_e32 v5, s7
	s_barrier_signal -1
	s_barrier_wait -1
	ds_load_2addr_stride64_b64 v[16:19], v5 offset1:2
	s_wait_dscnt 0x0
	v_readfirstlane_b32 s7, v18
	v_readfirstlane_b32 s33, v19
	;; [unrolled: 1-line block ×4, first 2 shown]
	s_cmp_eq_f32 s7, 0
	s_cselect_b32 s17, -1, 0
	s_cmp_eq_f32 s33, 0
	s_cselect_b32 s34, -1, 0
	s_delay_alu instid0(SALU_CYCLE_1)
	s_and_b32 s35, s17, s34
	s_cmp_eq_u64 s[30:31], s[20:21]
	s_cselect_b32 s34, -1, 0
	s_cmp_lg_u64 s[30:31], s[20:21]
	s_cselect_b32 s17, -1, 0
	s_and_b32 s35, s35, s34
	s_delay_alu instid0(SALU_CYCLE_1) | instskip(NEXT) | instid1(SALU_CYCLE_1)
	s_and_b32 s35, s4, s35
	s_and_b32 s36, s3, s35
	s_and_b32 s35, s35, exec_lo
	s_cselect_b32 s33, 0, s33
	s_cselect_b32 s7, 1.0, s7
	s_delay_alu instid0(SALU_CYCLE_1)
	v_dual_mov_b32 v22, s33 :: v_dual_mov_b32 v23, s7
	s_and_saveexec_b32 s7, s36
	s_cbranch_execz .LBB106_24
; %bb.21:                               ;   in Loop: Header=BB106_20 Depth=1
	v_mbcnt_lo_u32_b32 v5, exec_lo, 0
	s_mov_b32 s33, exec_lo
	s_delay_alu instid0(VALU_DEP_1)
	v_cmpx_eq_u32_e32 0, v5
	s_cbranch_execz .LBB106_23
; %bb.22:                               ;   in Loop: Header=BB106_20 Depth=1
	v_mov_b64_e32 v[16:17], s[26:27]
	global_atomic_min_u64 v4, v[16:17], s[8:9] scope:SCOPE_DEV
.LBB106_23:                             ;   in Loop: Header=BB106_20 Depth=1
	s_wait_xcnt 0x0
	s_or_b32 exec_lo, exec_lo, s33
	v_dual_mov_b32 v23, 1.0 :: v_dual_mov_b32 v22, 0
.LBB106_24:                             ;   in Loop: Header=BB106_20 Depth=1
	s_or_b32 exec_lo, exec_lo, s7
	s_mov_b32 s35, -1
	s_mov_b32 s7, 0
	s_cmp_lt_i32 s5, 1
	s_mov_b32 s33, 0
                                        ; implicit-def: $vgpr16_vgpr17
                                        ; implicit-def: $vgpr18_vgpr19
                                        ; implicit-def: $vgpr20
	s_cbranch_scc0 .LBB106_31
; %bb.25:                               ;   in Loop: Header=BB106_20 Depth=1
	s_and_b32 vcc_lo, exec_lo, s35
	s_mov_b32 s34, 4
	s_cbranch_vccnz .LBB106_38
.LBB106_26:                             ;   in Loop: Header=BB106_20 Depth=1
	s_and_b32 vcc_lo, exec_lo, s33
	s_cbranch_vccnz .LBB106_43
.LBB106_27:                             ;   in Loop: Header=BB106_20 Depth=1
	s_and_b32 vcc_lo, exec_lo, s7
	s_cbranch_vccnz .LBB106_48
.LBB106_28:                             ;   in Loop: Header=BB106_20 Depth=1
	s_mov_b32 s7, -1
	s_cmp_gt_i32 s34, 3
	s_mov_b32 s17, -1
	s_cbranch_scc0 .LBB106_51
.LBB106_29:                             ;   in Loop: Header=BB106_20 Depth=1
	s_and_not1_b32 vcc_lo, exec_lo, s17
	s_cbranch_vccz .LBB106_52
.LBB106_30:                             ;   in Loop: Header=BB106_20 Depth=1
	s_and_not1_b32 vcc_lo, exec_lo, s7
	s_cbranch_vccnz .LBB106_53
	s_branch .LBB106_59
.LBB106_31:                             ;   in Loop: Header=BB106_20 Depth=1
	s_cmp_eq_u32 s5, 1
	s_mov_b32 s33, -1
                                        ; implicit-def: $vgpr16_vgpr17
                                        ; implicit-def: $vgpr18_vgpr19
                                        ; implicit-def: $vgpr20
	s_cbranch_scc0 .LBB106_37
; %bb.32:                               ;   in Loop: Header=BB106_20 Depth=1
	v_cmp_ge_i64_e64 s33, s[30:31], s[20:21]
	v_mov_b64_e32 v[16:17], v[14:15]
	v_mov_b64_e32 v[18:19], v[8:9]
	v_mov_b32_e32 v20, v7
	s_and_b32 vcc_lo, exec_lo, s33
	s_mov_b32 s33, 0
	s_cbranch_vccz .LBB106_37
; %bb.33:                               ;   in Loop: Header=BB106_20 Depth=1
	s_and_b32 vcc_lo, exec_lo, s34
	s_mov_b32 s33, -1
                                        ; implicit-def: $vgpr16_vgpr17
                                        ; implicit-def: $vgpr18_vgpr19
                                        ; implicit-def: $vgpr20
	s_cbranch_vccz .LBB106_37
; %bb.34:                               ;   in Loop: Header=BB106_20 Depth=1
	v_mov_b64_e32 v[16:17], v[14:15]
	v_mov_b64_e32 v[18:19], v[8:9]
	v_mov_b32_e32 v20, v7
	s_and_not1_b32 vcc_lo, exec_lo, s4
	s_cbranch_vccnz .LBB106_36
; %bb.35:                               ;   in Loop: Header=BB106_20 Depth=1
	v_mul_f32_e32 v5, v22, v22
	s_delay_alu instid0(VALU_DEP_1) | instskip(NEXT) | instid1(VALU_DEP_1)
	v_fmac_f32_e32 v5, v23, v23
	v_div_scale_f32 v16, null, v5, v5, 1.0
	v_div_scale_f32 v19, vcc_lo, 1.0, v5, 1.0
	s_delay_alu instid0(VALU_DEP_2) | instskip(SKIP_1) | instid1(TRANS32_DEP_1)
	v_rcp_f32_e32 v17, v16
	v_nop
	v_fma_f32 v18, -v16, v17, 1.0
	s_delay_alu instid0(VALU_DEP_1) | instskip(NEXT) | instid1(VALU_DEP_1)
	v_fmac_f32_e32 v17, v18, v17
	v_mul_f32_e32 v18, v19, v17
	s_delay_alu instid0(VALU_DEP_1) | instskip(NEXT) | instid1(VALU_DEP_1)
	v_fma_f32 v20, -v16, v18, v19
	v_fmac_f32_e32 v18, v20, v17
	s_delay_alu instid0(VALU_DEP_1) | instskip(NEXT) | instid1(VALU_DEP_1)
	v_fma_f32 v16, -v16, v18, v19
	v_div_fmas_f32 v16, v16, v17, v18
	v_dual_fma_f32 v17, 0, v22, v23 :: v_dual_mov_b32 v18, v8
	s_delay_alu instid0(VALU_DEP_2) | instskip(SKIP_1) | instid1(VALU_DEP_1)
	v_div_fixup_f32 v5, v16, v5, 1.0
	v_fma_f32 v16, v23, 0, -v22
	v_dual_mul_f32 v19, v17, v5 :: v_dual_mul_f32 v20, v16, v5
	s_delay_alu instid0(VALU_DEP_1)
	v_dual_mov_b32 v17, v15 :: v_dual_mov_b32 v16, v19
.LBB106_36:                             ;   in Loop: Header=BB106_20 Depth=1
	s_mov_b32 s33, 0
.LBB106_37:                             ;   in Loop: Header=BB106_20 Depth=1
	s_mov_b32 s34, 4
	s_branch .LBB106_26
.LBB106_38:                             ;   in Loop: Header=BB106_20 Depth=1
	s_cmp_eq_u32 s5, 0
	s_cbranch_scc1 .LBB106_40
; %bb.39:                               ;   in Loop: Header=BB106_20 Depth=1
	s_mov_b32 s33, -1
	s_branch .LBB106_42
.LBB106_40:                             ;   in Loop: Header=BB106_20 Depth=1
	v_cmp_le_i64_e64 s33, s[30:31], s[20:21]
	s_and_b32 vcc_lo, exec_lo, s33
	s_mov_b32 s33, 0
	s_cbranch_vccz .LBB106_42
; %bb.41:                               ;   in Loop: Header=BB106_20 Depth=1
	s_mov_b32 s7, -1
	s_mov_b32 s33, s17
.LBB106_42:                             ;   in Loop: Header=BB106_20 Depth=1
	v_mov_b64_e32 v[16:17], v[14:15]
	v_mov_b64_e32 v[18:19], v[8:9]
	v_mov_b32_e32 v20, v7
	s_mov_b32 s34, 2
	s_and_b32 vcc_lo, exec_lo, s33
	s_cbranch_vccz .LBB106_27
.LBB106_43:                             ;   in Loop: Header=BB106_20 Depth=1
	s_and_saveexec_b32 s7, s3
	s_cbranch_execz .LBB106_45
; %bb.44:                               ;   in Loop: Header=BB106_20 Depth=1
	s_lshl_b64 s[34:35], s[30:31], 2
	s_delay_alu instid0(SALU_CYCLE_1)
	s_add_nc_u64 s[34:35], s[24:25], s[34:35]
	global_load_b32 v5, v4, s[34:35] scope:SCOPE_DEV
	s_wait_loadcnt 0x0
	v_cmp_ne_u32_e32 vcc_lo, 0, v5
	s_cbranch_vccz .LBB106_54
.LBB106_45:                             ;   in Loop: Header=BB106_20 Depth=1
	s_wait_xcnt 0x0
	s_or_b32 exec_lo, exec_lo, s7
	v_dual_mov_b32 v5, v9 :: v_dual_mov_b32 v16, v9
	v_mov_b32_e32 v17, v4
	s_wait_storecnt 0x0
	s_barrier_signal -1
	s_delay_alu instid0(VALU_DEP_2)
	v_mov_b64_e32 v[18:19], v[4:5]
	s_barrier_wait -1
	global_inv scope:SCOPE_DEV
	s_and_saveexec_b32 s7, s2
	s_cbranch_execz .LBB106_47
; %bb.46:                               ;   in Loop: Header=BB106_20 Depth=1
	s_mul_u64 s[30:31], s[30:31], s[10:11]
	s_delay_alu instid0(SALU_CYCLE_1) | instskip(SKIP_4) | instid1(VALU_DEP_2)
	v_lshl_add_u64 v[16:17], s[30:31], 3, v[2:3]
	global_load_b64 v[24:25], v[16:17], off
	s_wait_loadcnt 0x0
	v_dual_mov_b32 v16, v9 :: v_dual_fma_f32 v17, -v23, v24, v15
	v_dual_fma_f32 v5, -v22, v24, v8 :: v_dual_mov_b32 v19, v9
	v_fmac_f32_e32 v17, v22, v25
	s_delay_alu instid0(VALU_DEP_2)
	v_fma_f32 v18, -v23, v25, v5
.LBB106_47:                             ;   in Loop: Header=BB106_20 Depth=1
	s_or_b32 exec_lo, exec_lo, s7
	v_mov_b32_e32 v20, v7
	s_mov_b32 s34, 0
	s_branch .LBB106_28
.LBB106_48:                             ;   in Loop: Header=BB106_20 Depth=1
	s_and_not1_b32 vcc_lo, exec_lo, s4
	s_cbranch_vccnz .LBB106_50
; %bb.49:                               ;   in Loop: Header=BB106_20 Depth=1
	v_mul_f32_e32 v5, v22, v22
	s_delay_alu instid0(VALU_DEP_1) | instskip(NEXT) | instid1(VALU_DEP_1)
	v_fmac_f32_e32 v5, v23, v23
	v_div_scale_f32 v7, null, v5, v5, 1.0
	v_div_scale_f32 v16, vcc_lo, 1.0, v5, 1.0
	s_delay_alu instid0(VALU_DEP_2) | instskip(SKIP_1) | instid1(TRANS32_DEP_1)
	v_rcp_f32_e32 v9, v7
	v_nop
	v_fma_f32 v14, -v7, v9, 1.0
	s_delay_alu instid0(VALU_DEP_1) | instskip(NEXT) | instid1(VALU_DEP_1)
	v_fmac_f32_e32 v9, v14, v9
	v_mul_f32_e32 v14, v16, v9
	s_delay_alu instid0(VALU_DEP_1) | instskip(NEXT) | instid1(VALU_DEP_1)
	v_fma_f32 v17, -v7, v14, v16
	v_fmac_f32_e32 v14, v17, v9
	s_delay_alu instid0(VALU_DEP_1) | instskip(NEXT) | instid1(VALU_DEP_1)
	v_fma_f32 v7, -v7, v14, v16
	v_div_fmas_f32 v7, v7, v9, v14
	v_fma_f32 v14, v23, 0, -v22
	s_delay_alu instid0(VALU_DEP_2) | instskip(SKIP_1) | instid1(VALU_DEP_1)
	v_div_fixup_f32 v5, v7, v5, 1.0
	v_fma_f32 v7, 0, v22, v23
	v_dual_mul_f32 v9, v7, v5 :: v_dual_mul_f32 v7, v14, v5
	s_delay_alu instid0(VALU_DEP_1)
	v_mov_b32_e32 v14, v9
.LBB106_50:                             ;   in Loop: Header=BB106_20 Depth=1
	v_mov_b64_e32 v[18:19], v[8:9]
	s_delay_alu instid0(VALU_DEP_2) | instskip(NEXT) | instid1(VALU_DEP_4)
	v_mov_b64_e32 v[16:17], v[14:15]
	v_mov_b32_e32 v20, v7
	s_mov_b32 s34, 2
	s_mov_b32 s7, -1
	s_cmp_gt_i32 s34, 3
	s_mov_b32 s17, -1
	s_cbranch_scc1 .LBB106_29
.LBB106_51:                             ;   in Loop: Header=BB106_20 Depth=1
	s_cmp_eq_u32 s34, 0
	s_cselect_b32 s17, -1, 0
	s_delay_alu instid0(SALU_CYCLE_1)
	s_and_not1_b32 vcc_lo, exec_lo, s17
	s_cbranch_vccnz .LBB106_30
.LBB106_52:                             ;   in Loop: Header=BB106_20 Depth=1
	s_add_nc_u64 s[28:29], s[28:29], 1
	s_delay_alu instid0(SALU_CYCLE_1)
	v_cmp_ge_i64_e64 s7, s[28:29], s[18:19]
	s_and_not1_b32 vcc_lo, exec_lo, s7
	s_cbranch_vccz .LBB106_59
.LBB106_53:                             ;   in Loop: Header=BB106_20 Depth=1
	v_mov_b32_e32 v7, v20
	v_mov_b64_e32 v[8:9], v[18:19]
	v_mov_b64_e32 v[14:15], v[16:17]
	s_sub_co_i32 s7, s28, s16
	s_delay_alu instid0(SALU_CYCLE_1) | instskip(NEXT) | instid1(SALU_CYCLE_1)
	s_and_b32 s7, s7, 0x7f
	s_cmp_lg_u32 s7, 0
	s_cbranch_scc1 .LBB106_20
	s_branch .LBB106_17
.LBB106_54:                             ;   in Loop: Header=BB106_20 Depth=1
	s_mov_b32 s17, 0
	s_branch .LBB106_56
.LBB106_55:                             ;   in Loop: Header=BB106_56 Depth=2
	global_load_b32 v5, v4, s[34:35] scope:SCOPE_DEV
	s_cmp_lt_u32 s17, 0xf43
	s_cselect_b32 s33, -1, 0
	s_delay_alu instid0(SALU_CYCLE_1)
	s_cmp_lg_u32 s33, 0
	s_add_co_ci_u32 s17, s17, 0
	s_wait_loadcnt 0x0
	v_cmp_ne_u32_e32 vcc_lo, 0, v5
	s_cbranch_vccnz .LBB106_45
.LBB106_56:                             ;   Parent Loop BB106_20 Depth=1
                                        ; =>  This Loop Header: Depth=2
                                        ;       Child Loop BB106_57 Depth 3
	s_cmp_eq_u32 s17, 0
	s_mov_b32 s33, s17
	s_cbranch_scc1 .LBB106_55
.LBB106_57:                             ;   Parent Loop BB106_20 Depth=1
                                        ;     Parent Loop BB106_56 Depth=2
                                        ; =>    This Inner Loop Header: Depth=3
	s_add_co_i32 s33, s33, -1
	s_sleep 1
	s_cmp_eq_u32 s33, 0
	s_cbranch_scc0 .LBB106_57
	s_branch .LBB106_55
.LBB106_58:
	v_mov_b64_e32 v[16:17], v[14:15]
	v_mov_b64_e32 v[18:19], v[8:9]
	s_and_saveexec_b32 s0, s2
	s_cbranch_execnz .LBB106_60
	s_branch .LBB106_61
.LBB106_59:
	v_dual_mov_b32 v4, v18 :: v_dual_mov_b32 v5, v17
	s_and_saveexec_b32 s0, s2
	s_cbranch_execz .LBB106_61
.LBB106_60:
	s_delay_alu instid0(VALU_DEP_1) | instskip(NEXT) | instid1(VALU_DEP_3)
	v_xor_b32_e32 v7, 0x80000000, v18
	v_mov_b32_e32 v6, v17
	s_cmp_eq_u32 s6, 0
	v_lshl_add_u64 v[2:3], s[22:23], 3, v[2:3]
	s_cselect_b32 vcc_lo, -1, 0
	s_delay_alu instid0(VALU_DEP_2) | instskip(NEXT) | instid1(VALU_DEP_1)
	v_pk_mul_f32 v[6:7], v[20:21], v[6:7] op_sel_hi:[0,1]
	v_pk_fma_f32 v[6:7], v[18:19], v[16:17], v[6:7]
	s_delay_alu instid0(VALU_DEP_1)
	v_dual_cndmask_b32 v9, v4, v6 :: v_dual_cndmask_b32 v8, v5, v7
	global_store_b64 v[2:3], v[8:9], off
.LBB106_61:
	s_wait_xcnt 0x0
	s_or_b32 exec_lo, exec_lo, s0
	global_wb scope:SCOPE_DEV
	s_wait_loadcnt 0x0
	s_wait_storecnt 0x0
	global_inv scope:SCOPE_DEV
	s_wait_loadcnt 0x0
	s_barrier_signal -1
	s_barrier_wait -1
	s_mov_b32 s0, exec_lo
	v_cmpx_eq_u32_e32 0, v0
	s_cbranch_execz .LBB106_63
; %bb.62:
	s_lshl_b64 s[0:1], s[20:21], 2
	v_dual_mov_b32 v0, 0 :: v_dual_mov_b32 v1, 1
	s_add_nc_u64 s[0:1], s[14:15], s[0:1]
	s_lshl_b64 s[2:3], s[12:13], 2
	s_delay_alu instid0(SALU_CYCLE_1)
	s_add_nc_u64 s[0:1], s[0:1], s[2:3]
	global_store_b32 v0, v1, s[0:1] scope:SCOPE_DEV
.LBB106_63:
	s_endpgm
.LBB106_64:
                                        ; implicit-def: $sgpr22_sgpr23
	s_clause 0x1
	s_load_b64 s[10:11], s[0:1], 0x50
	s_load_b64 s[16:17], s[0:1], 0x20
	s_branch .LBB106_6
	.section	.rodata,"a",@progbits
	.p2align	6, 0x0
	.amdhsa_kernel _ZN9rocsparseL5csrsmILj128ELj64ELb1Ell21rocsparse_complex_numIfEEEv20rocsparse_operation_T3_S4_NS_24const_host_device_scalarIT4_EEPKT2_PKS4_PKS6_PS6_lPiSC_PS4_21rocsparse_index_base_20rocsparse_fill_mode_20rocsparse_diag_type_b
		.amdhsa_group_segment_fixed_size 2048
		.amdhsa_private_segment_fixed_size 0
		.amdhsa_kernarg_size 112
		.amdhsa_user_sgpr_count 2
		.amdhsa_user_sgpr_dispatch_ptr 0
		.amdhsa_user_sgpr_queue_ptr 0
		.amdhsa_user_sgpr_kernarg_segment_ptr 1
		.amdhsa_user_sgpr_dispatch_id 0
		.amdhsa_user_sgpr_kernarg_preload_length 0
		.amdhsa_user_sgpr_kernarg_preload_offset 0
		.amdhsa_user_sgpr_private_segment_size 0
		.amdhsa_wavefront_size32 1
		.amdhsa_uses_dynamic_stack 0
		.amdhsa_enable_private_segment 0
		.amdhsa_system_sgpr_workgroup_id_x 1
		.amdhsa_system_sgpr_workgroup_id_y 0
		.amdhsa_system_sgpr_workgroup_id_z 0
		.amdhsa_system_sgpr_workgroup_info 0
		.amdhsa_system_vgpr_workitem_id 0
		.amdhsa_next_free_vgpr 26
		.amdhsa_next_free_sgpr 37
		.amdhsa_named_barrier_count 0
		.amdhsa_reserve_vcc 1
		.amdhsa_float_round_mode_32 0
		.amdhsa_float_round_mode_16_64 0
		.amdhsa_float_denorm_mode_32 3
		.amdhsa_float_denorm_mode_16_64 3
		.amdhsa_fp16_overflow 0
		.amdhsa_memory_ordered 1
		.amdhsa_forward_progress 1
		.amdhsa_inst_pref_size 22
		.amdhsa_round_robin_scheduling 0
		.amdhsa_exception_fp_ieee_invalid_op 0
		.amdhsa_exception_fp_denorm_src 0
		.amdhsa_exception_fp_ieee_div_zero 0
		.amdhsa_exception_fp_ieee_overflow 0
		.amdhsa_exception_fp_ieee_underflow 0
		.amdhsa_exception_fp_ieee_inexact 0
		.amdhsa_exception_int_div_zero 0
	.end_amdhsa_kernel
	.section	.text._ZN9rocsparseL5csrsmILj128ELj64ELb1Ell21rocsparse_complex_numIfEEEv20rocsparse_operation_T3_S4_NS_24const_host_device_scalarIT4_EEPKT2_PKS4_PKS6_PS6_lPiSC_PS4_21rocsparse_index_base_20rocsparse_fill_mode_20rocsparse_diag_type_b,"axG",@progbits,_ZN9rocsparseL5csrsmILj128ELj64ELb1Ell21rocsparse_complex_numIfEEEv20rocsparse_operation_T3_S4_NS_24const_host_device_scalarIT4_EEPKT2_PKS4_PKS6_PS6_lPiSC_PS4_21rocsparse_index_base_20rocsparse_fill_mode_20rocsparse_diag_type_b,comdat
.Lfunc_end106:
	.size	_ZN9rocsparseL5csrsmILj128ELj64ELb1Ell21rocsparse_complex_numIfEEEv20rocsparse_operation_T3_S4_NS_24const_host_device_scalarIT4_EEPKT2_PKS4_PKS6_PS6_lPiSC_PS4_21rocsparse_index_base_20rocsparse_fill_mode_20rocsparse_diag_type_b, .Lfunc_end106-_ZN9rocsparseL5csrsmILj128ELj64ELb1Ell21rocsparse_complex_numIfEEEv20rocsparse_operation_T3_S4_NS_24const_host_device_scalarIT4_EEPKT2_PKS4_PKS6_PS6_lPiSC_PS4_21rocsparse_index_base_20rocsparse_fill_mode_20rocsparse_diag_type_b
                                        ; -- End function
	.set _ZN9rocsparseL5csrsmILj128ELj64ELb1Ell21rocsparse_complex_numIfEEEv20rocsparse_operation_T3_S4_NS_24const_host_device_scalarIT4_EEPKT2_PKS4_PKS6_PS6_lPiSC_PS4_21rocsparse_index_base_20rocsparse_fill_mode_20rocsparse_diag_type_b.num_vgpr, 26
	.set _ZN9rocsparseL5csrsmILj128ELj64ELb1Ell21rocsparse_complex_numIfEEEv20rocsparse_operation_T3_S4_NS_24const_host_device_scalarIT4_EEPKT2_PKS4_PKS6_PS6_lPiSC_PS4_21rocsparse_index_base_20rocsparse_fill_mode_20rocsparse_diag_type_b.num_agpr, 0
	.set _ZN9rocsparseL5csrsmILj128ELj64ELb1Ell21rocsparse_complex_numIfEEEv20rocsparse_operation_T3_S4_NS_24const_host_device_scalarIT4_EEPKT2_PKS4_PKS6_PS6_lPiSC_PS4_21rocsparse_index_base_20rocsparse_fill_mode_20rocsparse_diag_type_b.numbered_sgpr, 37
	.set _ZN9rocsparseL5csrsmILj128ELj64ELb1Ell21rocsparse_complex_numIfEEEv20rocsparse_operation_T3_S4_NS_24const_host_device_scalarIT4_EEPKT2_PKS4_PKS6_PS6_lPiSC_PS4_21rocsparse_index_base_20rocsparse_fill_mode_20rocsparse_diag_type_b.num_named_barrier, 0
	.set _ZN9rocsparseL5csrsmILj128ELj64ELb1Ell21rocsparse_complex_numIfEEEv20rocsparse_operation_T3_S4_NS_24const_host_device_scalarIT4_EEPKT2_PKS4_PKS6_PS6_lPiSC_PS4_21rocsparse_index_base_20rocsparse_fill_mode_20rocsparse_diag_type_b.private_seg_size, 0
	.set _ZN9rocsparseL5csrsmILj128ELj64ELb1Ell21rocsparse_complex_numIfEEEv20rocsparse_operation_T3_S4_NS_24const_host_device_scalarIT4_EEPKT2_PKS4_PKS6_PS6_lPiSC_PS4_21rocsparse_index_base_20rocsparse_fill_mode_20rocsparse_diag_type_b.uses_vcc, 1
	.set _ZN9rocsparseL5csrsmILj128ELj64ELb1Ell21rocsparse_complex_numIfEEEv20rocsparse_operation_T3_S4_NS_24const_host_device_scalarIT4_EEPKT2_PKS4_PKS6_PS6_lPiSC_PS4_21rocsparse_index_base_20rocsparse_fill_mode_20rocsparse_diag_type_b.uses_flat_scratch, 0
	.set _ZN9rocsparseL5csrsmILj128ELj64ELb1Ell21rocsparse_complex_numIfEEEv20rocsparse_operation_T3_S4_NS_24const_host_device_scalarIT4_EEPKT2_PKS4_PKS6_PS6_lPiSC_PS4_21rocsparse_index_base_20rocsparse_fill_mode_20rocsparse_diag_type_b.has_dyn_sized_stack, 0
	.set _ZN9rocsparseL5csrsmILj128ELj64ELb1Ell21rocsparse_complex_numIfEEEv20rocsparse_operation_T3_S4_NS_24const_host_device_scalarIT4_EEPKT2_PKS4_PKS6_PS6_lPiSC_PS4_21rocsparse_index_base_20rocsparse_fill_mode_20rocsparse_diag_type_b.has_recursion, 0
	.set _ZN9rocsparseL5csrsmILj128ELj64ELb1Ell21rocsparse_complex_numIfEEEv20rocsparse_operation_T3_S4_NS_24const_host_device_scalarIT4_EEPKT2_PKS4_PKS6_PS6_lPiSC_PS4_21rocsparse_index_base_20rocsparse_fill_mode_20rocsparse_diag_type_b.has_indirect_call, 0
	.section	.AMDGPU.csdata,"",@progbits
; Kernel info:
; codeLenInByte = 2788
; TotalNumSgprs: 39
; NumVgprs: 26
; ScratchSize: 0
; MemoryBound: 0
; FloatMode: 240
; IeeeMode: 1
; LDSByteSize: 2048 bytes/workgroup (compile time only)
; SGPRBlocks: 0
; VGPRBlocks: 1
; NumSGPRsForWavesPerEU: 39
; NumVGPRsForWavesPerEU: 26
; NamedBarCnt: 0
; Occupancy: 16
; WaveLimiterHint : 1
; COMPUTE_PGM_RSRC2:SCRATCH_EN: 0
; COMPUTE_PGM_RSRC2:USER_SGPR: 2
; COMPUTE_PGM_RSRC2:TRAP_HANDLER: 0
; COMPUTE_PGM_RSRC2:TGID_X_EN: 1
; COMPUTE_PGM_RSRC2:TGID_Y_EN: 0
; COMPUTE_PGM_RSRC2:TGID_Z_EN: 0
; COMPUTE_PGM_RSRC2:TIDIG_COMP_CNT: 0
	.section	.text._ZN9rocsparseL5csrsmILj128ELj64ELb0Ell21rocsparse_complex_numIfEEEv20rocsparse_operation_T3_S4_NS_24const_host_device_scalarIT4_EEPKT2_PKS4_PKS6_PS6_lPiSC_PS4_21rocsparse_index_base_20rocsparse_fill_mode_20rocsparse_diag_type_b,"axG",@progbits,_ZN9rocsparseL5csrsmILj128ELj64ELb0Ell21rocsparse_complex_numIfEEEv20rocsparse_operation_T3_S4_NS_24const_host_device_scalarIT4_EEPKT2_PKS4_PKS6_PS6_lPiSC_PS4_21rocsparse_index_base_20rocsparse_fill_mode_20rocsparse_diag_type_b,comdat
	.globl	_ZN9rocsparseL5csrsmILj128ELj64ELb0Ell21rocsparse_complex_numIfEEEv20rocsparse_operation_T3_S4_NS_24const_host_device_scalarIT4_EEPKT2_PKS4_PKS6_PS6_lPiSC_PS4_21rocsparse_index_base_20rocsparse_fill_mode_20rocsparse_diag_type_b ; -- Begin function _ZN9rocsparseL5csrsmILj128ELj64ELb0Ell21rocsparse_complex_numIfEEEv20rocsparse_operation_T3_S4_NS_24const_host_device_scalarIT4_EEPKT2_PKS4_PKS6_PS6_lPiSC_PS4_21rocsparse_index_base_20rocsparse_fill_mode_20rocsparse_diag_type_b
	.p2align	8
	.type	_ZN9rocsparseL5csrsmILj128ELj64ELb0Ell21rocsparse_complex_numIfEEEv20rocsparse_operation_T3_S4_NS_24const_host_device_scalarIT4_EEPKT2_PKS4_PKS6_PS6_lPiSC_PS4_21rocsparse_index_base_20rocsparse_fill_mode_20rocsparse_diag_type_b,@function
_ZN9rocsparseL5csrsmILj128ELj64ELb0Ell21rocsparse_complex_numIfEEEv20rocsparse_operation_T3_S4_NS_24const_host_device_scalarIT4_EEPKT2_PKS4_PKS6_PS6_lPiSC_PS4_21rocsparse_index_base_20rocsparse_fill_mode_20rocsparse_diag_type_b: ; @_ZN9rocsparseL5csrsmILj128ELj64ELb0Ell21rocsparse_complex_numIfEEEv20rocsparse_operation_T3_S4_NS_24const_host_device_scalarIT4_EEPKT2_PKS4_PKS6_PS6_lPiSC_PS4_21rocsparse_index_base_20rocsparse_fill_mode_20rocsparse_diag_type_b
; %bb.0:
	s_clause 0x2
	s_load_b128 s[4:7], s[0:1], 0x60
	s_load_b64 s[2:3], s[0:1], 0x18
	s_load_b128 s[12:15], s[0:1], 0x8
	s_wait_kmcnt 0x0
	s_bitcmp1_b32 s7, 0
	s_mov_b32 s25, s2
	s_cselect_b32 s8, -1, 0
	s_delay_alu instid0(SALU_CYCLE_1)
	s_xor_b32 s7, s8, -1
	s_and_b32 vcc_lo, exec_lo, s8
	s_cbranch_vccnz .LBB107_2
; %bb.1:
	s_load_b32 s25, s[2:3], 0x0
.LBB107_2:
	s_and_not1_b32 vcc_lo, exec_lo, s7
	s_cbranch_vccnz .LBB107_4
; %bb.3:
	s_wait_xcnt 0x0
	s_load_b32 s3, s[2:3], 0x4
.LBB107_4:
	s_wait_xcnt 0x0
	s_bfe_u32 s2, ttmp6, 0x4000c
	s_and_b32 s7, ttmp6, 15
	s_add_co_i32 s2, s2, 1
	s_getreg_b32 s8, hwreg(HW_REG_IB_STS2, 6, 4)
	s_mul_i32 s2, ttmp9, s2
	s_mov_b32 s9, 0
	s_add_co_i32 s7, s7, s2
	s_cmp_eq_u32 s8, 0
	s_cselect_b32 s8, ttmp9, s7
	s_and_b64 s[10:11], s[12:13], 0xffffffff00000000
	s_delay_alu instid0(SALU_CYCLE_1)
	s_cmp_lg_u64 s[10:11], 0
	s_cbranch_scc0 .LBB107_61
; %bb.5:
	s_ashr_i32 s10, s13, 31
	s_mov_b32 s23, s9
	s_mov_b32 s11, s10
	;; [unrolled: 1-line block ×3, first 2 shown]
	s_add_nc_u64 s[16:17], s[12:13], s[10:11]
	s_delay_alu instid0(SALU_CYCLE_1) | instskip(NEXT) | instid1(SALU_CYCLE_1)
	s_xor_b64 s[16:17], s[16:17], s[10:11]
	s_cvt_f32_u32 s2, s16
	s_cvt_f32_u32 s7, s17
	s_sub_nc_u64 s[20:21], 0, s[16:17]
	s_delay_alu instid0(SALU_CYCLE_2) | instskip(NEXT) | instid1(SALU_CYCLE_3)
	s_fmamk_f32 s2, s7, 0x4f800000, s2
	v_s_rcp_f32 s2, s2
	s_delay_alu instid0(TRANS32_DEP_1) | instskip(NEXT) | instid1(SALU_CYCLE_3)
	s_mul_f32 s2, s2, 0x5f7ffffc
	s_mul_f32 s7, s2, 0x2f800000
	s_delay_alu instid0(SALU_CYCLE_3) | instskip(NEXT) | instid1(SALU_CYCLE_3)
	s_trunc_f32 s7, s7
	s_fmamk_f32 s2, s7, 0xcf800000, s2
	s_cvt_u32_f32 s19, s7
	s_delay_alu instid0(SALU_CYCLE_2) | instskip(NEXT) | instid1(SALU_CYCLE_3)
	s_cvt_u32_f32 s18, s2
	s_mul_u64 s[26:27], s[20:21], s[18:19]
	s_delay_alu instid0(SALU_CYCLE_1)
	s_mul_hi_u32 s31, s18, s27
	s_mul_i32 s30, s18, s27
	s_mul_hi_u32 s22, s18, s26
	s_mul_i32 s7, s19, s26
	s_add_nc_u64 s[22:23], s[22:23], s[30:31]
	s_mul_hi_u32 s2, s19, s26
	s_mul_hi_u32 s24, s19, s27
	s_add_co_u32 s7, s22, s7
	s_add_co_ci_u32 s28, s23, s2
	s_mul_i32 s26, s19, s27
	s_add_co_ci_u32 s27, s24, 0
	s_delay_alu instid0(SALU_CYCLE_1) | instskip(SKIP_3) | instid1(SALU_CYCLE_1)
	s_add_nc_u64 s[22:23], s[28:29], s[26:27]
	s_mov_b32 s27, s9
	s_add_co_u32 s18, s18, s22
	s_cselect_b32 s2, -1, 0
	s_cmp_lg_u32 s2, 0
	s_add_co_ci_u32 s19, s19, s23
	s_mov_b32 s23, s9
	s_mul_u64 s[20:21], s[20:21], s[18:19]
	s_delay_alu instid0(SALU_CYCLE_1)
	s_mul_hi_u32 s29, s18, s21
	s_mul_i32 s28, s18, s21
	s_mul_hi_u32 s22, s18, s20
	s_mul_i32 s7, s19, s20
	s_add_nc_u64 s[22:23], s[22:23], s[28:29]
	s_mul_hi_u32 s2, s19, s20
	s_mul_hi_u32 s24, s19, s21
	s_add_co_u32 s7, s22, s7
	s_add_co_ci_u32 s26, s23, s2
	s_mul_i32 s20, s19, s21
	s_add_co_ci_u32 s21, s24, 0
	s_add_nc_u64 s[22:23], s[8:9], 0
	s_add_nc_u64 s[20:21], s[26:27], s[20:21]
	s_delay_alu instid0(SALU_CYCLE_1) | instskip(SKIP_1) | instid1(SALU_CYCLE_1)
	s_add_co_u32 s2, s18, s20
	s_cselect_b32 s7, -1, 0
	s_cmp_lg_u32 s7, 0
	s_add_co_ci_u32 s7, s19, s21
	s_xor_b64 s[18:19], s[22:23], 0
	s_mov_b32 s21, s9
	s_mul_hi_u32 s23, s18, s7
	s_mul_i32 s22, s18, s7
	s_mul_hi_u32 s26, s18, s2
	s_mul_hi_u32 s20, s19, s2
	s_mul_i32 s2, s19, s2
	s_add_nc_u64 s[22:23], s[26:27], s[22:23]
	s_mul_hi_u32 s24, s19, s7
	s_add_co_u32 s2, s22, s2
	s_add_co_ci_u32 s20, s23, s20
	s_mul_i32 s26, s19, s7
	s_add_co_ci_u32 s27, s24, 0
	s_delay_alu instid0(SALU_CYCLE_1) | instskip(NEXT) | instid1(SALU_CYCLE_1)
	s_add_nc_u64 s[20:21], s[20:21], s[26:27]
	s_and_b64 s[22:23], s[20:21], 0xffffffff00000000
	s_delay_alu instid0(SALU_CYCLE_1) | instskip(NEXT) | instid1(SALU_CYCLE_1)
	s_or_b32 s22, s22, s20
	s_mul_u64 s[20:21], s[16:17], s[22:23]
	s_add_nc_u64 s[26:27], s[22:23], 1
	s_sub_co_u32 s2, s18, s20
	s_cselect_b32 s7, -1, 0
	s_sub_co_i32 s18, s19, s21
	s_cmp_lg_u32 s7, 0
	s_add_nc_u64 s[28:29], s[22:23], 2
	s_sub_co_ci_u32 s18, s18, s17
	s_sub_co_u32 s20, s2, s16
	s_cselect_b32 s24, -1, 0
	s_delay_alu instid0(SALU_CYCLE_1) | instskip(SKIP_1) | instid1(SALU_CYCLE_1)
	s_cmp_lg_u32 s24, 0
	s_sub_co_ci_u32 s18, s18, 0
	s_cmp_ge_u32 s18, s17
	s_cselect_b32 s24, -1, 0
	s_cmp_ge_u32 s20, s16
	s_cselect_b32 s20, -1, 0
	s_cmp_eq_u32 s18, s17
	s_cselect_b32 s18, s20, s24
	s_delay_alu instid0(SALU_CYCLE_1) | instskip(SKIP_4) | instid1(SALU_CYCLE_1)
	s_cmp_lg_u32 s18, 0
	s_cselect_b32 s18, s28, s26
	s_cselect_b32 s20, s29, s27
	s_cmp_lg_u32 s7, 0
	s_sub_co_ci_u32 s7, s19, s21
	s_cmp_ge_u32 s7, s17
	s_cselect_b32 s19, -1, 0
	s_cmp_ge_u32 s2, s16
	s_cselect_b32 s2, -1, 0
	s_cmp_eq_u32 s7, s17
	s_cselect_b32 s2, s2, s19
	s_delay_alu instid0(SALU_CYCLE_1) | instskip(SKIP_4) | instid1(SALU_CYCLE_1)
	s_cmp_lg_u32 s2, 0
	s_mov_b32 s2, s9
	s_cselect_b32 s17, s20, s23
	s_cselect_b32 s16, s18, s22
	s_xor_b64 s[10:11], 0, s[10:11]
	s_xor_b64 s[16:17], s[16:17], s[10:11]
	s_delay_alu instid0(SALU_CYCLE_1)
	s_sub_nc_u64 s[22:23], s[16:17], s[10:11]
	s_clause 0x1
	s_load_b64 s[10:11], s[0:1], 0x50
	s_load_b64 s[16:17], s[0:1], 0x20
	s_and_not1_b32 vcc_lo, exec_lo, s2
	s_cbranch_vccnz .LBB107_7
.LBB107_6:
	v_cvt_f32_u32_e32 v1, s12
	s_sub_co_i32 s7, 0, s12
	s_mov_b32 s23, 0
	s_delay_alu instid0(VALU_DEP_1) | instskip(SKIP_1) | instid1(TRANS32_DEP_1)
	v_rcp_iflag_f32_e32 v1, v1
	v_nop
	v_mul_f32_e32 v1, 0x4f7ffffe, v1
	s_delay_alu instid0(VALU_DEP_1) | instskip(NEXT) | instid1(VALU_DEP_1)
	v_cvt_u32_f32_e32 v1, v1
	v_readfirstlane_b32 s2, v1
	s_mul_i32 s7, s7, s2
	s_delay_alu instid0(SALU_CYCLE_1) | instskip(NEXT) | instid1(SALU_CYCLE_1)
	s_mul_hi_u32 s7, s2, s7
	s_add_co_i32 s2, s2, s7
	s_delay_alu instid0(SALU_CYCLE_1) | instskip(NEXT) | instid1(SALU_CYCLE_1)
	s_mul_hi_u32 s2, s8, s2
	s_mul_i32 s7, s2, s12
	s_add_co_i32 s18, s2, 1
	s_sub_co_i32 s7, s8, s7
	s_delay_alu instid0(SALU_CYCLE_1)
	s_sub_co_i32 s19, s7, s12
	s_cmp_ge_u32 s7, s12
	s_cselect_b32 s2, s18, s2
	s_cselect_b32 s7, s19, s7
	s_add_co_i32 s18, s2, 1
	s_cmp_ge_u32 s7, s12
	s_cselect_b32 s22, s18, s2
.LBB107_7:
	s_delay_alu instid0(SALU_CYCLE_1)
	s_mul_u64 s[12:13], s[22:23], s[12:13]
	s_load_b32 s7, s[0:1], 0x0
	s_sub_nc_u64 s[8:9], s[8:9], s[12:13]
	s_lshl_b64 s[22:23], s[22:23], 7
	s_lshl_b64 s[8:9], s[8:9], 3
	v_dual_mov_b32 v3, s23 :: v_dual_bitop2_b32 v2, s22, v0 bitop3:0x54
	s_wait_kmcnt 0x0
	s_add_nc_u64 s[18:19], s[10:11], s[8:9]
	s_load_b64 s[20:21], s[18:19], 0x0
	s_load_b128 s[8:11], s[0:1], 0x38
	v_mov_b32_e32 v1, 0
	v_cmp_gt_i64_e64 s2, s[14:15], v[2:3]
	s_wait_kmcnt 0x0
	s_lshl_b64 s[18:19], s[20:21], 3
	s_mul_u64 s[22:23], s[20:21], s[10:11]
	s_add_nc_u64 s[26:27], s[16:17], s[18:19]
	v_add_nc_u64_e32 v[6:7], s[22:23], v[2:3]
	s_load_b128 s[16:19], s[26:27], 0x0
	s_cmp_lg_u32 s7, 0x71
	s_cbranch_scc0 .LBB107_11
; %bb.8:
	v_mov_b64_e32 v[4:5], 0
	s_and_saveexec_b32 s7, s2
	s_cbranch_execz .LBB107_10
; %bb.9:
	v_lshl_add_u64 v[4:5], v[6:7], 3, s[8:9]
	s_xor_b32 s14, s3, 0x80000000
	s_delay_alu instid0(SALU_CYCLE_1) | instskip(SKIP_4) | instid1(VALU_DEP_1)
	v_dual_mov_b32 v9, s25 :: v_dual_mov_b32 v11, s14
	v_dual_mov_b32 v10, s25 :: v_dual_mov_b32 v8, s3
	global_load_b64 v[4:5], v[4:5], off
	s_wait_loadcnt 0x0
	v_pk_mul_f32 v[10:11], v[4:5], v[10:11] op_sel:[1,0]
	v_pk_fma_f32 v[4:5], v[8:9], v[4:5], v[10:11] op_sel_hi:[1,0,1]
.LBB107_10:
	s_or_b32 exec_lo, exec_lo, s7
	s_cbranch_execz .LBB107_12
	s_branch .LBB107_15
.LBB107_11:
                                        ; implicit-def: $vgpr4_vgpr5
.LBB107_12:
	v_mov_b64_e32 v[4:5], 0
	s_and_saveexec_b32 s7, s2
	s_cbranch_execz .LBB107_14
; %bb.13:
	v_lshl_add_u64 v[4:5], v[6:7], 3, s[8:9]
	s_mov_b32 s24, s3
	s_delay_alu instid0(SALU_CYCLE_1) | instskip(SKIP_3) | instid1(VALU_DEP_1)
	v_mov_b64_e32 v[6:7], s[24:25]
	global_load_b64 v[4:5], v[4:5], off
	s_wait_loadcnt 0x0
	v_pk_mul_f32 v[8:9], v[4:5], v[6:7] op_sel:[1,0] neg_hi:[1,0]
	v_pk_fma_f32 v[4:5], v[6:7], v[4:5], v[8:9] op_sel:[0,0,1] op_sel_hi:[1,0,0]
.LBB107_14:
	s_or_b32 exec_lo, exec_lo, s7
.LBB107_15:
	s_load_b64 s[14:15], s[0:1], 0x48
	s_wait_kmcnt 0x0
	v_cmp_ge_i64_e64 s3, s[16:17], s[18:19]
	v_dual_mov_b32 v9, 1.0 :: v_dual_mov_b32 v8, v4
	v_lshl_add_u64 v[2:3], v[2:3], 3, s[8:9]
	v_dual_mov_b32 v15, v5 :: v_dual_mov_b32 v20, 0
	s_delay_alu instid0(VALU_DEP_3)
	v_mov_b32_e32 v14, v9
	s_and_b32 vcc_lo, exec_lo, s3
	v_cmp_eq_u32_e64 s3, 0, v0
	s_cbranch_vccnz .LBB107_55
; %bb.16:
	s_clause 0x1
	s_load_b128 s[28:31], s[0:1], 0x28
	s_load_b64 s[8:9], s[0:1], 0x58
	v_dual_mov_b32 v4, 0 :: v_dual_lshlrev_b32 v6, 3, v0
	s_wait_xcnt 0x0
	s_mov_b32 s1, 0
	s_mov_b32 s0, s4
	s_lshl_b64 s[24:25], s[12:13], 2
	v_mov_b32_e32 v7, v4
	v_or_b32_e32 v21, 0x400, v6
	s_cmp_eq_u32 s6, 0
	s_sub_nc_u64 s[16:17], s[16:17], s[0:1]
	s_add_nc_u64 s[24:25], s[14:15], s[24:25]
	s_cselect_b32 s4, -1, 0
	s_sub_nc_u64 s[18:19], s[18:19], s[0:1]
	s_add_nc_u64 s[26:27], s[20:21], s[0:1]
	s_wait_kmcnt 0x0
	v_add_nc_u64_e32 v[10:11], s[28:29], v[6:7]
	v_add_nc_u64_e32 v[12:13], s[30:31], v[6:7]
	v_mov_b32_e32 v7, 0
	s_mov_b64 s[28:29], s[16:17]
	s_delay_alu instid0(SALU_CYCLE_1) | instskip(NEXT) | instid1(SALU_CYCLE_1)
	s_sub_co_i32 s7, s28, s16
	s_and_b32 s7, s7, 0x7f
	s_delay_alu instid0(SALU_CYCLE_1)
	s_cmp_lg_u32 s7, 0
	s_cbranch_scc1 .LBB107_20
.LBB107_17:
	v_mov_b64_e32 v[18:19], -1
	v_dual_mov_b32 v17, 0 :: v_dual_mov_b32 v16, -1.0
	s_sub_nc_u64 s[30:31], s[18:19], s[28:29]
	s_mov_b32 s17, exec_lo
	v_cmpx_gt_i64_e64 s[30:31], v[0:1]
	s_cbranch_execz .LBB107_19
; %bb.18:
	s_lshl_b64 s[30:31], s[28:29], 3
	s_delay_alu instid0(SALU_CYCLE_1)
	v_add_nc_u64_e32 v[16:17], s[30:31], v[10:11]
	global_load_b64 v[18:19], v[16:17], off
	s_wait_xcnt 0x0
	v_add_nc_u64_e32 v[16:17], s[30:31], v[12:13]
	global_load_b64 v[16:17], v[16:17], off
	s_wait_loadcnt 0x1
	v_sub_nc_u64_e64 v[18:19], v[18:19], s[0:1]
.LBB107_19:
	s_wait_xcnt 0x0
	s_or_b32 exec_lo, exec_lo, s17
	ds_store_b64 v6, v[18:19]
	s_wait_loadcnt 0x0
	ds_store_b64 v21, v[16:17]
.LBB107_20:                             ; =>This Loop Header: Depth=1
                                        ;     Child Loop BB107_45 Depth 2
	s_lshl_b32 s7, s7, 3
	s_wait_dscnt 0x0
	v_mov_b32_e32 v5, s7
	s_barrier_signal -1
	s_barrier_wait -1
	ds_load_2addr_stride64_b64 v[16:19], v5 offset1:2
	s_wait_dscnt 0x0
	v_readfirstlane_b32 s7, v18
	v_readfirstlane_b32 s33, v19
	;; [unrolled: 1-line block ×4, first 2 shown]
	s_cmp_eq_f32 s7, 0
	s_cselect_b32 s17, -1, 0
	s_cmp_eq_f32 s33, 0
	s_cselect_b32 s34, -1, 0
	s_delay_alu instid0(SALU_CYCLE_1)
	s_and_b32 s35, s17, s34
	s_cmp_eq_u64 s[30:31], s[20:21]
	s_cselect_b32 s34, -1, 0
	s_cmp_lg_u64 s[30:31], s[20:21]
	s_cselect_b32 s17, -1, 0
	s_and_b32 s35, s35, s34
	s_delay_alu instid0(SALU_CYCLE_1) | instskip(NEXT) | instid1(SALU_CYCLE_1)
	s_and_b32 s35, s4, s35
	s_and_b32 s36, s3, s35
	s_and_b32 s35, s35, exec_lo
	s_cselect_b32 s33, 0, s33
	s_cselect_b32 s7, 1.0, s7
	s_delay_alu instid0(SALU_CYCLE_1)
	v_dual_mov_b32 v22, s33 :: v_dual_mov_b32 v23, s7
	s_and_saveexec_b32 s7, s36
	s_cbranch_execz .LBB107_24
; %bb.21:                               ;   in Loop: Header=BB107_20 Depth=1
	v_mbcnt_lo_u32_b32 v5, exec_lo, 0
	s_mov_b32 s33, exec_lo
	s_delay_alu instid0(VALU_DEP_1)
	v_cmpx_eq_u32_e32 0, v5
	s_cbranch_execz .LBB107_23
; %bb.22:                               ;   in Loop: Header=BB107_20 Depth=1
	v_mov_b64_e32 v[16:17], s[26:27]
	global_atomic_min_u64 v4, v[16:17], s[8:9] scope:SCOPE_DEV
.LBB107_23:                             ;   in Loop: Header=BB107_20 Depth=1
	s_wait_xcnt 0x0
	s_or_b32 exec_lo, exec_lo, s33
	v_dual_mov_b32 v23, 1.0 :: v_dual_mov_b32 v22, 0
.LBB107_24:                             ;   in Loop: Header=BB107_20 Depth=1
	s_or_b32 exec_lo, exec_lo, s7
	s_mov_b32 s35, -1
	s_mov_b32 s7, 0
	s_cmp_lt_i32 s5, 1
	s_mov_b32 s33, 0
                                        ; implicit-def: $vgpr16_vgpr17
                                        ; implicit-def: $vgpr18_vgpr19
                                        ; implicit-def: $vgpr20
	s_cbranch_scc0 .LBB107_31
; %bb.25:                               ;   in Loop: Header=BB107_20 Depth=1
	s_and_b32 vcc_lo, exec_lo, s35
	s_mov_b32 s34, 4
	s_cbranch_vccnz .LBB107_38
.LBB107_26:                             ;   in Loop: Header=BB107_20 Depth=1
	s_and_b32 vcc_lo, exec_lo, s33
	s_cbranch_vccnz .LBB107_43
.LBB107_27:                             ;   in Loop: Header=BB107_20 Depth=1
	s_and_b32 vcc_lo, exec_lo, s7
	s_cbranch_vccnz .LBB107_49
.LBB107_28:                             ;   in Loop: Header=BB107_20 Depth=1
	s_mov_b32 s7, -1
	s_cmp_gt_i32 s34, 3
	s_mov_b32 s17, -1
	s_cbranch_scc0 .LBB107_52
.LBB107_29:                             ;   in Loop: Header=BB107_20 Depth=1
	s_and_not1_b32 vcc_lo, exec_lo, s17
	s_cbranch_vccz .LBB107_53
.LBB107_30:                             ;   in Loop: Header=BB107_20 Depth=1
	s_and_not1_b32 vcc_lo, exec_lo, s7
	s_cbranch_vccnz .LBB107_54
	s_branch .LBB107_56
.LBB107_31:                             ;   in Loop: Header=BB107_20 Depth=1
	s_cmp_eq_u32 s5, 1
	s_mov_b32 s33, -1
                                        ; implicit-def: $vgpr16_vgpr17
                                        ; implicit-def: $vgpr18_vgpr19
                                        ; implicit-def: $vgpr20
	s_cbranch_scc0 .LBB107_37
; %bb.32:                               ;   in Loop: Header=BB107_20 Depth=1
	v_cmp_ge_i64_e64 s33, s[30:31], s[20:21]
	v_mov_b64_e32 v[16:17], v[14:15]
	v_mov_b64_e32 v[18:19], v[8:9]
	v_mov_b32_e32 v20, v7
	s_and_b32 vcc_lo, exec_lo, s33
	s_mov_b32 s33, 0
	s_cbranch_vccz .LBB107_37
; %bb.33:                               ;   in Loop: Header=BB107_20 Depth=1
	s_and_b32 vcc_lo, exec_lo, s34
	s_mov_b32 s33, -1
                                        ; implicit-def: $vgpr16_vgpr17
                                        ; implicit-def: $vgpr18_vgpr19
                                        ; implicit-def: $vgpr20
	s_cbranch_vccz .LBB107_37
; %bb.34:                               ;   in Loop: Header=BB107_20 Depth=1
	v_mov_b64_e32 v[16:17], v[14:15]
	v_mov_b64_e32 v[18:19], v[8:9]
	v_mov_b32_e32 v20, v7
	s_and_not1_b32 vcc_lo, exec_lo, s4
	s_cbranch_vccnz .LBB107_36
; %bb.35:                               ;   in Loop: Header=BB107_20 Depth=1
	v_mul_f32_e32 v5, v22, v22
	s_delay_alu instid0(VALU_DEP_1) | instskip(NEXT) | instid1(VALU_DEP_1)
	v_fmac_f32_e32 v5, v23, v23
	v_div_scale_f32 v16, null, v5, v5, 1.0
	v_div_scale_f32 v19, vcc_lo, 1.0, v5, 1.0
	s_delay_alu instid0(VALU_DEP_2) | instskip(SKIP_1) | instid1(TRANS32_DEP_1)
	v_rcp_f32_e32 v17, v16
	v_nop
	v_fma_f32 v18, -v16, v17, 1.0
	s_delay_alu instid0(VALU_DEP_1) | instskip(NEXT) | instid1(VALU_DEP_1)
	v_fmac_f32_e32 v17, v18, v17
	v_mul_f32_e32 v18, v19, v17
	s_delay_alu instid0(VALU_DEP_1) | instskip(NEXT) | instid1(VALU_DEP_1)
	v_fma_f32 v20, -v16, v18, v19
	v_fmac_f32_e32 v18, v20, v17
	s_delay_alu instid0(VALU_DEP_1) | instskip(NEXT) | instid1(VALU_DEP_1)
	v_fma_f32 v16, -v16, v18, v19
	v_div_fmas_f32 v16, v16, v17, v18
	v_dual_fma_f32 v17, 0, v22, v23 :: v_dual_mov_b32 v18, v8
	s_delay_alu instid0(VALU_DEP_2) | instskip(SKIP_1) | instid1(VALU_DEP_1)
	v_div_fixup_f32 v5, v16, v5, 1.0
	v_fma_f32 v16, v23, 0, -v22
	v_dual_mul_f32 v19, v17, v5 :: v_dual_mul_f32 v20, v16, v5
	s_delay_alu instid0(VALU_DEP_1)
	v_dual_mov_b32 v17, v15 :: v_dual_mov_b32 v16, v19
.LBB107_36:                             ;   in Loop: Header=BB107_20 Depth=1
	s_mov_b32 s33, 0
.LBB107_37:                             ;   in Loop: Header=BB107_20 Depth=1
	s_mov_b32 s34, 4
	s_branch .LBB107_26
.LBB107_38:                             ;   in Loop: Header=BB107_20 Depth=1
	s_cmp_eq_u32 s5, 0
	s_cbranch_scc1 .LBB107_40
; %bb.39:                               ;   in Loop: Header=BB107_20 Depth=1
	s_mov_b32 s33, -1
	s_branch .LBB107_42
.LBB107_40:                             ;   in Loop: Header=BB107_20 Depth=1
	v_cmp_le_i64_e64 s33, s[30:31], s[20:21]
	s_and_b32 vcc_lo, exec_lo, s33
	s_mov_b32 s33, 0
	s_cbranch_vccz .LBB107_42
; %bb.41:                               ;   in Loop: Header=BB107_20 Depth=1
	s_mov_b32 s7, -1
	s_mov_b32 s33, s17
.LBB107_42:                             ;   in Loop: Header=BB107_20 Depth=1
	v_mov_b64_e32 v[16:17], v[14:15]
	v_mov_b64_e32 v[18:19], v[8:9]
	v_mov_b32_e32 v20, v7
	s_mov_b32 s34, 2
	s_and_b32 vcc_lo, exec_lo, s33
	s_cbranch_vccz .LBB107_27
.LBB107_43:                             ;   in Loop: Header=BB107_20 Depth=1
	s_and_saveexec_b32 s7, s3
	s_cbranch_execz .LBB107_46
; %bb.44:                               ;   in Loop: Header=BB107_20 Depth=1
	s_lshl_b64 s[34:35], s[30:31], 2
	s_delay_alu instid0(SALU_CYCLE_1)
	s_add_nc_u64 s[34:35], s[24:25], s[34:35]
	global_load_b32 v5, v4, s[34:35] scope:SCOPE_DEV
	s_wait_loadcnt 0x0
	v_cmp_ne_u32_e32 vcc_lo, 0, v5
	s_cbranch_vccnz .LBB107_46
.LBB107_45:                             ;   Parent Loop BB107_20 Depth=1
                                        ; =>  This Inner Loop Header: Depth=2
	global_load_b32 v5, v4, s[34:35] scope:SCOPE_DEV
	s_wait_loadcnt 0x0
	v_cmp_eq_u32_e32 vcc_lo, 0, v5
	s_cbranch_vccnz .LBB107_45
.LBB107_46:                             ;   in Loop: Header=BB107_20 Depth=1
	s_wait_xcnt 0x0
	s_or_b32 exec_lo, exec_lo, s7
	v_dual_mov_b32 v5, v9 :: v_dual_mov_b32 v16, v9
	v_mov_b32_e32 v17, v4
	s_wait_storecnt 0x0
	s_barrier_signal -1
	s_delay_alu instid0(VALU_DEP_2)
	v_mov_b64_e32 v[18:19], v[4:5]
	s_barrier_wait -1
	global_inv scope:SCOPE_DEV
	s_and_saveexec_b32 s7, s2
	s_cbranch_execz .LBB107_48
; %bb.47:                               ;   in Loop: Header=BB107_20 Depth=1
	s_mul_u64 s[30:31], s[30:31], s[10:11]
	s_delay_alu instid0(SALU_CYCLE_1) | instskip(SKIP_4) | instid1(VALU_DEP_2)
	v_lshl_add_u64 v[16:17], s[30:31], 3, v[2:3]
	global_load_b64 v[24:25], v[16:17], off
	s_wait_loadcnt 0x0
	v_dual_mov_b32 v16, v9 :: v_dual_fma_f32 v17, -v23, v24, v15
	v_dual_fma_f32 v5, -v22, v24, v8 :: v_dual_mov_b32 v19, v9
	v_fmac_f32_e32 v17, v22, v25
	s_delay_alu instid0(VALU_DEP_2)
	v_fma_f32 v18, -v23, v25, v5
.LBB107_48:                             ;   in Loop: Header=BB107_20 Depth=1
	s_or_b32 exec_lo, exec_lo, s7
	v_mov_b32_e32 v20, v7
	s_mov_b32 s34, 0
	s_branch .LBB107_28
.LBB107_49:                             ;   in Loop: Header=BB107_20 Depth=1
	s_and_not1_b32 vcc_lo, exec_lo, s4
	s_cbranch_vccnz .LBB107_51
; %bb.50:                               ;   in Loop: Header=BB107_20 Depth=1
	v_mul_f32_e32 v5, v22, v22
	s_delay_alu instid0(VALU_DEP_1) | instskip(NEXT) | instid1(VALU_DEP_1)
	v_fmac_f32_e32 v5, v23, v23
	v_div_scale_f32 v7, null, v5, v5, 1.0
	v_div_scale_f32 v16, vcc_lo, 1.0, v5, 1.0
	s_delay_alu instid0(VALU_DEP_2) | instskip(SKIP_1) | instid1(TRANS32_DEP_1)
	v_rcp_f32_e32 v9, v7
	v_nop
	v_fma_f32 v14, -v7, v9, 1.0
	s_delay_alu instid0(VALU_DEP_1) | instskip(NEXT) | instid1(VALU_DEP_1)
	v_fmac_f32_e32 v9, v14, v9
	v_mul_f32_e32 v14, v16, v9
	s_delay_alu instid0(VALU_DEP_1) | instskip(NEXT) | instid1(VALU_DEP_1)
	v_fma_f32 v17, -v7, v14, v16
	v_fmac_f32_e32 v14, v17, v9
	s_delay_alu instid0(VALU_DEP_1) | instskip(NEXT) | instid1(VALU_DEP_1)
	v_fma_f32 v7, -v7, v14, v16
	v_div_fmas_f32 v7, v7, v9, v14
	v_fma_f32 v14, v23, 0, -v22
	s_delay_alu instid0(VALU_DEP_2) | instskip(SKIP_1) | instid1(VALU_DEP_1)
	v_div_fixup_f32 v5, v7, v5, 1.0
	v_fma_f32 v7, 0, v22, v23
	v_dual_mul_f32 v9, v7, v5 :: v_dual_mul_f32 v7, v14, v5
	s_delay_alu instid0(VALU_DEP_1)
	v_mov_b32_e32 v14, v9
.LBB107_51:                             ;   in Loop: Header=BB107_20 Depth=1
	v_mov_b64_e32 v[18:19], v[8:9]
	s_delay_alu instid0(VALU_DEP_2) | instskip(NEXT) | instid1(VALU_DEP_4)
	v_mov_b64_e32 v[16:17], v[14:15]
	v_mov_b32_e32 v20, v7
	s_mov_b32 s34, 2
	s_mov_b32 s7, -1
	s_cmp_gt_i32 s34, 3
	s_mov_b32 s17, -1
	s_cbranch_scc1 .LBB107_29
.LBB107_52:                             ;   in Loop: Header=BB107_20 Depth=1
	s_cmp_eq_u32 s34, 0
	s_cselect_b32 s17, -1, 0
	s_delay_alu instid0(SALU_CYCLE_1)
	s_and_not1_b32 vcc_lo, exec_lo, s17
	s_cbranch_vccnz .LBB107_30
.LBB107_53:                             ;   in Loop: Header=BB107_20 Depth=1
	s_add_nc_u64 s[28:29], s[28:29], 1
	s_delay_alu instid0(SALU_CYCLE_1)
	v_cmp_ge_i64_e64 s7, s[28:29], s[18:19]
	s_and_not1_b32 vcc_lo, exec_lo, s7
	s_cbranch_vccz .LBB107_56
.LBB107_54:                             ;   in Loop: Header=BB107_20 Depth=1
	v_mov_b32_e32 v7, v20
	v_mov_b64_e32 v[8:9], v[18:19]
	v_mov_b64_e32 v[14:15], v[16:17]
	s_sub_co_i32 s7, s28, s16
	s_delay_alu instid0(SALU_CYCLE_1) | instskip(NEXT) | instid1(SALU_CYCLE_1)
	s_and_b32 s7, s7, 0x7f
	s_cmp_lg_u32 s7, 0
	s_cbranch_scc1 .LBB107_20
	s_branch .LBB107_17
.LBB107_55:
	v_mov_b64_e32 v[16:17], v[14:15]
	v_mov_b64_e32 v[18:19], v[8:9]
	s_and_saveexec_b32 s0, s2
	s_cbranch_execnz .LBB107_57
	s_branch .LBB107_58
.LBB107_56:
	v_dual_mov_b32 v4, v18 :: v_dual_mov_b32 v5, v17
	s_and_saveexec_b32 s0, s2
	s_cbranch_execz .LBB107_58
.LBB107_57:
	s_delay_alu instid0(VALU_DEP_1) | instskip(NEXT) | instid1(VALU_DEP_3)
	v_xor_b32_e32 v7, 0x80000000, v18
	v_mov_b32_e32 v6, v17
	s_cmp_eq_u32 s6, 0
	v_lshl_add_u64 v[2:3], s[22:23], 3, v[2:3]
	s_cselect_b32 vcc_lo, -1, 0
	s_delay_alu instid0(VALU_DEP_2) | instskip(NEXT) | instid1(VALU_DEP_1)
	v_pk_mul_f32 v[6:7], v[20:21], v[6:7] op_sel_hi:[0,1]
	v_pk_fma_f32 v[6:7], v[18:19], v[16:17], v[6:7]
	s_delay_alu instid0(VALU_DEP_1)
	v_dual_cndmask_b32 v9, v4, v6 :: v_dual_cndmask_b32 v8, v5, v7
	global_store_b64 v[2:3], v[8:9], off
.LBB107_58:
	s_wait_xcnt 0x0
	s_or_b32 exec_lo, exec_lo, s0
	global_wb scope:SCOPE_DEV
	s_wait_loadcnt 0x0
	s_wait_storecnt 0x0
	global_inv scope:SCOPE_DEV
	s_wait_loadcnt 0x0
	s_barrier_signal -1
	s_barrier_wait -1
	s_mov_b32 s0, exec_lo
	v_cmpx_eq_u32_e32 0, v0
	s_cbranch_execz .LBB107_60
; %bb.59:
	s_lshl_b64 s[0:1], s[20:21], 2
	v_dual_mov_b32 v0, 0 :: v_dual_mov_b32 v1, 1
	s_add_nc_u64 s[0:1], s[14:15], s[0:1]
	s_lshl_b64 s[2:3], s[12:13], 2
	s_delay_alu instid0(SALU_CYCLE_1)
	s_add_nc_u64 s[0:1], s[0:1], s[2:3]
	global_store_b32 v0, v1, s[0:1] scope:SCOPE_DEV
.LBB107_60:
	s_endpgm
.LBB107_61:
                                        ; implicit-def: $sgpr22_sgpr23
	s_clause 0x1
	s_load_b64 s[10:11], s[0:1], 0x50
	s_load_b64 s[16:17], s[0:1], 0x20
	s_branch .LBB107_6
	.section	.rodata,"a",@progbits
	.p2align	6, 0x0
	.amdhsa_kernel _ZN9rocsparseL5csrsmILj128ELj64ELb0Ell21rocsparse_complex_numIfEEEv20rocsparse_operation_T3_S4_NS_24const_host_device_scalarIT4_EEPKT2_PKS4_PKS6_PS6_lPiSC_PS4_21rocsparse_index_base_20rocsparse_fill_mode_20rocsparse_diag_type_b
		.amdhsa_group_segment_fixed_size 2048
		.amdhsa_private_segment_fixed_size 0
		.amdhsa_kernarg_size 112
		.amdhsa_user_sgpr_count 2
		.amdhsa_user_sgpr_dispatch_ptr 0
		.amdhsa_user_sgpr_queue_ptr 0
		.amdhsa_user_sgpr_kernarg_segment_ptr 1
		.amdhsa_user_sgpr_dispatch_id 0
		.amdhsa_user_sgpr_kernarg_preload_length 0
		.amdhsa_user_sgpr_kernarg_preload_offset 0
		.amdhsa_user_sgpr_private_segment_size 0
		.amdhsa_wavefront_size32 1
		.amdhsa_uses_dynamic_stack 0
		.amdhsa_enable_private_segment 0
		.amdhsa_system_sgpr_workgroup_id_x 1
		.amdhsa_system_sgpr_workgroup_id_y 0
		.amdhsa_system_sgpr_workgroup_id_z 0
		.amdhsa_system_sgpr_workgroup_info 0
		.amdhsa_system_vgpr_workitem_id 0
		.amdhsa_next_free_vgpr 26
		.amdhsa_next_free_sgpr 37
		.amdhsa_named_barrier_count 0
		.amdhsa_reserve_vcc 1
		.amdhsa_float_round_mode_32 0
		.amdhsa_float_round_mode_16_64 0
		.amdhsa_float_denorm_mode_32 3
		.amdhsa_float_denorm_mode_16_64 3
		.amdhsa_fp16_overflow 0
		.amdhsa_memory_ordered 1
		.amdhsa_forward_progress 1
		.amdhsa_inst_pref_size 22
		.amdhsa_round_robin_scheduling 0
		.amdhsa_exception_fp_ieee_invalid_op 0
		.amdhsa_exception_fp_denorm_src 0
		.amdhsa_exception_fp_ieee_div_zero 0
		.amdhsa_exception_fp_ieee_overflow 0
		.amdhsa_exception_fp_ieee_underflow 0
		.amdhsa_exception_fp_ieee_inexact 0
		.amdhsa_exception_int_div_zero 0
	.end_amdhsa_kernel
	.section	.text._ZN9rocsparseL5csrsmILj128ELj64ELb0Ell21rocsparse_complex_numIfEEEv20rocsparse_operation_T3_S4_NS_24const_host_device_scalarIT4_EEPKT2_PKS4_PKS6_PS6_lPiSC_PS4_21rocsparse_index_base_20rocsparse_fill_mode_20rocsparse_diag_type_b,"axG",@progbits,_ZN9rocsparseL5csrsmILj128ELj64ELb0Ell21rocsparse_complex_numIfEEEv20rocsparse_operation_T3_S4_NS_24const_host_device_scalarIT4_EEPKT2_PKS4_PKS6_PS6_lPiSC_PS4_21rocsparse_index_base_20rocsparse_fill_mode_20rocsparse_diag_type_b,comdat
.Lfunc_end107:
	.size	_ZN9rocsparseL5csrsmILj128ELj64ELb0Ell21rocsparse_complex_numIfEEEv20rocsparse_operation_T3_S4_NS_24const_host_device_scalarIT4_EEPKT2_PKS4_PKS6_PS6_lPiSC_PS4_21rocsparse_index_base_20rocsparse_fill_mode_20rocsparse_diag_type_b, .Lfunc_end107-_ZN9rocsparseL5csrsmILj128ELj64ELb0Ell21rocsparse_complex_numIfEEEv20rocsparse_operation_T3_S4_NS_24const_host_device_scalarIT4_EEPKT2_PKS4_PKS6_PS6_lPiSC_PS4_21rocsparse_index_base_20rocsparse_fill_mode_20rocsparse_diag_type_b
                                        ; -- End function
	.set _ZN9rocsparseL5csrsmILj128ELj64ELb0Ell21rocsparse_complex_numIfEEEv20rocsparse_operation_T3_S4_NS_24const_host_device_scalarIT4_EEPKT2_PKS4_PKS6_PS6_lPiSC_PS4_21rocsparse_index_base_20rocsparse_fill_mode_20rocsparse_diag_type_b.num_vgpr, 26
	.set _ZN9rocsparseL5csrsmILj128ELj64ELb0Ell21rocsparse_complex_numIfEEEv20rocsparse_operation_T3_S4_NS_24const_host_device_scalarIT4_EEPKT2_PKS4_PKS6_PS6_lPiSC_PS4_21rocsparse_index_base_20rocsparse_fill_mode_20rocsparse_diag_type_b.num_agpr, 0
	.set _ZN9rocsparseL5csrsmILj128ELj64ELb0Ell21rocsparse_complex_numIfEEEv20rocsparse_operation_T3_S4_NS_24const_host_device_scalarIT4_EEPKT2_PKS4_PKS6_PS6_lPiSC_PS4_21rocsparse_index_base_20rocsparse_fill_mode_20rocsparse_diag_type_b.numbered_sgpr, 37
	.set _ZN9rocsparseL5csrsmILj128ELj64ELb0Ell21rocsparse_complex_numIfEEEv20rocsparse_operation_T3_S4_NS_24const_host_device_scalarIT4_EEPKT2_PKS4_PKS6_PS6_lPiSC_PS4_21rocsparse_index_base_20rocsparse_fill_mode_20rocsparse_diag_type_b.num_named_barrier, 0
	.set _ZN9rocsparseL5csrsmILj128ELj64ELb0Ell21rocsparse_complex_numIfEEEv20rocsparse_operation_T3_S4_NS_24const_host_device_scalarIT4_EEPKT2_PKS4_PKS6_PS6_lPiSC_PS4_21rocsparse_index_base_20rocsparse_fill_mode_20rocsparse_diag_type_b.private_seg_size, 0
	.set _ZN9rocsparseL5csrsmILj128ELj64ELb0Ell21rocsparse_complex_numIfEEEv20rocsparse_operation_T3_S4_NS_24const_host_device_scalarIT4_EEPKT2_PKS4_PKS6_PS6_lPiSC_PS4_21rocsparse_index_base_20rocsparse_fill_mode_20rocsparse_diag_type_b.uses_vcc, 1
	.set _ZN9rocsparseL5csrsmILj128ELj64ELb0Ell21rocsparse_complex_numIfEEEv20rocsparse_operation_T3_S4_NS_24const_host_device_scalarIT4_EEPKT2_PKS4_PKS6_PS6_lPiSC_PS4_21rocsparse_index_base_20rocsparse_fill_mode_20rocsparse_diag_type_b.uses_flat_scratch, 0
	.set _ZN9rocsparseL5csrsmILj128ELj64ELb0Ell21rocsparse_complex_numIfEEEv20rocsparse_operation_T3_S4_NS_24const_host_device_scalarIT4_EEPKT2_PKS4_PKS6_PS6_lPiSC_PS4_21rocsparse_index_base_20rocsparse_fill_mode_20rocsparse_diag_type_b.has_dyn_sized_stack, 0
	.set _ZN9rocsparseL5csrsmILj128ELj64ELb0Ell21rocsparse_complex_numIfEEEv20rocsparse_operation_T3_S4_NS_24const_host_device_scalarIT4_EEPKT2_PKS4_PKS6_PS6_lPiSC_PS4_21rocsparse_index_base_20rocsparse_fill_mode_20rocsparse_diag_type_b.has_recursion, 0
	.set _ZN9rocsparseL5csrsmILj128ELj64ELb0Ell21rocsparse_complex_numIfEEEv20rocsparse_operation_T3_S4_NS_24const_host_device_scalarIT4_EEPKT2_PKS4_PKS6_PS6_lPiSC_PS4_21rocsparse_index_base_20rocsparse_fill_mode_20rocsparse_diag_type_b.has_indirect_call, 0
	.section	.AMDGPU.csdata,"",@progbits
; Kernel info:
; codeLenInByte = 2724
; TotalNumSgprs: 39
; NumVgprs: 26
; ScratchSize: 0
; MemoryBound: 0
; FloatMode: 240
; IeeeMode: 1
; LDSByteSize: 2048 bytes/workgroup (compile time only)
; SGPRBlocks: 0
; VGPRBlocks: 1
; NumSGPRsForWavesPerEU: 39
; NumVGPRsForWavesPerEU: 26
; NamedBarCnt: 0
; Occupancy: 16
; WaveLimiterHint : 1
; COMPUTE_PGM_RSRC2:SCRATCH_EN: 0
; COMPUTE_PGM_RSRC2:USER_SGPR: 2
; COMPUTE_PGM_RSRC2:TRAP_HANDLER: 0
; COMPUTE_PGM_RSRC2:TGID_X_EN: 1
; COMPUTE_PGM_RSRC2:TGID_Y_EN: 0
; COMPUTE_PGM_RSRC2:TGID_Z_EN: 0
; COMPUTE_PGM_RSRC2:TIDIG_COMP_CNT: 0
	.section	.text._ZN9rocsparseL5csrsmILj256ELj64ELb1Ell21rocsparse_complex_numIfEEEv20rocsparse_operation_T3_S4_NS_24const_host_device_scalarIT4_EEPKT2_PKS4_PKS6_PS6_lPiSC_PS4_21rocsparse_index_base_20rocsparse_fill_mode_20rocsparse_diag_type_b,"axG",@progbits,_ZN9rocsparseL5csrsmILj256ELj64ELb1Ell21rocsparse_complex_numIfEEEv20rocsparse_operation_T3_S4_NS_24const_host_device_scalarIT4_EEPKT2_PKS4_PKS6_PS6_lPiSC_PS4_21rocsparse_index_base_20rocsparse_fill_mode_20rocsparse_diag_type_b,comdat
	.globl	_ZN9rocsparseL5csrsmILj256ELj64ELb1Ell21rocsparse_complex_numIfEEEv20rocsparse_operation_T3_S4_NS_24const_host_device_scalarIT4_EEPKT2_PKS4_PKS6_PS6_lPiSC_PS4_21rocsparse_index_base_20rocsparse_fill_mode_20rocsparse_diag_type_b ; -- Begin function _ZN9rocsparseL5csrsmILj256ELj64ELb1Ell21rocsparse_complex_numIfEEEv20rocsparse_operation_T3_S4_NS_24const_host_device_scalarIT4_EEPKT2_PKS4_PKS6_PS6_lPiSC_PS4_21rocsparse_index_base_20rocsparse_fill_mode_20rocsparse_diag_type_b
	.p2align	8
	.type	_ZN9rocsparseL5csrsmILj256ELj64ELb1Ell21rocsparse_complex_numIfEEEv20rocsparse_operation_T3_S4_NS_24const_host_device_scalarIT4_EEPKT2_PKS4_PKS6_PS6_lPiSC_PS4_21rocsparse_index_base_20rocsparse_fill_mode_20rocsparse_diag_type_b,@function
_ZN9rocsparseL5csrsmILj256ELj64ELb1Ell21rocsparse_complex_numIfEEEv20rocsparse_operation_T3_S4_NS_24const_host_device_scalarIT4_EEPKT2_PKS4_PKS6_PS6_lPiSC_PS4_21rocsparse_index_base_20rocsparse_fill_mode_20rocsparse_diag_type_b: ; @_ZN9rocsparseL5csrsmILj256ELj64ELb1Ell21rocsparse_complex_numIfEEEv20rocsparse_operation_T3_S4_NS_24const_host_device_scalarIT4_EEPKT2_PKS4_PKS6_PS6_lPiSC_PS4_21rocsparse_index_base_20rocsparse_fill_mode_20rocsparse_diag_type_b
; %bb.0:
	s_clause 0x2
	s_load_b128 s[4:7], s[0:1], 0x60
	s_load_b64 s[2:3], s[0:1], 0x18
	s_load_b128 s[12:15], s[0:1], 0x8
	s_wait_kmcnt 0x0
	s_bitcmp1_b32 s7, 0
	s_mov_b32 s25, s2
	s_cselect_b32 s8, -1, 0
	s_delay_alu instid0(SALU_CYCLE_1)
	s_xor_b32 s7, s8, -1
	s_and_b32 vcc_lo, exec_lo, s8
	s_cbranch_vccnz .LBB108_2
; %bb.1:
	s_load_b32 s25, s[2:3], 0x0
.LBB108_2:
	s_and_not1_b32 vcc_lo, exec_lo, s7
	s_cbranch_vccnz .LBB108_4
; %bb.3:
	s_wait_xcnt 0x0
	s_load_b32 s3, s[2:3], 0x4
.LBB108_4:
	s_wait_xcnt 0x0
	s_bfe_u32 s2, ttmp6, 0x4000c
	s_and_b32 s7, ttmp6, 15
	s_add_co_i32 s2, s2, 1
	s_getreg_b32 s8, hwreg(HW_REG_IB_STS2, 6, 4)
	s_mul_i32 s2, ttmp9, s2
	s_mov_b32 s9, 0
	s_add_co_i32 s7, s7, s2
	s_cmp_eq_u32 s8, 0
	s_cselect_b32 s8, ttmp9, s7
	s_and_b64 s[10:11], s[12:13], 0xffffffff00000000
	s_delay_alu instid0(SALU_CYCLE_1)
	s_cmp_lg_u64 s[10:11], 0
	s_cbranch_scc0 .LBB108_64
; %bb.5:
	s_ashr_i32 s10, s13, 31
	s_mov_b32 s23, s9
	s_mov_b32 s11, s10
	;; [unrolled: 1-line block ×3, first 2 shown]
	s_add_nc_u64 s[16:17], s[12:13], s[10:11]
	s_delay_alu instid0(SALU_CYCLE_1) | instskip(NEXT) | instid1(SALU_CYCLE_1)
	s_xor_b64 s[16:17], s[16:17], s[10:11]
	s_cvt_f32_u32 s2, s16
	s_cvt_f32_u32 s7, s17
	s_sub_nc_u64 s[20:21], 0, s[16:17]
	s_delay_alu instid0(SALU_CYCLE_2) | instskip(NEXT) | instid1(SALU_CYCLE_3)
	s_fmamk_f32 s2, s7, 0x4f800000, s2
	v_s_rcp_f32 s2, s2
	s_delay_alu instid0(TRANS32_DEP_1) | instskip(NEXT) | instid1(SALU_CYCLE_3)
	s_mul_f32 s2, s2, 0x5f7ffffc
	s_mul_f32 s7, s2, 0x2f800000
	s_delay_alu instid0(SALU_CYCLE_3) | instskip(NEXT) | instid1(SALU_CYCLE_3)
	s_trunc_f32 s7, s7
	s_fmamk_f32 s2, s7, 0xcf800000, s2
	s_cvt_u32_f32 s19, s7
	s_delay_alu instid0(SALU_CYCLE_2) | instskip(NEXT) | instid1(SALU_CYCLE_3)
	s_cvt_u32_f32 s18, s2
	s_mul_u64 s[26:27], s[20:21], s[18:19]
	s_delay_alu instid0(SALU_CYCLE_1)
	s_mul_hi_u32 s31, s18, s27
	s_mul_i32 s30, s18, s27
	s_mul_hi_u32 s22, s18, s26
	s_mul_i32 s7, s19, s26
	s_add_nc_u64 s[22:23], s[22:23], s[30:31]
	s_mul_hi_u32 s2, s19, s26
	s_mul_hi_u32 s24, s19, s27
	s_add_co_u32 s7, s22, s7
	s_add_co_ci_u32 s28, s23, s2
	s_mul_i32 s26, s19, s27
	s_add_co_ci_u32 s27, s24, 0
	s_delay_alu instid0(SALU_CYCLE_1) | instskip(SKIP_3) | instid1(SALU_CYCLE_1)
	s_add_nc_u64 s[22:23], s[28:29], s[26:27]
	s_mov_b32 s27, s9
	s_add_co_u32 s18, s18, s22
	s_cselect_b32 s2, -1, 0
	s_cmp_lg_u32 s2, 0
	s_add_co_ci_u32 s19, s19, s23
	s_mov_b32 s23, s9
	s_mul_u64 s[20:21], s[20:21], s[18:19]
	s_delay_alu instid0(SALU_CYCLE_1)
	s_mul_hi_u32 s29, s18, s21
	s_mul_i32 s28, s18, s21
	s_mul_hi_u32 s22, s18, s20
	s_mul_i32 s7, s19, s20
	s_add_nc_u64 s[22:23], s[22:23], s[28:29]
	s_mul_hi_u32 s2, s19, s20
	s_mul_hi_u32 s24, s19, s21
	s_add_co_u32 s7, s22, s7
	s_add_co_ci_u32 s26, s23, s2
	s_mul_i32 s20, s19, s21
	s_add_co_ci_u32 s21, s24, 0
	s_add_nc_u64 s[22:23], s[8:9], 0
	s_add_nc_u64 s[20:21], s[26:27], s[20:21]
	s_delay_alu instid0(SALU_CYCLE_1) | instskip(SKIP_1) | instid1(SALU_CYCLE_1)
	s_add_co_u32 s2, s18, s20
	s_cselect_b32 s7, -1, 0
	s_cmp_lg_u32 s7, 0
	s_add_co_ci_u32 s7, s19, s21
	s_xor_b64 s[18:19], s[22:23], 0
	s_mov_b32 s21, s9
	s_mul_hi_u32 s23, s18, s7
	s_mul_i32 s22, s18, s7
	s_mul_hi_u32 s26, s18, s2
	s_mul_hi_u32 s20, s19, s2
	s_mul_i32 s2, s19, s2
	s_add_nc_u64 s[22:23], s[26:27], s[22:23]
	s_mul_hi_u32 s24, s19, s7
	s_add_co_u32 s2, s22, s2
	s_add_co_ci_u32 s20, s23, s20
	s_mul_i32 s26, s19, s7
	s_add_co_ci_u32 s27, s24, 0
	s_delay_alu instid0(SALU_CYCLE_1) | instskip(NEXT) | instid1(SALU_CYCLE_1)
	s_add_nc_u64 s[20:21], s[20:21], s[26:27]
	s_and_b64 s[22:23], s[20:21], 0xffffffff00000000
	s_delay_alu instid0(SALU_CYCLE_1) | instskip(NEXT) | instid1(SALU_CYCLE_1)
	s_or_b32 s22, s22, s20
	s_mul_u64 s[20:21], s[16:17], s[22:23]
	s_add_nc_u64 s[26:27], s[22:23], 1
	s_sub_co_u32 s2, s18, s20
	s_cselect_b32 s7, -1, 0
	s_sub_co_i32 s18, s19, s21
	s_cmp_lg_u32 s7, 0
	s_add_nc_u64 s[28:29], s[22:23], 2
	s_sub_co_ci_u32 s18, s18, s17
	s_sub_co_u32 s20, s2, s16
	s_cselect_b32 s24, -1, 0
	s_delay_alu instid0(SALU_CYCLE_1) | instskip(SKIP_1) | instid1(SALU_CYCLE_1)
	s_cmp_lg_u32 s24, 0
	s_sub_co_ci_u32 s18, s18, 0
	s_cmp_ge_u32 s18, s17
	s_cselect_b32 s24, -1, 0
	s_cmp_ge_u32 s20, s16
	s_cselect_b32 s20, -1, 0
	s_cmp_eq_u32 s18, s17
	s_cselect_b32 s18, s20, s24
	s_delay_alu instid0(SALU_CYCLE_1) | instskip(SKIP_4) | instid1(SALU_CYCLE_1)
	s_cmp_lg_u32 s18, 0
	s_cselect_b32 s18, s28, s26
	s_cselect_b32 s20, s29, s27
	s_cmp_lg_u32 s7, 0
	s_sub_co_ci_u32 s7, s19, s21
	s_cmp_ge_u32 s7, s17
	s_cselect_b32 s19, -1, 0
	s_cmp_ge_u32 s2, s16
	s_cselect_b32 s2, -1, 0
	s_cmp_eq_u32 s7, s17
	s_cselect_b32 s2, s2, s19
	s_delay_alu instid0(SALU_CYCLE_1) | instskip(SKIP_4) | instid1(SALU_CYCLE_1)
	s_cmp_lg_u32 s2, 0
	s_mov_b32 s2, s9
	s_cselect_b32 s17, s20, s23
	s_cselect_b32 s16, s18, s22
	s_xor_b64 s[10:11], 0, s[10:11]
	s_xor_b64 s[16:17], s[16:17], s[10:11]
	s_delay_alu instid0(SALU_CYCLE_1)
	s_sub_nc_u64 s[22:23], s[16:17], s[10:11]
	s_clause 0x1
	s_load_b64 s[10:11], s[0:1], 0x50
	s_load_b64 s[16:17], s[0:1], 0x20
	s_and_not1_b32 vcc_lo, exec_lo, s2
	s_cbranch_vccnz .LBB108_7
.LBB108_6:
	v_cvt_f32_u32_e32 v1, s12
	s_sub_co_i32 s7, 0, s12
	s_mov_b32 s23, 0
	s_delay_alu instid0(VALU_DEP_1) | instskip(SKIP_1) | instid1(TRANS32_DEP_1)
	v_rcp_iflag_f32_e32 v1, v1
	v_nop
	v_mul_f32_e32 v1, 0x4f7ffffe, v1
	s_delay_alu instid0(VALU_DEP_1) | instskip(NEXT) | instid1(VALU_DEP_1)
	v_cvt_u32_f32_e32 v1, v1
	v_readfirstlane_b32 s2, v1
	s_mul_i32 s7, s7, s2
	s_delay_alu instid0(SALU_CYCLE_1) | instskip(NEXT) | instid1(SALU_CYCLE_1)
	s_mul_hi_u32 s7, s2, s7
	s_add_co_i32 s2, s2, s7
	s_delay_alu instid0(SALU_CYCLE_1) | instskip(NEXT) | instid1(SALU_CYCLE_1)
	s_mul_hi_u32 s2, s8, s2
	s_mul_i32 s7, s2, s12
	s_add_co_i32 s18, s2, 1
	s_sub_co_i32 s7, s8, s7
	s_delay_alu instid0(SALU_CYCLE_1)
	s_sub_co_i32 s19, s7, s12
	s_cmp_ge_u32 s7, s12
	s_cselect_b32 s2, s18, s2
	s_cselect_b32 s7, s19, s7
	s_add_co_i32 s18, s2, 1
	s_cmp_ge_u32 s7, s12
	s_cselect_b32 s22, s18, s2
.LBB108_7:
	s_delay_alu instid0(SALU_CYCLE_1)
	s_mul_u64 s[12:13], s[22:23], s[12:13]
	s_load_b32 s7, s[0:1], 0x0
	s_sub_nc_u64 s[8:9], s[8:9], s[12:13]
	s_lshl_b64 s[22:23], s[22:23], 8
	s_lshl_b64 s[8:9], s[8:9], 3
	v_dual_mov_b32 v3, s23 :: v_dual_bitop2_b32 v2, s22, v0 bitop3:0x54
	s_wait_kmcnt 0x0
	s_add_nc_u64 s[18:19], s[10:11], s[8:9]
	s_load_b64 s[20:21], s[18:19], 0x0
	s_load_b128 s[8:11], s[0:1], 0x38
	v_mov_b32_e32 v1, 0
	v_cmp_gt_i64_e64 s2, s[14:15], v[2:3]
	s_wait_kmcnt 0x0
	s_lshl_b64 s[18:19], s[20:21], 3
	s_mul_u64 s[22:23], s[20:21], s[10:11]
	s_add_nc_u64 s[26:27], s[16:17], s[18:19]
	v_add_nc_u64_e32 v[6:7], s[22:23], v[2:3]
	s_load_b128 s[16:19], s[26:27], 0x0
	s_cmp_lg_u32 s7, 0x71
	s_cbranch_scc0 .LBB108_11
; %bb.8:
	v_mov_b64_e32 v[4:5], 0
	s_and_saveexec_b32 s7, s2
	s_cbranch_execz .LBB108_10
; %bb.9:
	v_lshl_add_u64 v[4:5], v[6:7], 3, s[8:9]
	s_xor_b32 s14, s3, 0x80000000
	s_delay_alu instid0(SALU_CYCLE_1) | instskip(SKIP_4) | instid1(VALU_DEP_1)
	v_dual_mov_b32 v9, s25 :: v_dual_mov_b32 v11, s14
	v_dual_mov_b32 v10, s25 :: v_dual_mov_b32 v8, s3
	global_load_b64 v[4:5], v[4:5], off
	s_wait_loadcnt 0x0
	v_pk_mul_f32 v[10:11], v[4:5], v[10:11] op_sel:[1,0]
	v_pk_fma_f32 v[4:5], v[8:9], v[4:5], v[10:11] op_sel_hi:[1,0,1]
.LBB108_10:
	s_or_b32 exec_lo, exec_lo, s7
	s_cbranch_execz .LBB108_12
	s_branch .LBB108_15
.LBB108_11:
                                        ; implicit-def: $vgpr4_vgpr5
.LBB108_12:
	v_mov_b64_e32 v[4:5], 0
	s_and_saveexec_b32 s7, s2
	s_cbranch_execz .LBB108_14
; %bb.13:
	v_lshl_add_u64 v[4:5], v[6:7], 3, s[8:9]
	s_mov_b32 s24, s3
	s_delay_alu instid0(SALU_CYCLE_1) | instskip(SKIP_3) | instid1(VALU_DEP_1)
	v_mov_b64_e32 v[6:7], s[24:25]
	global_load_b64 v[4:5], v[4:5], off
	s_wait_loadcnt 0x0
	v_pk_mul_f32 v[8:9], v[4:5], v[6:7] op_sel:[1,0] neg_hi:[1,0]
	v_pk_fma_f32 v[4:5], v[6:7], v[4:5], v[8:9] op_sel:[0,0,1] op_sel_hi:[1,0,0]
.LBB108_14:
	s_or_b32 exec_lo, exec_lo, s7
.LBB108_15:
	s_load_b64 s[14:15], s[0:1], 0x48
	s_wait_kmcnt 0x0
	v_cmp_ge_i64_e64 s3, s[16:17], s[18:19]
	v_dual_mov_b32 v9, 1.0 :: v_dual_mov_b32 v8, v4
	v_lshl_add_u64 v[2:3], v[2:3], 3, s[8:9]
	v_dual_mov_b32 v15, v5 :: v_dual_mov_b32 v20, 0
	s_delay_alu instid0(VALU_DEP_3)
	v_mov_b32_e32 v14, v9
	s_and_b32 vcc_lo, exec_lo, s3
	v_cmp_eq_u32_e64 s3, 0, v0
	s_cbranch_vccnz .LBB108_58
; %bb.16:
	s_clause 0x1
	s_load_b128 s[28:31], s[0:1], 0x28
	s_load_b64 s[8:9], s[0:1], 0x58
	v_dual_mov_b32 v4, 0 :: v_dual_lshlrev_b32 v6, 3, v0
	s_wait_xcnt 0x0
	s_mov_b32 s1, 0
	s_mov_b32 s0, s4
	s_lshl_b64 s[24:25], s[12:13], 2
	v_mov_b32_e32 v7, v4
	v_or_b32_e32 v21, 0x800, v6
	s_cmp_eq_u32 s6, 0
	s_sub_nc_u64 s[16:17], s[16:17], s[0:1]
	s_add_nc_u64 s[24:25], s[14:15], s[24:25]
	s_cselect_b32 s4, -1, 0
	s_sub_nc_u64 s[18:19], s[18:19], s[0:1]
	s_add_nc_u64 s[26:27], s[20:21], s[0:1]
	s_wait_kmcnt 0x0
	v_add_nc_u64_e32 v[10:11], s[28:29], v[6:7]
	v_add_nc_u64_e32 v[12:13], s[30:31], v[6:7]
	v_mov_b32_e32 v7, 0
	s_mov_b64 s[28:29], s[16:17]
	s_delay_alu instid0(SALU_CYCLE_1) | instskip(NEXT) | instid1(SALU_CYCLE_1)
	s_sub_co_i32 s7, s28, s16
	s_and_b32 s7, s7, 0xff
	s_delay_alu instid0(SALU_CYCLE_1)
	s_cmp_lg_u32 s7, 0
	s_cbranch_scc1 .LBB108_20
.LBB108_17:
	v_mov_b64_e32 v[18:19], -1
	v_dual_mov_b32 v17, 0 :: v_dual_mov_b32 v16, -1.0
	s_sub_nc_u64 s[30:31], s[18:19], s[28:29]
	s_mov_b32 s17, exec_lo
	v_cmpx_gt_i64_e64 s[30:31], v[0:1]
	s_cbranch_execz .LBB108_19
; %bb.18:
	s_lshl_b64 s[30:31], s[28:29], 3
	s_delay_alu instid0(SALU_CYCLE_1)
	v_add_nc_u64_e32 v[16:17], s[30:31], v[10:11]
	global_load_b64 v[18:19], v[16:17], off
	s_wait_xcnt 0x0
	v_add_nc_u64_e32 v[16:17], s[30:31], v[12:13]
	global_load_b64 v[16:17], v[16:17], off
	s_wait_loadcnt 0x1
	v_sub_nc_u64_e64 v[18:19], v[18:19], s[0:1]
.LBB108_19:
	s_wait_xcnt 0x0
	s_or_b32 exec_lo, exec_lo, s17
	ds_store_b64 v6, v[18:19]
	s_wait_loadcnt 0x0
	ds_store_b64 v21, v[16:17]
.LBB108_20:                             ; =>This Loop Header: Depth=1
                                        ;     Child Loop BB108_56 Depth 2
                                        ;       Child Loop BB108_57 Depth 3
	s_lshl_b32 s7, s7, 3
	s_wait_dscnt 0x0
	v_mov_b32_e32 v5, s7
	s_barrier_signal -1
	s_barrier_wait -1
	ds_load_2addr_stride64_b64 v[16:19], v5 offset1:4
	s_wait_dscnt 0x0
	v_readfirstlane_b32 s7, v18
	v_readfirstlane_b32 s33, v19
	;; [unrolled: 1-line block ×4, first 2 shown]
	s_cmp_eq_f32 s7, 0
	s_cselect_b32 s17, -1, 0
	s_cmp_eq_f32 s33, 0
	s_cselect_b32 s34, -1, 0
	s_delay_alu instid0(SALU_CYCLE_1)
	s_and_b32 s35, s17, s34
	s_cmp_eq_u64 s[30:31], s[20:21]
	s_cselect_b32 s34, -1, 0
	s_cmp_lg_u64 s[30:31], s[20:21]
	s_cselect_b32 s17, -1, 0
	s_and_b32 s35, s35, s34
	s_delay_alu instid0(SALU_CYCLE_1) | instskip(NEXT) | instid1(SALU_CYCLE_1)
	s_and_b32 s35, s4, s35
	s_and_b32 s36, s3, s35
	s_and_b32 s35, s35, exec_lo
	s_cselect_b32 s33, 0, s33
	s_cselect_b32 s7, 1.0, s7
	s_delay_alu instid0(SALU_CYCLE_1)
	v_dual_mov_b32 v22, s33 :: v_dual_mov_b32 v23, s7
	s_and_saveexec_b32 s7, s36
	s_cbranch_execz .LBB108_24
; %bb.21:                               ;   in Loop: Header=BB108_20 Depth=1
	v_mbcnt_lo_u32_b32 v5, exec_lo, 0
	s_mov_b32 s33, exec_lo
	s_delay_alu instid0(VALU_DEP_1)
	v_cmpx_eq_u32_e32 0, v5
	s_cbranch_execz .LBB108_23
; %bb.22:                               ;   in Loop: Header=BB108_20 Depth=1
	v_mov_b64_e32 v[16:17], s[26:27]
	global_atomic_min_u64 v4, v[16:17], s[8:9] scope:SCOPE_DEV
.LBB108_23:                             ;   in Loop: Header=BB108_20 Depth=1
	s_wait_xcnt 0x0
	s_or_b32 exec_lo, exec_lo, s33
	v_dual_mov_b32 v23, 1.0 :: v_dual_mov_b32 v22, 0
.LBB108_24:                             ;   in Loop: Header=BB108_20 Depth=1
	s_or_b32 exec_lo, exec_lo, s7
	s_mov_b32 s35, -1
	s_mov_b32 s7, 0
	s_cmp_lt_i32 s5, 1
	s_mov_b32 s33, 0
                                        ; implicit-def: $vgpr16_vgpr17
                                        ; implicit-def: $vgpr18_vgpr19
                                        ; implicit-def: $vgpr20
	s_cbranch_scc0 .LBB108_31
; %bb.25:                               ;   in Loop: Header=BB108_20 Depth=1
	s_and_b32 vcc_lo, exec_lo, s35
	s_mov_b32 s34, 4
	s_cbranch_vccnz .LBB108_38
.LBB108_26:                             ;   in Loop: Header=BB108_20 Depth=1
	s_and_b32 vcc_lo, exec_lo, s33
	s_cbranch_vccnz .LBB108_43
.LBB108_27:                             ;   in Loop: Header=BB108_20 Depth=1
	s_and_b32 vcc_lo, exec_lo, s7
	s_cbranch_vccnz .LBB108_48
.LBB108_28:                             ;   in Loop: Header=BB108_20 Depth=1
	s_mov_b32 s7, -1
	s_cmp_gt_i32 s34, 3
	s_mov_b32 s17, -1
	s_cbranch_scc0 .LBB108_51
.LBB108_29:                             ;   in Loop: Header=BB108_20 Depth=1
	s_and_not1_b32 vcc_lo, exec_lo, s17
	s_cbranch_vccz .LBB108_52
.LBB108_30:                             ;   in Loop: Header=BB108_20 Depth=1
	s_and_not1_b32 vcc_lo, exec_lo, s7
	s_cbranch_vccnz .LBB108_53
	s_branch .LBB108_59
.LBB108_31:                             ;   in Loop: Header=BB108_20 Depth=1
	s_cmp_eq_u32 s5, 1
	s_mov_b32 s33, -1
                                        ; implicit-def: $vgpr16_vgpr17
                                        ; implicit-def: $vgpr18_vgpr19
                                        ; implicit-def: $vgpr20
	s_cbranch_scc0 .LBB108_37
; %bb.32:                               ;   in Loop: Header=BB108_20 Depth=1
	v_cmp_ge_i64_e64 s33, s[30:31], s[20:21]
	v_mov_b64_e32 v[16:17], v[14:15]
	v_mov_b64_e32 v[18:19], v[8:9]
	v_mov_b32_e32 v20, v7
	s_and_b32 vcc_lo, exec_lo, s33
	s_mov_b32 s33, 0
	s_cbranch_vccz .LBB108_37
; %bb.33:                               ;   in Loop: Header=BB108_20 Depth=1
	s_and_b32 vcc_lo, exec_lo, s34
	s_mov_b32 s33, -1
                                        ; implicit-def: $vgpr16_vgpr17
                                        ; implicit-def: $vgpr18_vgpr19
                                        ; implicit-def: $vgpr20
	s_cbranch_vccz .LBB108_37
; %bb.34:                               ;   in Loop: Header=BB108_20 Depth=1
	v_mov_b64_e32 v[16:17], v[14:15]
	v_mov_b64_e32 v[18:19], v[8:9]
	v_mov_b32_e32 v20, v7
	s_and_not1_b32 vcc_lo, exec_lo, s4
	s_cbranch_vccnz .LBB108_36
; %bb.35:                               ;   in Loop: Header=BB108_20 Depth=1
	v_mul_f32_e32 v5, v22, v22
	s_delay_alu instid0(VALU_DEP_1) | instskip(NEXT) | instid1(VALU_DEP_1)
	v_fmac_f32_e32 v5, v23, v23
	v_div_scale_f32 v16, null, v5, v5, 1.0
	v_div_scale_f32 v19, vcc_lo, 1.0, v5, 1.0
	s_delay_alu instid0(VALU_DEP_2) | instskip(SKIP_1) | instid1(TRANS32_DEP_1)
	v_rcp_f32_e32 v17, v16
	v_nop
	v_fma_f32 v18, -v16, v17, 1.0
	s_delay_alu instid0(VALU_DEP_1) | instskip(NEXT) | instid1(VALU_DEP_1)
	v_fmac_f32_e32 v17, v18, v17
	v_mul_f32_e32 v18, v19, v17
	s_delay_alu instid0(VALU_DEP_1) | instskip(NEXT) | instid1(VALU_DEP_1)
	v_fma_f32 v20, -v16, v18, v19
	v_fmac_f32_e32 v18, v20, v17
	s_delay_alu instid0(VALU_DEP_1) | instskip(NEXT) | instid1(VALU_DEP_1)
	v_fma_f32 v16, -v16, v18, v19
	v_div_fmas_f32 v16, v16, v17, v18
	v_dual_fma_f32 v17, 0, v22, v23 :: v_dual_mov_b32 v18, v8
	s_delay_alu instid0(VALU_DEP_2) | instskip(SKIP_1) | instid1(VALU_DEP_1)
	v_div_fixup_f32 v5, v16, v5, 1.0
	v_fma_f32 v16, v23, 0, -v22
	v_dual_mul_f32 v19, v17, v5 :: v_dual_mul_f32 v20, v16, v5
	s_delay_alu instid0(VALU_DEP_1)
	v_dual_mov_b32 v17, v15 :: v_dual_mov_b32 v16, v19
.LBB108_36:                             ;   in Loop: Header=BB108_20 Depth=1
	s_mov_b32 s33, 0
.LBB108_37:                             ;   in Loop: Header=BB108_20 Depth=1
	s_mov_b32 s34, 4
	s_branch .LBB108_26
.LBB108_38:                             ;   in Loop: Header=BB108_20 Depth=1
	s_cmp_eq_u32 s5, 0
	s_cbranch_scc1 .LBB108_40
; %bb.39:                               ;   in Loop: Header=BB108_20 Depth=1
	s_mov_b32 s33, -1
	s_branch .LBB108_42
.LBB108_40:                             ;   in Loop: Header=BB108_20 Depth=1
	v_cmp_le_i64_e64 s33, s[30:31], s[20:21]
	s_and_b32 vcc_lo, exec_lo, s33
	s_mov_b32 s33, 0
	s_cbranch_vccz .LBB108_42
; %bb.41:                               ;   in Loop: Header=BB108_20 Depth=1
	s_mov_b32 s7, -1
	s_mov_b32 s33, s17
.LBB108_42:                             ;   in Loop: Header=BB108_20 Depth=1
	v_mov_b64_e32 v[16:17], v[14:15]
	v_mov_b64_e32 v[18:19], v[8:9]
	v_mov_b32_e32 v20, v7
	s_mov_b32 s34, 2
	s_and_b32 vcc_lo, exec_lo, s33
	s_cbranch_vccz .LBB108_27
.LBB108_43:                             ;   in Loop: Header=BB108_20 Depth=1
	s_and_saveexec_b32 s7, s3
	s_cbranch_execz .LBB108_45
; %bb.44:                               ;   in Loop: Header=BB108_20 Depth=1
	s_lshl_b64 s[34:35], s[30:31], 2
	s_delay_alu instid0(SALU_CYCLE_1)
	s_add_nc_u64 s[34:35], s[24:25], s[34:35]
	global_load_b32 v5, v4, s[34:35] scope:SCOPE_DEV
	s_wait_loadcnt 0x0
	v_cmp_ne_u32_e32 vcc_lo, 0, v5
	s_cbranch_vccz .LBB108_54
.LBB108_45:                             ;   in Loop: Header=BB108_20 Depth=1
	s_wait_xcnt 0x0
	s_or_b32 exec_lo, exec_lo, s7
	v_dual_mov_b32 v5, v9 :: v_dual_mov_b32 v16, v9
	v_mov_b32_e32 v17, v4
	s_wait_storecnt 0x0
	s_barrier_signal -1
	s_delay_alu instid0(VALU_DEP_2)
	v_mov_b64_e32 v[18:19], v[4:5]
	s_barrier_wait -1
	global_inv scope:SCOPE_DEV
	s_and_saveexec_b32 s7, s2
	s_cbranch_execz .LBB108_47
; %bb.46:                               ;   in Loop: Header=BB108_20 Depth=1
	s_mul_u64 s[30:31], s[30:31], s[10:11]
	s_delay_alu instid0(SALU_CYCLE_1) | instskip(SKIP_4) | instid1(VALU_DEP_2)
	v_lshl_add_u64 v[16:17], s[30:31], 3, v[2:3]
	global_load_b64 v[24:25], v[16:17], off
	s_wait_loadcnt 0x0
	v_dual_mov_b32 v16, v9 :: v_dual_fma_f32 v17, -v23, v24, v15
	v_dual_fma_f32 v5, -v22, v24, v8 :: v_dual_mov_b32 v19, v9
	v_fmac_f32_e32 v17, v22, v25
	s_delay_alu instid0(VALU_DEP_2)
	v_fma_f32 v18, -v23, v25, v5
.LBB108_47:                             ;   in Loop: Header=BB108_20 Depth=1
	s_or_b32 exec_lo, exec_lo, s7
	v_mov_b32_e32 v20, v7
	s_mov_b32 s34, 0
	s_branch .LBB108_28
.LBB108_48:                             ;   in Loop: Header=BB108_20 Depth=1
	s_and_not1_b32 vcc_lo, exec_lo, s4
	s_cbranch_vccnz .LBB108_50
; %bb.49:                               ;   in Loop: Header=BB108_20 Depth=1
	v_mul_f32_e32 v5, v22, v22
	s_delay_alu instid0(VALU_DEP_1) | instskip(NEXT) | instid1(VALU_DEP_1)
	v_fmac_f32_e32 v5, v23, v23
	v_div_scale_f32 v7, null, v5, v5, 1.0
	v_div_scale_f32 v16, vcc_lo, 1.0, v5, 1.0
	s_delay_alu instid0(VALU_DEP_2) | instskip(SKIP_1) | instid1(TRANS32_DEP_1)
	v_rcp_f32_e32 v9, v7
	v_nop
	v_fma_f32 v14, -v7, v9, 1.0
	s_delay_alu instid0(VALU_DEP_1) | instskip(NEXT) | instid1(VALU_DEP_1)
	v_fmac_f32_e32 v9, v14, v9
	v_mul_f32_e32 v14, v16, v9
	s_delay_alu instid0(VALU_DEP_1) | instskip(NEXT) | instid1(VALU_DEP_1)
	v_fma_f32 v17, -v7, v14, v16
	v_fmac_f32_e32 v14, v17, v9
	s_delay_alu instid0(VALU_DEP_1) | instskip(NEXT) | instid1(VALU_DEP_1)
	v_fma_f32 v7, -v7, v14, v16
	v_div_fmas_f32 v7, v7, v9, v14
	v_fma_f32 v14, v23, 0, -v22
	s_delay_alu instid0(VALU_DEP_2) | instskip(SKIP_1) | instid1(VALU_DEP_1)
	v_div_fixup_f32 v5, v7, v5, 1.0
	v_fma_f32 v7, 0, v22, v23
	v_dual_mul_f32 v9, v7, v5 :: v_dual_mul_f32 v7, v14, v5
	s_delay_alu instid0(VALU_DEP_1)
	v_mov_b32_e32 v14, v9
.LBB108_50:                             ;   in Loop: Header=BB108_20 Depth=1
	v_mov_b64_e32 v[18:19], v[8:9]
	s_delay_alu instid0(VALU_DEP_2) | instskip(NEXT) | instid1(VALU_DEP_4)
	v_mov_b64_e32 v[16:17], v[14:15]
	v_mov_b32_e32 v20, v7
	s_mov_b32 s34, 2
	s_mov_b32 s7, -1
	s_cmp_gt_i32 s34, 3
	s_mov_b32 s17, -1
	s_cbranch_scc1 .LBB108_29
.LBB108_51:                             ;   in Loop: Header=BB108_20 Depth=1
	s_cmp_eq_u32 s34, 0
	s_cselect_b32 s17, -1, 0
	s_delay_alu instid0(SALU_CYCLE_1)
	s_and_not1_b32 vcc_lo, exec_lo, s17
	s_cbranch_vccnz .LBB108_30
.LBB108_52:                             ;   in Loop: Header=BB108_20 Depth=1
	s_add_nc_u64 s[28:29], s[28:29], 1
	s_delay_alu instid0(SALU_CYCLE_1)
	v_cmp_ge_i64_e64 s7, s[28:29], s[18:19]
	s_and_not1_b32 vcc_lo, exec_lo, s7
	s_cbranch_vccz .LBB108_59
.LBB108_53:                             ;   in Loop: Header=BB108_20 Depth=1
	v_mov_b32_e32 v7, v20
	v_mov_b64_e32 v[8:9], v[18:19]
	v_mov_b64_e32 v[14:15], v[16:17]
	s_sub_co_i32 s7, s28, s16
	s_delay_alu instid0(SALU_CYCLE_1) | instskip(NEXT) | instid1(SALU_CYCLE_1)
	s_and_b32 s7, s7, 0xff
	s_cmp_lg_u32 s7, 0
	s_cbranch_scc1 .LBB108_20
	s_branch .LBB108_17
.LBB108_54:                             ;   in Loop: Header=BB108_20 Depth=1
	s_mov_b32 s17, 0
	s_branch .LBB108_56
.LBB108_55:                             ;   in Loop: Header=BB108_56 Depth=2
	global_load_b32 v5, v4, s[34:35] scope:SCOPE_DEV
	s_cmp_lt_u32 s17, 0xf43
	s_cselect_b32 s33, -1, 0
	s_delay_alu instid0(SALU_CYCLE_1)
	s_cmp_lg_u32 s33, 0
	s_add_co_ci_u32 s17, s17, 0
	s_wait_loadcnt 0x0
	v_cmp_ne_u32_e32 vcc_lo, 0, v5
	s_cbranch_vccnz .LBB108_45
.LBB108_56:                             ;   Parent Loop BB108_20 Depth=1
                                        ; =>  This Loop Header: Depth=2
                                        ;       Child Loop BB108_57 Depth 3
	s_cmp_eq_u32 s17, 0
	s_mov_b32 s33, s17
	s_cbranch_scc1 .LBB108_55
.LBB108_57:                             ;   Parent Loop BB108_20 Depth=1
                                        ;     Parent Loop BB108_56 Depth=2
                                        ; =>    This Inner Loop Header: Depth=3
	s_add_co_i32 s33, s33, -1
	s_sleep 1
	s_cmp_eq_u32 s33, 0
	s_cbranch_scc0 .LBB108_57
	s_branch .LBB108_55
.LBB108_58:
	v_mov_b64_e32 v[16:17], v[14:15]
	v_mov_b64_e32 v[18:19], v[8:9]
	s_and_saveexec_b32 s0, s2
	s_cbranch_execnz .LBB108_60
	s_branch .LBB108_61
.LBB108_59:
	v_dual_mov_b32 v4, v18 :: v_dual_mov_b32 v5, v17
	s_and_saveexec_b32 s0, s2
	s_cbranch_execz .LBB108_61
.LBB108_60:
	s_delay_alu instid0(VALU_DEP_1) | instskip(NEXT) | instid1(VALU_DEP_3)
	v_xor_b32_e32 v7, 0x80000000, v18
	v_mov_b32_e32 v6, v17
	s_cmp_eq_u32 s6, 0
	v_lshl_add_u64 v[2:3], s[22:23], 3, v[2:3]
	s_cselect_b32 vcc_lo, -1, 0
	s_delay_alu instid0(VALU_DEP_2) | instskip(NEXT) | instid1(VALU_DEP_1)
	v_pk_mul_f32 v[6:7], v[20:21], v[6:7] op_sel_hi:[0,1]
	v_pk_fma_f32 v[6:7], v[18:19], v[16:17], v[6:7]
	s_delay_alu instid0(VALU_DEP_1)
	v_dual_cndmask_b32 v9, v4, v6 :: v_dual_cndmask_b32 v8, v5, v7
	global_store_b64 v[2:3], v[8:9], off
.LBB108_61:
	s_wait_xcnt 0x0
	s_or_b32 exec_lo, exec_lo, s0
	global_wb scope:SCOPE_DEV
	s_wait_loadcnt 0x0
	s_wait_storecnt 0x0
	global_inv scope:SCOPE_DEV
	s_wait_loadcnt 0x0
	s_barrier_signal -1
	s_barrier_wait -1
	s_mov_b32 s0, exec_lo
	v_cmpx_eq_u32_e32 0, v0
	s_cbranch_execz .LBB108_63
; %bb.62:
	s_lshl_b64 s[0:1], s[20:21], 2
	v_dual_mov_b32 v0, 0 :: v_dual_mov_b32 v1, 1
	s_add_nc_u64 s[0:1], s[14:15], s[0:1]
	s_lshl_b64 s[2:3], s[12:13], 2
	s_delay_alu instid0(SALU_CYCLE_1)
	s_add_nc_u64 s[0:1], s[0:1], s[2:3]
	global_store_b32 v0, v1, s[0:1] scope:SCOPE_DEV
.LBB108_63:
	s_endpgm
.LBB108_64:
                                        ; implicit-def: $sgpr22_sgpr23
	s_clause 0x1
	s_load_b64 s[10:11], s[0:1], 0x50
	s_load_b64 s[16:17], s[0:1], 0x20
	s_branch .LBB108_6
	.section	.rodata,"a",@progbits
	.p2align	6, 0x0
	.amdhsa_kernel _ZN9rocsparseL5csrsmILj256ELj64ELb1Ell21rocsparse_complex_numIfEEEv20rocsparse_operation_T3_S4_NS_24const_host_device_scalarIT4_EEPKT2_PKS4_PKS6_PS6_lPiSC_PS4_21rocsparse_index_base_20rocsparse_fill_mode_20rocsparse_diag_type_b
		.amdhsa_group_segment_fixed_size 4096
		.amdhsa_private_segment_fixed_size 0
		.amdhsa_kernarg_size 112
		.amdhsa_user_sgpr_count 2
		.amdhsa_user_sgpr_dispatch_ptr 0
		.amdhsa_user_sgpr_queue_ptr 0
		.amdhsa_user_sgpr_kernarg_segment_ptr 1
		.amdhsa_user_sgpr_dispatch_id 0
		.amdhsa_user_sgpr_kernarg_preload_length 0
		.amdhsa_user_sgpr_kernarg_preload_offset 0
		.amdhsa_user_sgpr_private_segment_size 0
		.amdhsa_wavefront_size32 1
		.amdhsa_uses_dynamic_stack 0
		.amdhsa_enable_private_segment 0
		.amdhsa_system_sgpr_workgroup_id_x 1
		.amdhsa_system_sgpr_workgroup_id_y 0
		.amdhsa_system_sgpr_workgroup_id_z 0
		.amdhsa_system_sgpr_workgroup_info 0
		.amdhsa_system_vgpr_workitem_id 0
		.amdhsa_next_free_vgpr 26
		.amdhsa_next_free_sgpr 37
		.amdhsa_named_barrier_count 0
		.amdhsa_reserve_vcc 1
		.amdhsa_float_round_mode_32 0
		.amdhsa_float_round_mode_16_64 0
		.amdhsa_float_denorm_mode_32 3
		.amdhsa_float_denorm_mode_16_64 3
		.amdhsa_fp16_overflow 0
		.amdhsa_memory_ordered 1
		.amdhsa_forward_progress 1
		.amdhsa_inst_pref_size 22
		.amdhsa_round_robin_scheduling 0
		.amdhsa_exception_fp_ieee_invalid_op 0
		.amdhsa_exception_fp_denorm_src 0
		.amdhsa_exception_fp_ieee_div_zero 0
		.amdhsa_exception_fp_ieee_overflow 0
		.amdhsa_exception_fp_ieee_underflow 0
		.amdhsa_exception_fp_ieee_inexact 0
		.amdhsa_exception_int_div_zero 0
	.end_amdhsa_kernel
	.section	.text._ZN9rocsparseL5csrsmILj256ELj64ELb1Ell21rocsparse_complex_numIfEEEv20rocsparse_operation_T3_S4_NS_24const_host_device_scalarIT4_EEPKT2_PKS4_PKS6_PS6_lPiSC_PS4_21rocsparse_index_base_20rocsparse_fill_mode_20rocsparse_diag_type_b,"axG",@progbits,_ZN9rocsparseL5csrsmILj256ELj64ELb1Ell21rocsparse_complex_numIfEEEv20rocsparse_operation_T3_S4_NS_24const_host_device_scalarIT4_EEPKT2_PKS4_PKS6_PS6_lPiSC_PS4_21rocsparse_index_base_20rocsparse_fill_mode_20rocsparse_diag_type_b,comdat
.Lfunc_end108:
	.size	_ZN9rocsparseL5csrsmILj256ELj64ELb1Ell21rocsparse_complex_numIfEEEv20rocsparse_operation_T3_S4_NS_24const_host_device_scalarIT4_EEPKT2_PKS4_PKS6_PS6_lPiSC_PS4_21rocsparse_index_base_20rocsparse_fill_mode_20rocsparse_diag_type_b, .Lfunc_end108-_ZN9rocsparseL5csrsmILj256ELj64ELb1Ell21rocsparse_complex_numIfEEEv20rocsparse_operation_T3_S4_NS_24const_host_device_scalarIT4_EEPKT2_PKS4_PKS6_PS6_lPiSC_PS4_21rocsparse_index_base_20rocsparse_fill_mode_20rocsparse_diag_type_b
                                        ; -- End function
	.set _ZN9rocsparseL5csrsmILj256ELj64ELb1Ell21rocsparse_complex_numIfEEEv20rocsparse_operation_T3_S4_NS_24const_host_device_scalarIT4_EEPKT2_PKS4_PKS6_PS6_lPiSC_PS4_21rocsparse_index_base_20rocsparse_fill_mode_20rocsparse_diag_type_b.num_vgpr, 26
	.set _ZN9rocsparseL5csrsmILj256ELj64ELb1Ell21rocsparse_complex_numIfEEEv20rocsparse_operation_T3_S4_NS_24const_host_device_scalarIT4_EEPKT2_PKS4_PKS6_PS6_lPiSC_PS4_21rocsparse_index_base_20rocsparse_fill_mode_20rocsparse_diag_type_b.num_agpr, 0
	.set _ZN9rocsparseL5csrsmILj256ELj64ELb1Ell21rocsparse_complex_numIfEEEv20rocsparse_operation_T3_S4_NS_24const_host_device_scalarIT4_EEPKT2_PKS4_PKS6_PS6_lPiSC_PS4_21rocsparse_index_base_20rocsparse_fill_mode_20rocsparse_diag_type_b.numbered_sgpr, 37
	.set _ZN9rocsparseL5csrsmILj256ELj64ELb1Ell21rocsparse_complex_numIfEEEv20rocsparse_operation_T3_S4_NS_24const_host_device_scalarIT4_EEPKT2_PKS4_PKS6_PS6_lPiSC_PS4_21rocsparse_index_base_20rocsparse_fill_mode_20rocsparse_diag_type_b.num_named_barrier, 0
	.set _ZN9rocsparseL5csrsmILj256ELj64ELb1Ell21rocsparse_complex_numIfEEEv20rocsparse_operation_T3_S4_NS_24const_host_device_scalarIT4_EEPKT2_PKS4_PKS6_PS6_lPiSC_PS4_21rocsparse_index_base_20rocsparse_fill_mode_20rocsparse_diag_type_b.private_seg_size, 0
	.set _ZN9rocsparseL5csrsmILj256ELj64ELb1Ell21rocsparse_complex_numIfEEEv20rocsparse_operation_T3_S4_NS_24const_host_device_scalarIT4_EEPKT2_PKS4_PKS6_PS6_lPiSC_PS4_21rocsparse_index_base_20rocsparse_fill_mode_20rocsparse_diag_type_b.uses_vcc, 1
	.set _ZN9rocsparseL5csrsmILj256ELj64ELb1Ell21rocsparse_complex_numIfEEEv20rocsparse_operation_T3_S4_NS_24const_host_device_scalarIT4_EEPKT2_PKS4_PKS6_PS6_lPiSC_PS4_21rocsparse_index_base_20rocsparse_fill_mode_20rocsparse_diag_type_b.uses_flat_scratch, 0
	.set _ZN9rocsparseL5csrsmILj256ELj64ELb1Ell21rocsparse_complex_numIfEEEv20rocsparse_operation_T3_S4_NS_24const_host_device_scalarIT4_EEPKT2_PKS4_PKS6_PS6_lPiSC_PS4_21rocsparse_index_base_20rocsparse_fill_mode_20rocsparse_diag_type_b.has_dyn_sized_stack, 0
	.set _ZN9rocsparseL5csrsmILj256ELj64ELb1Ell21rocsparse_complex_numIfEEEv20rocsparse_operation_T3_S4_NS_24const_host_device_scalarIT4_EEPKT2_PKS4_PKS6_PS6_lPiSC_PS4_21rocsparse_index_base_20rocsparse_fill_mode_20rocsparse_diag_type_b.has_recursion, 0
	.set _ZN9rocsparseL5csrsmILj256ELj64ELb1Ell21rocsparse_complex_numIfEEEv20rocsparse_operation_T3_S4_NS_24const_host_device_scalarIT4_EEPKT2_PKS4_PKS6_PS6_lPiSC_PS4_21rocsparse_index_base_20rocsparse_fill_mode_20rocsparse_diag_type_b.has_indirect_call, 0
	.section	.AMDGPU.csdata,"",@progbits
; Kernel info:
; codeLenInByte = 2788
; TotalNumSgprs: 39
; NumVgprs: 26
; ScratchSize: 0
; MemoryBound: 0
; FloatMode: 240
; IeeeMode: 1
; LDSByteSize: 4096 bytes/workgroup (compile time only)
; SGPRBlocks: 0
; VGPRBlocks: 1
; NumSGPRsForWavesPerEU: 39
; NumVGPRsForWavesPerEU: 26
; NamedBarCnt: 0
; Occupancy: 16
; WaveLimiterHint : 1
; COMPUTE_PGM_RSRC2:SCRATCH_EN: 0
; COMPUTE_PGM_RSRC2:USER_SGPR: 2
; COMPUTE_PGM_RSRC2:TRAP_HANDLER: 0
; COMPUTE_PGM_RSRC2:TGID_X_EN: 1
; COMPUTE_PGM_RSRC2:TGID_Y_EN: 0
; COMPUTE_PGM_RSRC2:TGID_Z_EN: 0
; COMPUTE_PGM_RSRC2:TIDIG_COMP_CNT: 0
	.section	.text._ZN9rocsparseL5csrsmILj256ELj64ELb0Ell21rocsparse_complex_numIfEEEv20rocsparse_operation_T3_S4_NS_24const_host_device_scalarIT4_EEPKT2_PKS4_PKS6_PS6_lPiSC_PS4_21rocsparse_index_base_20rocsparse_fill_mode_20rocsparse_diag_type_b,"axG",@progbits,_ZN9rocsparseL5csrsmILj256ELj64ELb0Ell21rocsparse_complex_numIfEEEv20rocsparse_operation_T3_S4_NS_24const_host_device_scalarIT4_EEPKT2_PKS4_PKS6_PS6_lPiSC_PS4_21rocsparse_index_base_20rocsparse_fill_mode_20rocsparse_diag_type_b,comdat
	.globl	_ZN9rocsparseL5csrsmILj256ELj64ELb0Ell21rocsparse_complex_numIfEEEv20rocsparse_operation_T3_S4_NS_24const_host_device_scalarIT4_EEPKT2_PKS4_PKS6_PS6_lPiSC_PS4_21rocsparse_index_base_20rocsparse_fill_mode_20rocsparse_diag_type_b ; -- Begin function _ZN9rocsparseL5csrsmILj256ELj64ELb0Ell21rocsparse_complex_numIfEEEv20rocsparse_operation_T3_S4_NS_24const_host_device_scalarIT4_EEPKT2_PKS4_PKS6_PS6_lPiSC_PS4_21rocsparse_index_base_20rocsparse_fill_mode_20rocsparse_diag_type_b
	.p2align	8
	.type	_ZN9rocsparseL5csrsmILj256ELj64ELb0Ell21rocsparse_complex_numIfEEEv20rocsparse_operation_T3_S4_NS_24const_host_device_scalarIT4_EEPKT2_PKS4_PKS6_PS6_lPiSC_PS4_21rocsparse_index_base_20rocsparse_fill_mode_20rocsparse_diag_type_b,@function
_ZN9rocsparseL5csrsmILj256ELj64ELb0Ell21rocsparse_complex_numIfEEEv20rocsparse_operation_T3_S4_NS_24const_host_device_scalarIT4_EEPKT2_PKS4_PKS6_PS6_lPiSC_PS4_21rocsparse_index_base_20rocsparse_fill_mode_20rocsparse_diag_type_b: ; @_ZN9rocsparseL5csrsmILj256ELj64ELb0Ell21rocsparse_complex_numIfEEEv20rocsparse_operation_T3_S4_NS_24const_host_device_scalarIT4_EEPKT2_PKS4_PKS6_PS6_lPiSC_PS4_21rocsparse_index_base_20rocsparse_fill_mode_20rocsparse_diag_type_b
; %bb.0:
	s_clause 0x2
	s_load_b128 s[4:7], s[0:1], 0x60
	s_load_b64 s[2:3], s[0:1], 0x18
	s_load_b128 s[12:15], s[0:1], 0x8
	s_wait_kmcnt 0x0
	s_bitcmp1_b32 s7, 0
	s_mov_b32 s25, s2
	s_cselect_b32 s8, -1, 0
	s_delay_alu instid0(SALU_CYCLE_1)
	s_xor_b32 s7, s8, -1
	s_and_b32 vcc_lo, exec_lo, s8
	s_cbranch_vccnz .LBB109_2
; %bb.1:
	s_load_b32 s25, s[2:3], 0x0
.LBB109_2:
	s_and_not1_b32 vcc_lo, exec_lo, s7
	s_cbranch_vccnz .LBB109_4
; %bb.3:
	s_wait_xcnt 0x0
	s_load_b32 s3, s[2:3], 0x4
.LBB109_4:
	s_wait_xcnt 0x0
	s_bfe_u32 s2, ttmp6, 0x4000c
	s_and_b32 s7, ttmp6, 15
	s_add_co_i32 s2, s2, 1
	s_getreg_b32 s8, hwreg(HW_REG_IB_STS2, 6, 4)
	s_mul_i32 s2, ttmp9, s2
	s_mov_b32 s9, 0
	s_add_co_i32 s7, s7, s2
	s_cmp_eq_u32 s8, 0
	s_cselect_b32 s8, ttmp9, s7
	s_and_b64 s[10:11], s[12:13], 0xffffffff00000000
	s_delay_alu instid0(SALU_CYCLE_1)
	s_cmp_lg_u64 s[10:11], 0
	s_cbranch_scc0 .LBB109_61
; %bb.5:
	s_ashr_i32 s10, s13, 31
	s_mov_b32 s23, s9
	s_mov_b32 s11, s10
	;; [unrolled: 1-line block ×3, first 2 shown]
	s_add_nc_u64 s[16:17], s[12:13], s[10:11]
	s_delay_alu instid0(SALU_CYCLE_1) | instskip(NEXT) | instid1(SALU_CYCLE_1)
	s_xor_b64 s[16:17], s[16:17], s[10:11]
	s_cvt_f32_u32 s2, s16
	s_cvt_f32_u32 s7, s17
	s_sub_nc_u64 s[20:21], 0, s[16:17]
	s_delay_alu instid0(SALU_CYCLE_2) | instskip(NEXT) | instid1(SALU_CYCLE_3)
	s_fmamk_f32 s2, s7, 0x4f800000, s2
	v_s_rcp_f32 s2, s2
	s_delay_alu instid0(TRANS32_DEP_1) | instskip(NEXT) | instid1(SALU_CYCLE_3)
	s_mul_f32 s2, s2, 0x5f7ffffc
	s_mul_f32 s7, s2, 0x2f800000
	s_delay_alu instid0(SALU_CYCLE_3) | instskip(NEXT) | instid1(SALU_CYCLE_3)
	s_trunc_f32 s7, s7
	s_fmamk_f32 s2, s7, 0xcf800000, s2
	s_cvt_u32_f32 s19, s7
	s_delay_alu instid0(SALU_CYCLE_2) | instskip(NEXT) | instid1(SALU_CYCLE_3)
	s_cvt_u32_f32 s18, s2
	s_mul_u64 s[26:27], s[20:21], s[18:19]
	s_delay_alu instid0(SALU_CYCLE_1)
	s_mul_hi_u32 s31, s18, s27
	s_mul_i32 s30, s18, s27
	s_mul_hi_u32 s22, s18, s26
	s_mul_i32 s7, s19, s26
	s_add_nc_u64 s[22:23], s[22:23], s[30:31]
	s_mul_hi_u32 s2, s19, s26
	s_mul_hi_u32 s24, s19, s27
	s_add_co_u32 s7, s22, s7
	s_add_co_ci_u32 s28, s23, s2
	s_mul_i32 s26, s19, s27
	s_add_co_ci_u32 s27, s24, 0
	s_delay_alu instid0(SALU_CYCLE_1) | instskip(SKIP_3) | instid1(SALU_CYCLE_1)
	s_add_nc_u64 s[22:23], s[28:29], s[26:27]
	s_mov_b32 s27, s9
	s_add_co_u32 s18, s18, s22
	s_cselect_b32 s2, -1, 0
	s_cmp_lg_u32 s2, 0
	s_add_co_ci_u32 s19, s19, s23
	s_mov_b32 s23, s9
	s_mul_u64 s[20:21], s[20:21], s[18:19]
	s_delay_alu instid0(SALU_CYCLE_1)
	s_mul_hi_u32 s29, s18, s21
	s_mul_i32 s28, s18, s21
	s_mul_hi_u32 s22, s18, s20
	s_mul_i32 s7, s19, s20
	s_add_nc_u64 s[22:23], s[22:23], s[28:29]
	s_mul_hi_u32 s2, s19, s20
	s_mul_hi_u32 s24, s19, s21
	s_add_co_u32 s7, s22, s7
	s_add_co_ci_u32 s26, s23, s2
	s_mul_i32 s20, s19, s21
	s_add_co_ci_u32 s21, s24, 0
	s_add_nc_u64 s[22:23], s[8:9], 0
	s_add_nc_u64 s[20:21], s[26:27], s[20:21]
	s_delay_alu instid0(SALU_CYCLE_1) | instskip(SKIP_1) | instid1(SALU_CYCLE_1)
	s_add_co_u32 s2, s18, s20
	s_cselect_b32 s7, -1, 0
	s_cmp_lg_u32 s7, 0
	s_add_co_ci_u32 s7, s19, s21
	s_xor_b64 s[18:19], s[22:23], 0
	s_mov_b32 s21, s9
	s_mul_hi_u32 s23, s18, s7
	s_mul_i32 s22, s18, s7
	s_mul_hi_u32 s26, s18, s2
	s_mul_hi_u32 s20, s19, s2
	s_mul_i32 s2, s19, s2
	s_add_nc_u64 s[22:23], s[26:27], s[22:23]
	s_mul_hi_u32 s24, s19, s7
	s_add_co_u32 s2, s22, s2
	s_add_co_ci_u32 s20, s23, s20
	s_mul_i32 s26, s19, s7
	s_add_co_ci_u32 s27, s24, 0
	s_delay_alu instid0(SALU_CYCLE_1) | instskip(NEXT) | instid1(SALU_CYCLE_1)
	s_add_nc_u64 s[20:21], s[20:21], s[26:27]
	s_and_b64 s[22:23], s[20:21], 0xffffffff00000000
	s_delay_alu instid0(SALU_CYCLE_1) | instskip(NEXT) | instid1(SALU_CYCLE_1)
	s_or_b32 s22, s22, s20
	s_mul_u64 s[20:21], s[16:17], s[22:23]
	s_add_nc_u64 s[26:27], s[22:23], 1
	s_sub_co_u32 s2, s18, s20
	s_cselect_b32 s7, -1, 0
	s_sub_co_i32 s18, s19, s21
	s_cmp_lg_u32 s7, 0
	s_add_nc_u64 s[28:29], s[22:23], 2
	s_sub_co_ci_u32 s18, s18, s17
	s_sub_co_u32 s20, s2, s16
	s_cselect_b32 s24, -1, 0
	s_delay_alu instid0(SALU_CYCLE_1) | instskip(SKIP_1) | instid1(SALU_CYCLE_1)
	s_cmp_lg_u32 s24, 0
	s_sub_co_ci_u32 s18, s18, 0
	s_cmp_ge_u32 s18, s17
	s_cselect_b32 s24, -1, 0
	s_cmp_ge_u32 s20, s16
	s_cselect_b32 s20, -1, 0
	s_cmp_eq_u32 s18, s17
	s_cselect_b32 s18, s20, s24
	s_delay_alu instid0(SALU_CYCLE_1) | instskip(SKIP_4) | instid1(SALU_CYCLE_1)
	s_cmp_lg_u32 s18, 0
	s_cselect_b32 s18, s28, s26
	s_cselect_b32 s20, s29, s27
	s_cmp_lg_u32 s7, 0
	s_sub_co_ci_u32 s7, s19, s21
	s_cmp_ge_u32 s7, s17
	s_cselect_b32 s19, -1, 0
	s_cmp_ge_u32 s2, s16
	s_cselect_b32 s2, -1, 0
	s_cmp_eq_u32 s7, s17
	s_cselect_b32 s2, s2, s19
	s_delay_alu instid0(SALU_CYCLE_1) | instskip(SKIP_4) | instid1(SALU_CYCLE_1)
	s_cmp_lg_u32 s2, 0
	s_mov_b32 s2, s9
	s_cselect_b32 s17, s20, s23
	s_cselect_b32 s16, s18, s22
	s_xor_b64 s[10:11], 0, s[10:11]
	s_xor_b64 s[16:17], s[16:17], s[10:11]
	s_delay_alu instid0(SALU_CYCLE_1)
	s_sub_nc_u64 s[22:23], s[16:17], s[10:11]
	s_clause 0x1
	s_load_b64 s[10:11], s[0:1], 0x50
	s_load_b64 s[16:17], s[0:1], 0x20
	s_and_not1_b32 vcc_lo, exec_lo, s2
	s_cbranch_vccnz .LBB109_7
.LBB109_6:
	v_cvt_f32_u32_e32 v1, s12
	s_sub_co_i32 s7, 0, s12
	s_mov_b32 s23, 0
	s_delay_alu instid0(VALU_DEP_1) | instskip(SKIP_1) | instid1(TRANS32_DEP_1)
	v_rcp_iflag_f32_e32 v1, v1
	v_nop
	v_mul_f32_e32 v1, 0x4f7ffffe, v1
	s_delay_alu instid0(VALU_DEP_1) | instskip(NEXT) | instid1(VALU_DEP_1)
	v_cvt_u32_f32_e32 v1, v1
	v_readfirstlane_b32 s2, v1
	s_mul_i32 s7, s7, s2
	s_delay_alu instid0(SALU_CYCLE_1) | instskip(NEXT) | instid1(SALU_CYCLE_1)
	s_mul_hi_u32 s7, s2, s7
	s_add_co_i32 s2, s2, s7
	s_delay_alu instid0(SALU_CYCLE_1) | instskip(NEXT) | instid1(SALU_CYCLE_1)
	s_mul_hi_u32 s2, s8, s2
	s_mul_i32 s7, s2, s12
	s_add_co_i32 s18, s2, 1
	s_sub_co_i32 s7, s8, s7
	s_delay_alu instid0(SALU_CYCLE_1)
	s_sub_co_i32 s19, s7, s12
	s_cmp_ge_u32 s7, s12
	s_cselect_b32 s2, s18, s2
	s_cselect_b32 s7, s19, s7
	s_add_co_i32 s18, s2, 1
	s_cmp_ge_u32 s7, s12
	s_cselect_b32 s22, s18, s2
.LBB109_7:
	s_delay_alu instid0(SALU_CYCLE_1)
	s_mul_u64 s[12:13], s[22:23], s[12:13]
	s_load_b32 s7, s[0:1], 0x0
	s_sub_nc_u64 s[8:9], s[8:9], s[12:13]
	s_lshl_b64 s[22:23], s[22:23], 8
	s_lshl_b64 s[8:9], s[8:9], 3
	v_dual_mov_b32 v3, s23 :: v_dual_bitop2_b32 v2, s22, v0 bitop3:0x54
	s_wait_kmcnt 0x0
	s_add_nc_u64 s[18:19], s[10:11], s[8:9]
	s_load_b64 s[20:21], s[18:19], 0x0
	s_load_b128 s[8:11], s[0:1], 0x38
	v_mov_b32_e32 v1, 0
	v_cmp_gt_i64_e64 s2, s[14:15], v[2:3]
	s_wait_kmcnt 0x0
	s_lshl_b64 s[18:19], s[20:21], 3
	s_mul_u64 s[22:23], s[20:21], s[10:11]
	s_add_nc_u64 s[26:27], s[16:17], s[18:19]
	v_add_nc_u64_e32 v[6:7], s[22:23], v[2:3]
	s_load_b128 s[16:19], s[26:27], 0x0
	s_cmp_lg_u32 s7, 0x71
	s_cbranch_scc0 .LBB109_11
; %bb.8:
	v_mov_b64_e32 v[4:5], 0
	s_and_saveexec_b32 s7, s2
	s_cbranch_execz .LBB109_10
; %bb.9:
	v_lshl_add_u64 v[4:5], v[6:7], 3, s[8:9]
	s_xor_b32 s14, s3, 0x80000000
	s_delay_alu instid0(SALU_CYCLE_1) | instskip(SKIP_4) | instid1(VALU_DEP_1)
	v_dual_mov_b32 v9, s25 :: v_dual_mov_b32 v11, s14
	v_dual_mov_b32 v10, s25 :: v_dual_mov_b32 v8, s3
	global_load_b64 v[4:5], v[4:5], off
	s_wait_loadcnt 0x0
	v_pk_mul_f32 v[10:11], v[4:5], v[10:11] op_sel:[1,0]
	v_pk_fma_f32 v[4:5], v[8:9], v[4:5], v[10:11] op_sel_hi:[1,0,1]
.LBB109_10:
	s_or_b32 exec_lo, exec_lo, s7
	s_cbranch_execz .LBB109_12
	s_branch .LBB109_15
.LBB109_11:
                                        ; implicit-def: $vgpr4_vgpr5
.LBB109_12:
	v_mov_b64_e32 v[4:5], 0
	s_and_saveexec_b32 s7, s2
	s_cbranch_execz .LBB109_14
; %bb.13:
	v_lshl_add_u64 v[4:5], v[6:7], 3, s[8:9]
	s_mov_b32 s24, s3
	s_delay_alu instid0(SALU_CYCLE_1) | instskip(SKIP_3) | instid1(VALU_DEP_1)
	v_mov_b64_e32 v[6:7], s[24:25]
	global_load_b64 v[4:5], v[4:5], off
	s_wait_loadcnt 0x0
	v_pk_mul_f32 v[8:9], v[4:5], v[6:7] op_sel:[1,0] neg_hi:[1,0]
	v_pk_fma_f32 v[4:5], v[6:7], v[4:5], v[8:9] op_sel:[0,0,1] op_sel_hi:[1,0,0]
.LBB109_14:
	s_or_b32 exec_lo, exec_lo, s7
.LBB109_15:
	s_load_b64 s[14:15], s[0:1], 0x48
	s_wait_kmcnt 0x0
	v_cmp_ge_i64_e64 s3, s[16:17], s[18:19]
	v_dual_mov_b32 v9, 1.0 :: v_dual_mov_b32 v8, v4
	v_lshl_add_u64 v[2:3], v[2:3], 3, s[8:9]
	v_dual_mov_b32 v15, v5 :: v_dual_mov_b32 v20, 0
	s_delay_alu instid0(VALU_DEP_3)
	v_mov_b32_e32 v14, v9
	s_and_b32 vcc_lo, exec_lo, s3
	v_cmp_eq_u32_e64 s3, 0, v0
	s_cbranch_vccnz .LBB109_55
; %bb.16:
	s_clause 0x1
	s_load_b128 s[28:31], s[0:1], 0x28
	s_load_b64 s[8:9], s[0:1], 0x58
	v_dual_mov_b32 v4, 0 :: v_dual_lshlrev_b32 v6, 3, v0
	s_wait_xcnt 0x0
	s_mov_b32 s1, 0
	s_mov_b32 s0, s4
	s_lshl_b64 s[24:25], s[12:13], 2
	v_mov_b32_e32 v7, v4
	v_or_b32_e32 v21, 0x800, v6
	s_cmp_eq_u32 s6, 0
	s_sub_nc_u64 s[16:17], s[16:17], s[0:1]
	s_add_nc_u64 s[24:25], s[14:15], s[24:25]
	s_cselect_b32 s4, -1, 0
	s_sub_nc_u64 s[18:19], s[18:19], s[0:1]
	s_add_nc_u64 s[26:27], s[20:21], s[0:1]
	s_wait_kmcnt 0x0
	v_add_nc_u64_e32 v[10:11], s[28:29], v[6:7]
	v_add_nc_u64_e32 v[12:13], s[30:31], v[6:7]
	v_mov_b32_e32 v7, 0
	s_mov_b64 s[28:29], s[16:17]
	s_delay_alu instid0(SALU_CYCLE_1) | instskip(NEXT) | instid1(SALU_CYCLE_1)
	s_sub_co_i32 s7, s28, s16
	s_and_b32 s7, s7, 0xff
	s_delay_alu instid0(SALU_CYCLE_1)
	s_cmp_lg_u32 s7, 0
	s_cbranch_scc1 .LBB109_20
.LBB109_17:
	v_mov_b64_e32 v[18:19], -1
	v_dual_mov_b32 v17, 0 :: v_dual_mov_b32 v16, -1.0
	s_sub_nc_u64 s[30:31], s[18:19], s[28:29]
	s_mov_b32 s17, exec_lo
	v_cmpx_gt_i64_e64 s[30:31], v[0:1]
	s_cbranch_execz .LBB109_19
; %bb.18:
	s_lshl_b64 s[30:31], s[28:29], 3
	s_delay_alu instid0(SALU_CYCLE_1)
	v_add_nc_u64_e32 v[16:17], s[30:31], v[10:11]
	global_load_b64 v[18:19], v[16:17], off
	s_wait_xcnt 0x0
	v_add_nc_u64_e32 v[16:17], s[30:31], v[12:13]
	global_load_b64 v[16:17], v[16:17], off
	s_wait_loadcnt 0x1
	v_sub_nc_u64_e64 v[18:19], v[18:19], s[0:1]
.LBB109_19:
	s_wait_xcnt 0x0
	s_or_b32 exec_lo, exec_lo, s17
	ds_store_b64 v6, v[18:19]
	s_wait_loadcnt 0x0
	ds_store_b64 v21, v[16:17]
.LBB109_20:                             ; =>This Loop Header: Depth=1
                                        ;     Child Loop BB109_45 Depth 2
	s_lshl_b32 s7, s7, 3
	s_wait_dscnt 0x0
	v_mov_b32_e32 v5, s7
	s_barrier_signal -1
	s_barrier_wait -1
	ds_load_2addr_stride64_b64 v[16:19], v5 offset1:4
	s_wait_dscnt 0x0
	v_readfirstlane_b32 s7, v18
	v_readfirstlane_b32 s33, v19
	;; [unrolled: 1-line block ×4, first 2 shown]
	s_cmp_eq_f32 s7, 0
	s_cselect_b32 s17, -1, 0
	s_cmp_eq_f32 s33, 0
	s_cselect_b32 s34, -1, 0
	s_delay_alu instid0(SALU_CYCLE_1)
	s_and_b32 s35, s17, s34
	s_cmp_eq_u64 s[30:31], s[20:21]
	s_cselect_b32 s34, -1, 0
	s_cmp_lg_u64 s[30:31], s[20:21]
	s_cselect_b32 s17, -1, 0
	s_and_b32 s35, s35, s34
	s_delay_alu instid0(SALU_CYCLE_1) | instskip(NEXT) | instid1(SALU_CYCLE_1)
	s_and_b32 s35, s4, s35
	s_and_b32 s36, s3, s35
	s_and_b32 s35, s35, exec_lo
	s_cselect_b32 s33, 0, s33
	s_cselect_b32 s7, 1.0, s7
	s_delay_alu instid0(SALU_CYCLE_1)
	v_dual_mov_b32 v22, s33 :: v_dual_mov_b32 v23, s7
	s_and_saveexec_b32 s7, s36
	s_cbranch_execz .LBB109_24
; %bb.21:                               ;   in Loop: Header=BB109_20 Depth=1
	v_mbcnt_lo_u32_b32 v5, exec_lo, 0
	s_mov_b32 s33, exec_lo
	s_delay_alu instid0(VALU_DEP_1)
	v_cmpx_eq_u32_e32 0, v5
	s_cbranch_execz .LBB109_23
; %bb.22:                               ;   in Loop: Header=BB109_20 Depth=1
	v_mov_b64_e32 v[16:17], s[26:27]
	global_atomic_min_u64 v4, v[16:17], s[8:9] scope:SCOPE_DEV
.LBB109_23:                             ;   in Loop: Header=BB109_20 Depth=1
	s_wait_xcnt 0x0
	s_or_b32 exec_lo, exec_lo, s33
	v_dual_mov_b32 v23, 1.0 :: v_dual_mov_b32 v22, 0
.LBB109_24:                             ;   in Loop: Header=BB109_20 Depth=1
	s_or_b32 exec_lo, exec_lo, s7
	s_mov_b32 s35, -1
	s_mov_b32 s7, 0
	s_cmp_lt_i32 s5, 1
	s_mov_b32 s33, 0
                                        ; implicit-def: $vgpr16_vgpr17
                                        ; implicit-def: $vgpr18_vgpr19
                                        ; implicit-def: $vgpr20
	s_cbranch_scc0 .LBB109_31
; %bb.25:                               ;   in Loop: Header=BB109_20 Depth=1
	s_and_b32 vcc_lo, exec_lo, s35
	s_mov_b32 s34, 4
	s_cbranch_vccnz .LBB109_38
.LBB109_26:                             ;   in Loop: Header=BB109_20 Depth=1
	s_and_b32 vcc_lo, exec_lo, s33
	s_cbranch_vccnz .LBB109_43
.LBB109_27:                             ;   in Loop: Header=BB109_20 Depth=1
	s_and_b32 vcc_lo, exec_lo, s7
	s_cbranch_vccnz .LBB109_49
.LBB109_28:                             ;   in Loop: Header=BB109_20 Depth=1
	s_mov_b32 s7, -1
	s_cmp_gt_i32 s34, 3
	s_mov_b32 s17, -1
	s_cbranch_scc0 .LBB109_52
.LBB109_29:                             ;   in Loop: Header=BB109_20 Depth=1
	s_and_not1_b32 vcc_lo, exec_lo, s17
	s_cbranch_vccz .LBB109_53
.LBB109_30:                             ;   in Loop: Header=BB109_20 Depth=1
	s_and_not1_b32 vcc_lo, exec_lo, s7
	s_cbranch_vccnz .LBB109_54
	s_branch .LBB109_56
.LBB109_31:                             ;   in Loop: Header=BB109_20 Depth=1
	s_cmp_eq_u32 s5, 1
	s_mov_b32 s33, -1
                                        ; implicit-def: $vgpr16_vgpr17
                                        ; implicit-def: $vgpr18_vgpr19
                                        ; implicit-def: $vgpr20
	s_cbranch_scc0 .LBB109_37
; %bb.32:                               ;   in Loop: Header=BB109_20 Depth=1
	v_cmp_ge_i64_e64 s33, s[30:31], s[20:21]
	v_mov_b64_e32 v[16:17], v[14:15]
	v_mov_b64_e32 v[18:19], v[8:9]
	v_mov_b32_e32 v20, v7
	s_and_b32 vcc_lo, exec_lo, s33
	s_mov_b32 s33, 0
	s_cbranch_vccz .LBB109_37
; %bb.33:                               ;   in Loop: Header=BB109_20 Depth=1
	s_and_b32 vcc_lo, exec_lo, s34
	s_mov_b32 s33, -1
                                        ; implicit-def: $vgpr16_vgpr17
                                        ; implicit-def: $vgpr18_vgpr19
                                        ; implicit-def: $vgpr20
	s_cbranch_vccz .LBB109_37
; %bb.34:                               ;   in Loop: Header=BB109_20 Depth=1
	v_mov_b64_e32 v[16:17], v[14:15]
	v_mov_b64_e32 v[18:19], v[8:9]
	v_mov_b32_e32 v20, v7
	s_and_not1_b32 vcc_lo, exec_lo, s4
	s_cbranch_vccnz .LBB109_36
; %bb.35:                               ;   in Loop: Header=BB109_20 Depth=1
	v_mul_f32_e32 v5, v22, v22
	s_delay_alu instid0(VALU_DEP_1) | instskip(NEXT) | instid1(VALU_DEP_1)
	v_fmac_f32_e32 v5, v23, v23
	v_div_scale_f32 v16, null, v5, v5, 1.0
	v_div_scale_f32 v19, vcc_lo, 1.0, v5, 1.0
	s_delay_alu instid0(VALU_DEP_2) | instskip(SKIP_1) | instid1(TRANS32_DEP_1)
	v_rcp_f32_e32 v17, v16
	v_nop
	v_fma_f32 v18, -v16, v17, 1.0
	s_delay_alu instid0(VALU_DEP_1) | instskip(NEXT) | instid1(VALU_DEP_1)
	v_fmac_f32_e32 v17, v18, v17
	v_mul_f32_e32 v18, v19, v17
	s_delay_alu instid0(VALU_DEP_1) | instskip(NEXT) | instid1(VALU_DEP_1)
	v_fma_f32 v20, -v16, v18, v19
	v_fmac_f32_e32 v18, v20, v17
	s_delay_alu instid0(VALU_DEP_1) | instskip(NEXT) | instid1(VALU_DEP_1)
	v_fma_f32 v16, -v16, v18, v19
	v_div_fmas_f32 v16, v16, v17, v18
	v_dual_fma_f32 v17, 0, v22, v23 :: v_dual_mov_b32 v18, v8
	s_delay_alu instid0(VALU_DEP_2) | instskip(SKIP_1) | instid1(VALU_DEP_1)
	v_div_fixup_f32 v5, v16, v5, 1.0
	v_fma_f32 v16, v23, 0, -v22
	v_dual_mul_f32 v19, v17, v5 :: v_dual_mul_f32 v20, v16, v5
	s_delay_alu instid0(VALU_DEP_1)
	v_dual_mov_b32 v17, v15 :: v_dual_mov_b32 v16, v19
.LBB109_36:                             ;   in Loop: Header=BB109_20 Depth=1
	s_mov_b32 s33, 0
.LBB109_37:                             ;   in Loop: Header=BB109_20 Depth=1
	s_mov_b32 s34, 4
	s_branch .LBB109_26
.LBB109_38:                             ;   in Loop: Header=BB109_20 Depth=1
	s_cmp_eq_u32 s5, 0
	s_cbranch_scc1 .LBB109_40
; %bb.39:                               ;   in Loop: Header=BB109_20 Depth=1
	s_mov_b32 s33, -1
	s_branch .LBB109_42
.LBB109_40:                             ;   in Loop: Header=BB109_20 Depth=1
	v_cmp_le_i64_e64 s33, s[30:31], s[20:21]
	s_and_b32 vcc_lo, exec_lo, s33
	s_mov_b32 s33, 0
	s_cbranch_vccz .LBB109_42
; %bb.41:                               ;   in Loop: Header=BB109_20 Depth=1
	s_mov_b32 s7, -1
	s_mov_b32 s33, s17
.LBB109_42:                             ;   in Loop: Header=BB109_20 Depth=1
	v_mov_b64_e32 v[16:17], v[14:15]
	v_mov_b64_e32 v[18:19], v[8:9]
	v_mov_b32_e32 v20, v7
	s_mov_b32 s34, 2
	s_and_b32 vcc_lo, exec_lo, s33
	s_cbranch_vccz .LBB109_27
.LBB109_43:                             ;   in Loop: Header=BB109_20 Depth=1
	s_and_saveexec_b32 s7, s3
	s_cbranch_execz .LBB109_46
; %bb.44:                               ;   in Loop: Header=BB109_20 Depth=1
	s_lshl_b64 s[34:35], s[30:31], 2
	s_delay_alu instid0(SALU_CYCLE_1)
	s_add_nc_u64 s[34:35], s[24:25], s[34:35]
	global_load_b32 v5, v4, s[34:35] scope:SCOPE_DEV
	s_wait_loadcnt 0x0
	v_cmp_ne_u32_e32 vcc_lo, 0, v5
	s_cbranch_vccnz .LBB109_46
.LBB109_45:                             ;   Parent Loop BB109_20 Depth=1
                                        ; =>  This Inner Loop Header: Depth=2
	global_load_b32 v5, v4, s[34:35] scope:SCOPE_DEV
	s_wait_loadcnt 0x0
	v_cmp_eq_u32_e32 vcc_lo, 0, v5
	s_cbranch_vccnz .LBB109_45
.LBB109_46:                             ;   in Loop: Header=BB109_20 Depth=1
	s_wait_xcnt 0x0
	s_or_b32 exec_lo, exec_lo, s7
	v_dual_mov_b32 v5, v9 :: v_dual_mov_b32 v16, v9
	v_mov_b32_e32 v17, v4
	s_wait_storecnt 0x0
	s_barrier_signal -1
	s_delay_alu instid0(VALU_DEP_2)
	v_mov_b64_e32 v[18:19], v[4:5]
	s_barrier_wait -1
	global_inv scope:SCOPE_DEV
	s_and_saveexec_b32 s7, s2
	s_cbranch_execz .LBB109_48
; %bb.47:                               ;   in Loop: Header=BB109_20 Depth=1
	s_mul_u64 s[30:31], s[30:31], s[10:11]
	s_delay_alu instid0(SALU_CYCLE_1) | instskip(SKIP_4) | instid1(VALU_DEP_2)
	v_lshl_add_u64 v[16:17], s[30:31], 3, v[2:3]
	global_load_b64 v[24:25], v[16:17], off
	s_wait_loadcnt 0x0
	v_dual_mov_b32 v16, v9 :: v_dual_fma_f32 v17, -v23, v24, v15
	v_dual_fma_f32 v5, -v22, v24, v8 :: v_dual_mov_b32 v19, v9
	v_fmac_f32_e32 v17, v22, v25
	s_delay_alu instid0(VALU_DEP_2)
	v_fma_f32 v18, -v23, v25, v5
.LBB109_48:                             ;   in Loop: Header=BB109_20 Depth=1
	s_or_b32 exec_lo, exec_lo, s7
	v_mov_b32_e32 v20, v7
	s_mov_b32 s34, 0
	s_branch .LBB109_28
.LBB109_49:                             ;   in Loop: Header=BB109_20 Depth=1
	s_and_not1_b32 vcc_lo, exec_lo, s4
	s_cbranch_vccnz .LBB109_51
; %bb.50:                               ;   in Loop: Header=BB109_20 Depth=1
	v_mul_f32_e32 v5, v22, v22
	s_delay_alu instid0(VALU_DEP_1) | instskip(NEXT) | instid1(VALU_DEP_1)
	v_fmac_f32_e32 v5, v23, v23
	v_div_scale_f32 v7, null, v5, v5, 1.0
	v_div_scale_f32 v16, vcc_lo, 1.0, v5, 1.0
	s_delay_alu instid0(VALU_DEP_2) | instskip(SKIP_1) | instid1(TRANS32_DEP_1)
	v_rcp_f32_e32 v9, v7
	v_nop
	v_fma_f32 v14, -v7, v9, 1.0
	s_delay_alu instid0(VALU_DEP_1) | instskip(NEXT) | instid1(VALU_DEP_1)
	v_fmac_f32_e32 v9, v14, v9
	v_mul_f32_e32 v14, v16, v9
	s_delay_alu instid0(VALU_DEP_1) | instskip(NEXT) | instid1(VALU_DEP_1)
	v_fma_f32 v17, -v7, v14, v16
	v_fmac_f32_e32 v14, v17, v9
	s_delay_alu instid0(VALU_DEP_1) | instskip(NEXT) | instid1(VALU_DEP_1)
	v_fma_f32 v7, -v7, v14, v16
	v_div_fmas_f32 v7, v7, v9, v14
	v_fma_f32 v14, v23, 0, -v22
	s_delay_alu instid0(VALU_DEP_2) | instskip(SKIP_1) | instid1(VALU_DEP_1)
	v_div_fixup_f32 v5, v7, v5, 1.0
	v_fma_f32 v7, 0, v22, v23
	v_dual_mul_f32 v9, v7, v5 :: v_dual_mul_f32 v7, v14, v5
	s_delay_alu instid0(VALU_DEP_1)
	v_mov_b32_e32 v14, v9
.LBB109_51:                             ;   in Loop: Header=BB109_20 Depth=1
	v_mov_b64_e32 v[18:19], v[8:9]
	s_delay_alu instid0(VALU_DEP_2) | instskip(NEXT) | instid1(VALU_DEP_4)
	v_mov_b64_e32 v[16:17], v[14:15]
	v_mov_b32_e32 v20, v7
	s_mov_b32 s34, 2
	s_mov_b32 s7, -1
	s_cmp_gt_i32 s34, 3
	s_mov_b32 s17, -1
	s_cbranch_scc1 .LBB109_29
.LBB109_52:                             ;   in Loop: Header=BB109_20 Depth=1
	s_cmp_eq_u32 s34, 0
	s_cselect_b32 s17, -1, 0
	s_delay_alu instid0(SALU_CYCLE_1)
	s_and_not1_b32 vcc_lo, exec_lo, s17
	s_cbranch_vccnz .LBB109_30
.LBB109_53:                             ;   in Loop: Header=BB109_20 Depth=1
	s_add_nc_u64 s[28:29], s[28:29], 1
	s_delay_alu instid0(SALU_CYCLE_1)
	v_cmp_ge_i64_e64 s7, s[28:29], s[18:19]
	s_and_not1_b32 vcc_lo, exec_lo, s7
	s_cbranch_vccz .LBB109_56
.LBB109_54:                             ;   in Loop: Header=BB109_20 Depth=1
	v_mov_b32_e32 v7, v20
	v_mov_b64_e32 v[8:9], v[18:19]
	v_mov_b64_e32 v[14:15], v[16:17]
	s_sub_co_i32 s7, s28, s16
	s_delay_alu instid0(SALU_CYCLE_1) | instskip(NEXT) | instid1(SALU_CYCLE_1)
	s_and_b32 s7, s7, 0xff
	s_cmp_lg_u32 s7, 0
	s_cbranch_scc1 .LBB109_20
	s_branch .LBB109_17
.LBB109_55:
	v_mov_b64_e32 v[16:17], v[14:15]
	v_mov_b64_e32 v[18:19], v[8:9]
	s_and_saveexec_b32 s0, s2
	s_cbranch_execnz .LBB109_57
	s_branch .LBB109_58
.LBB109_56:
	v_dual_mov_b32 v4, v18 :: v_dual_mov_b32 v5, v17
	s_and_saveexec_b32 s0, s2
	s_cbranch_execz .LBB109_58
.LBB109_57:
	s_delay_alu instid0(VALU_DEP_1) | instskip(NEXT) | instid1(VALU_DEP_3)
	v_xor_b32_e32 v7, 0x80000000, v18
	v_mov_b32_e32 v6, v17
	s_cmp_eq_u32 s6, 0
	v_lshl_add_u64 v[2:3], s[22:23], 3, v[2:3]
	s_cselect_b32 vcc_lo, -1, 0
	s_delay_alu instid0(VALU_DEP_2) | instskip(NEXT) | instid1(VALU_DEP_1)
	v_pk_mul_f32 v[6:7], v[20:21], v[6:7] op_sel_hi:[0,1]
	v_pk_fma_f32 v[6:7], v[18:19], v[16:17], v[6:7]
	s_delay_alu instid0(VALU_DEP_1)
	v_dual_cndmask_b32 v9, v4, v6 :: v_dual_cndmask_b32 v8, v5, v7
	global_store_b64 v[2:3], v[8:9], off
.LBB109_58:
	s_wait_xcnt 0x0
	s_or_b32 exec_lo, exec_lo, s0
	global_wb scope:SCOPE_DEV
	s_wait_loadcnt 0x0
	s_wait_storecnt 0x0
	global_inv scope:SCOPE_DEV
	s_wait_loadcnt 0x0
	s_barrier_signal -1
	s_barrier_wait -1
	s_mov_b32 s0, exec_lo
	v_cmpx_eq_u32_e32 0, v0
	s_cbranch_execz .LBB109_60
; %bb.59:
	s_lshl_b64 s[0:1], s[20:21], 2
	v_dual_mov_b32 v0, 0 :: v_dual_mov_b32 v1, 1
	s_add_nc_u64 s[0:1], s[14:15], s[0:1]
	s_lshl_b64 s[2:3], s[12:13], 2
	s_delay_alu instid0(SALU_CYCLE_1)
	s_add_nc_u64 s[0:1], s[0:1], s[2:3]
	global_store_b32 v0, v1, s[0:1] scope:SCOPE_DEV
.LBB109_60:
	s_endpgm
.LBB109_61:
                                        ; implicit-def: $sgpr22_sgpr23
	s_clause 0x1
	s_load_b64 s[10:11], s[0:1], 0x50
	s_load_b64 s[16:17], s[0:1], 0x20
	s_branch .LBB109_6
	.section	.rodata,"a",@progbits
	.p2align	6, 0x0
	.amdhsa_kernel _ZN9rocsparseL5csrsmILj256ELj64ELb0Ell21rocsparse_complex_numIfEEEv20rocsparse_operation_T3_S4_NS_24const_host_device_scalarIT4_EEPKT2_PKS4_PKS6_PS6_lPiSC_PS4_21rocsparse_index_base_20rocsparse_fill_mode_20rocsparse_diag_type_b
		.amdhsa_group_segment_fixed_size 4096
		.amdhsa_private_segment_fixed_size 0
		.amdhsa_kernarg_size 112
		.amdhsa_user_sgpr_count 2
		.amdhsa_user_sgpr_dispatch_ptr 0
		.amdhsa_user_sgpr_queue_ptr 0
		.amdhsa_user_sgpr_kernarg_segment_ptr 1
		.amdhsa_user_sgpr_dispatch_id 0
		.amdhsa_user_sgpr_kernarg_preload_length 0
		.amdhsa_user_sgpr_kernarg_preload_offset 0
		.amdhsa_user_sgpr_private_segment_size 0
		.amdhsa_wavefront_size32 1
		.amdhsa_uses_dynamic_stack 0
		.amdhsa_enable_private_segment 0
		.amdhsa_system_sgpr_workgroup_id_x 1
		.amdhsa_system_sgpr_workgroup_id_y 0
		.amdhsa_system_sgpr_workgroup_id_z 0
		.amdhsa_system_sgpr_workgroup_info 0
		.amdhsa_system_vgpr_workitem_id 0
		.amdhsa_next_free_vgpr 26
		.amdhsa_next_free_sgpr 37
		.amdhsa_named_barrier_count 0
		.amdhsa_reserve_vcc 1
		.amdhsa_float_round_mode_32 0
		.amdhsa_float_round_mode_16_64 0
		.amdhsa_float_denorm_mode_32 3
		.amdhsa_float_denorm_mode_16_64 3
		.amdhsa_fp16_overflow 0
		.amdhsa_memory_ordered 1
		.amdhsa_forward_progress 1
		.amdhsa_inst_pref_size 22
		.amdhsa_round_robin_scheduling 0
		.amdhsa_exception_fp_ieee_invalid_op 0
		.amdhsa_exception_fp_denorm_src 0
		.amdhsa_exception_fp_ieee_div_zero 0
		.amdhsa_exception_fp_ieee_overflow 0
		.amdhsa_exception_fp_ieee_underflow 0
		.amdhsa_exception_fp_ieee_inexact 0
		.amdhsa_exception_int_div_zero 0
	.end_amdhsa_kernel
	.section	.text._ZN9rocsparseL5csrsmILj256ELj64ELb0Ell21rocsparse_complex_numIfEEEv20rocsparse_operation_T3_S4_NS_24const_host_device_scalarIT4_EEPKT2_PKS4_PKS6_PS6_lPiSC_PS4_21rocsparse_index_base_20rocsparse_fill_mode_20rocsparse_diag_type_b,"axG",@progbits,_ZN9rocsparseL5csrsmILj256ELj64ELb0Ell21rocsparse_complex_numIfEEEv20rocsparse_operation_T3_S4_NS_24const_host_device_scalarIT4_EEPKT2_PKS4_PKS6_PS6_lPiSC_PS4_21rocsparse_index_base_20rocsparse_fill_mode_20rocsparse_diag_type_b,comdat
.Lfunc_end109:
	.size	_ZN9rocsparseL5csrsmILj256ELj64ELb0Ell21rocsparse_complex_numIfEEEv20rocsparse_operation_T3_S4_NS_24const_host_device_scalarIT4_EEPKT2_PKS4_PKS6_PS6_lPiSC_PS4_21rocsparse_index_base_20rocsparse_fill_mode_20rocsparse_diag_type_b, .Lfunc_end109-_ZN9rocsparseL5csrsmILj256ELj64ELb0Ell21rocsparse_complex_numIfEEEv20rocsparse_operation_T3_S4_NS_24const_host_device_scalarIT4_EEPKT2_PKS4_PKS6_PS6_lPiSC_PS4_21rocsparse_index_base_20rocsparse_fill_mode_20rocsparse_diag_type_b
                                        ; -- End function
	.set _ZN9rocsparseL5csrsmILj256ELj64ELb0Ell21rocsparse_complex_numIfEEEv20rocsparse_operation_T3_S4_NS_24const_host_device_scalarIT4_EEPKT2_PKS4_PKS6_PS6_lPiSC_PS4_21rocsparse_index_base_20rocsparse_fill_mode_20rocsparse_diag_type_b.num_vgpr, 26
	.set _ZN9rocsparseL5csrsmILj256ELj64ELb0Ell21rocsparse_complex_numIfEEEv20rocsparse_operation_T3_S4_NS_24const_host_device_scalarIT4_EEPKT2_PKS4_PKS6_PS6_lPiSC_PS4_21rocsparse_index_base_20rocsparse_fill_mode_20rocsparse_diag_type_b.num_agpr, 0
	.set _ZN9rocsparseL5csrsmILj256ELj64ELb0Ell21rocsparse_complex_numIfEEEv20rocsparse_operation_T3_S4_NS_24const_host_device_scalarIT4_EEPKT2_PKS4_PKS6_PS6_lPiSC_PS4_21rocsparse_index_base_20rocsparse_fill_mode_20rocsparse_diag_type_b.numbered_sgpr, 37
	.set _ZN9rocsparseL5csrsmILj256ELj64ELb0Ell21rocsparse_complex_numIfEEEv20rocsparse_operation_T3_S4_NS_24const_host_device_scalarIT4_EEPKT2_PKS4_PKS6_PS6_lPiSC_PS4_21rocsparse_index_base_20rocsparse_fill_mode_20rocsparse_diag_type_b.num_named_barrier, 0
	.set _ZN9rocsparseL5csrsmILj256ELj64ELb0Ell21rocsparse_complex_numIfEEEv20rocsparse_operation_T3_S4_NS_24const_host_device_scalarIT4_EEPKT2_PKS4_PKS6_PS6_lPiSC_PS4_21rocsparse_index_base_20rocsparse_fill_mode_20rocsparse_diag_type_b.private_seg_size, 0
	.set _ZN9rocsparseL5csrsmILj256ELj64ELb0Ell21rocsparse_complex_numIfEEEv20rocsparse_operation_T3_S4_NS_24const_host_device_scalarIT4_EEPKT2_PKS4_PKS6_PS6_lPiSC_PS4_21rocsparse_index_base_20rocsparse_fill_mode_20rocsparse_diag_type_b.uses_vcc, 1
	.set _ZN9rocsparseL5csrsmILj256ELj64ELb0Ell21rocsparse_complex_numIfEEEv20rocsparse_operation_T3_S4_NS_24const_host_device_scalarIT4_EEPKT2_PKS4_PKS6_PS6_lPiSC_PS4_21rocsparse_index_base_20rocsparse_fill_mode_20rocsparse_diag_type_b.uses_flat_scratch, 0
	.set _ZN9rocsparseL5csrsmILj256ELj64ELb0Ell21rocsparse_complex_numIfEEEv20rocsparse_operation_T3_S4_NS_24const_host_device_scalarIT4_EEPKT2_PKS4_PKS6_PS6_lPiSC_PS4_21rocsparse_index_base_20rocsparse_fill_mode_20rocsparse_diag_type_b.has_dyn_sized_stack, 0
	.set _ZN9rocsparseL5csrsmILj256ELj64ELb0Ell21rocsparse_complex_numIfEEEv20rocsparse_operation_T3_S4_NS_24const_host_device_scalarIT4_EEPKT2_PKS4_PKS6_PS6_lPiSC_PS4_21rocsparse_index_base_20rocsparse_fill_mode_20rocsparse_diag_type_b.has_recursion, 0
	.set _ZN9rocsparseL5csrsmILj256ELj64ELb0Ell21rocsparse_complex_numIfEEEv20rocsparse_operation_T3_S4_NS_24const_host_device_scalarIT4_EEPKT2_PKS4_PKS6_PS6_lPiSC_PS4_21rocsparse_index_base_20rocsparse_fill_mode_20rocsparse_diag_type_b.has_indirect_call, 0
	.section	.AMDGPU.csdata,"",@progbits
; Kernel info:
; codeLenInByte = 2724
; TotalNumSgprs: 39
; NumVgprs: 26
; ScratchSize: 0
; MemoryBound: 0
; FloatMode: 240
; IeeeMode: 1
; LDSByteSize: 4096 bytes/workgroup (compile time only)
; SGPRBlocks: 0
; VGPRBlocks: 1
; NumSGPRsForWavesPerEU: 39
; NumVGPRsForWavesPerEU: 26
; NamedBarCnt: 0
; Occupancy: 16
; WaveLimiterHint : 1
; COMPUTE_PGM_RSRC2:SCRATCH_EN: 0
; COMPUTE_PGM_RSRC2:USER_SGPR: 2
; COMPUTE_PGM_RSRC2:TRAP_HANDLER: 0
; COMPUTE_PGM_RSRC2:TGID_X_EN: 1
; COMPUTE_PGM_RSRC2:TGID_Y_EN: 0
; COMPUTE_PGM_RSRC2:TGID_Z_EN: 0
; COMPUTE_PGM_RSRC2:TIDIG_COMP_CNT: 0
	.section	.text._ZN9rocsparseL5csrsmILj512ELj64ELb1Ell21rocsparse_complex_numIfEEEv20rocsparse_operation_T3_S4_NS_24const_host_device_scalarIT4_EEPKT2_PKS4_PKS6_PS6_lPiSC_PS4_21rocsparse_index_base_20rocsparse_fill_mode_20rocsparse_diag_type_b,"axG",@progbits,_ZN9rocsparseL5csrsmILj512ELj64ELb1Ell21rocsparse_complex_numIfEEEv20rocsparse_operation_T3_S4_NS_24const_host_device_scalarIT4_EEPKT2_PKS4_PKS6_PS6_lPiSC_PS4_21rocsparse_index_base_20rocsparse_fill_mode_20rocsparse_diag_type_b,comdat
	.globl	_ZN9rocsparseL5csrsmILj512ELj64ELb1Ell21rocsparse_complex_numIfEEEv20rocsparse_operation_T3_S4_NS_24const_host_device_scalarIT4_EEPKT2_PKS4_PKS6_PS6_lPiSC_PS4_21rocsparse_index_base_20rocsparse_fill_mode_20rocsparse_diag_type_b ; -- Begin function _ZN9rocsparseL5csrsmILj512ELj64ELb1Ell21rocsparse_complex_numIfEEEv20rocsparse_operation_T3_S4_NS_24const_host_device_scalarIT4_EEPKT2_PKS4_PKS6_PS6_lPiSC_PS4_21rocsparse_index_base_20rocsparse_fill_mode_20rocsparse_diag_type_b
	.p2align	8
	.type	_ZN9rocsparseL5csrsmILj512ELj64ELb1Ell21rocsparse_complex_numIfEEEv20rocsparse_operation_T3_S4_NS_24const_host_device_scalarIT4_EEPKT2_PKS4_PKS6_PS6_lPiSC_PS4_21rocsparse_index_base_20rocsparse_fill_mode_20rocsparse_diag_type_b,@function
_ZN9rocsparseL5csrsmILj512ELj64ELb1Ell21rocsparse_complex_numIfEEEv20rocsparse_operation_T3_S4_NS_24const_host_device_scalarIT4_EEPKT2_PKS4_PKS6_PS6_lPiSC_PS4_21rocsparse_index_base_20rocsparse_fill_mode_20rocsparse_diag_type_b: ; @_ZN9rocsparseL5csrsmILj512ELj64ELb1Ell21rocsparse_complex_numIfEEEv20rocsparse_operation_T3_S4_NS_24const_host_device_scalarIT4_EEPKT2_PKS4_PKS6_PS6_lPiSC_PS4_21rocsparse_index_base_20rocsparse_fill_mode_20rocsparse_diag_type_b
; %bb.0:
	s_clause 0x2
	s_load_b128 s[4:7], s[0:1], 0x60
	s_load_b64 s[2:3], s[0:1], 0x18
	s_load_b128 s[12:15], s[0:1], 0x8
	s_wait_kmcnt 0x0
	s_bitcmp1_b32 s7, 0
	s_mov_b32 s25, s2
	s_cselect_b32 s8, -1, 0
	s_delay_alu instid0(SALU_CYCLE_1)
	s_xor_b32 s7, s8, -1
	s_and_b32 vcc_lo, exec_lo, s8
	s_cbranch_vccnz .LBB110_2
; %bb.1:
	s_load_b32 s25, s[2:3], 0x0
.LBB110_2:
	s_and_not1_b32 vcc_lo, exec_lo, s7
	s_cbranch_vccnz .LBB110_4
; %bb.3:
	s_wait_xcnt 0x0
	s_load_b32 s3, s[2:3], 0x4
.LBB110_4:
	s_wait_xcnt 0x0
	s_bfe_u32 s2, ttmp6, 0x4000c
	s_and_b32 s7, ttmp6, 15
	s_add_co_i32 s2, s2, 1
	s_getreg_b32 s8, hwreg(HW_REG_IB_STS2, 6, 4)
	s_mul_i32 s2, ttmp9, s2
	s_mov_b32 s9, 0
	s_add_co_i32 s7, s7, s2
	s_cmp_eq_u32 s8, 0
	s_cselect_b32 s8, ttmp9, s7
	s_and_b64 s[10:11], s[12:13], 0xffffffff00000000
	s_delay_alu instid0(SALU_CYCLE_1)
	s_cmp_lg_u64 s[10:11], 0
	s_cbranch_scc0 .LBB110_64
; %bb.5:
	s_ashr_i32 s10, s13, 31
	s_mov_b32 s23, s9
	s_mov_b32 s11, s10
	;; [unrolled: 1-line block ×3, first 2 shown]
	s_add_nc_u64 s[16:17], s[12:13], s[10:11]
	s_delay_alu instid0(SALU_CYCLE_1) | instskip(NEXT) | instid1(SALU_CYCLE_1)
	s_xor_b64 s[16:17], s[16:17], s[10:11]
	s_cvt_f32_u32 s2, s16
	s_cvt_f32_u32 s7, s17
	s_sub_nc_u64 s[20:21], 0, s[16:17]
	s_delay_alu instid0(SALU_CYCLE_2) | instskip(NEXT) | instid1(SALU_CYCLE_3)
	s_fmamk_f32 s2, s7, 0x4f800000, s2
	v_s_rcp_f32 s2, s2
	s_delay_alu instid0(TRANS32_DEP_1) | instskip(NEXT) | instid1(SALU_CYCLE_3)
	s_mul_f32 s2, s2, 0x5f7ffffc
	s_mul_f32 s7, s2, 0x2f800000
	s_delay_alu instid0(SALU_CYCLE_3) | instskip(NEXT) | instid1(SALU_CYCLE_3)
	s_trunc_f32 s7, s7
	s_fmamk_f32 s2, s7, 0xcf800000, s2
	s_cvt_u32_f32 s19, s7
	s_delay_alu instid0(SALU_CYCLE_2) | instskip(NEXT) | instid1(SALU_CYCLE_3)
	s_cvt_u32_f32 s18, s2
	s_mul_u64 s[26:27], s[20:21], s[18:19]
	s_delay_alu instid0(SALU_CYCLE_1)
	s_mul_hi_u32 s31, s18, s27
	s_mul_i32 s30, s18, s27
	s_mul_hi_u32 s22, s18, s26
	s_mul_i32 s7, s19, s26
	s_add_nc_u64 s[22:23], s[22:23], s[30:31]
	s_mul_hi_u32 s2, s19, s26
	s_mul_hi_u32 s24, s19, s27
	s_add_co_u32 s7, s22, s7
	s_add_co_ci_u32 s28, s23, s2
	s_mul_i32 s26, s19, s27
	s_add_co_ci_u32 s27, s24, 0
	s_delay_alu instid0(SALU_CYCLE_1) | instskip(SKIP_3) | instid1(SALU_CYCLE_1)
	s_add_nc_u64 s[22:23], s[28:29], s[26:27]
	s_mov_b32 s27, s9
	s_add_co_u32 s18, s18, s22
	s_cselect_b32 s2, -1, 0
	s_cmp_lg_u32 s2, 0
	s_add_co_ci_u32 s19, s19, s23
	s_mov_b32 s23, s9
	s_mul_u64 s[20:21], s[20:21], s[18:19]
	s_delay_alu instid0(SALU_CYCLE_1)
	s_mul_hi_u32 s29, s18, s21
	s_mul_i32 s28, s18, s21
	s_mul_hi_u32 s22, s18, s20
	s_mul_i32 s7, s19, s20
	s_add_nc_u64 s[22:23], s[22:23], s[28:29]
	s_mul_hi_u32 s2, s19, s20
	s_mul_hi_u32 s24, s19, s21
	s_add_co_u32 s7, s22, s7
	s_add_co_ci_u32 s26, s23, s2
	s_mul_i32 s20, s19, s21
	s_add_co_ci_u32 s21, s24, 0
	s_add_nc_u64 s[22:23], s[8:9], 0
	s_add_nc_u64 s[20:21], s[26:27], s[20:21]
	s_delay_alu instid0(SALU_CYCLE_1) | instskip(SKIP_1) | instid1(SALU_CYCLE_1)
	s_add_co_u32 s2, s18, s20
	s_cselect_b32 s7, -1, 0
	s_cmp_lg_u32 s7, 0
	s_add_co_ci_u32 s7, s19, s21
	s_xor_b64 s[18:19], s[22:23], 0
	s_mov_b32 s21, s9
	s_mul_hi_u32 s23, s18, s7
	s_mul_i32 s22, s18, s7
	s_mul_hi_u32 s26, s18, s2
	s_mul_hi_u32 s20, s19, s2
	s_mul_i32 s2, s19, s2
	s_add_nc_u64 s[22:23], s[26:27], s[22:23]
	s_mul_hi_u32 s24, s19, s7
	s_add_co_u32 s2, s22, s2
	s_add_co_ci_u32 s20, s23, s20
	s_mul_i32 s26, s19, s7
	s_add_co_ci_u32 s27, s24, 0
	s_delay_alu instid0(SALU_CYCLE_1) | instskip(NEXT) | instid1(SALU_CYCLE_1)
	s_add_nc_u64 s[20:21], s[20:21], s[26:27]
	s_and_b64 s[22:23], s[20:21], 0xffffffff00000000
	s_delay_alu instid0(SALU_CYCLE_1) | instskip(NEXT) | instid1(SALU_CYCLE_1)
	s_or_b32 s22, s22, s20
	s_mul_u64 s[20:21], s[16:17], s[22:23]
	s_add_nc_u64 s[26:27], s[22:23], 1
	s_sub_co_u32 s2, s18, s20
	s_cselect_b32 s7, -1, 0
	s_sub_co_i32 s18, s19, s21
	s_cmp_lg_u32 s7, 0
	s_add_nc_u64 s[28:29], s[22:23], 2
	s_sub_co_ci_u32 s18, s18, s17
	s_sub_co_u32 s20, s2, s16
	s_cselect_b32 s24, -1, 0
	s_delay_alu instid0(SALU_CYCLE_1) | instskip(SKIP_1) | instid1(SALU_CYCLE_1)
	s_cmp_lg_u32 s24, 0
	s_sub_co_ci_u32 s18, s18, 0
	s_cmp_ge_u32 s18, s17
	s_cselect_b32 s24, -1, 0
	s_cmp_ge_u32 s20, s16
	s_cselect_b32 s20, -1, 0
	s_cmp_eq_u32 s18, s17
	s_cselect_b32 s18, s20, s24
	s_delay_alu instid0(SALU_CYCLE_1) | instskip(SKIP_4) | instid1(SALU_CYCLE_1)
	s_cmp_lg_u32 s18, 0
	s_cselect_b32 s18, s28, s26
	s_cselect_b32 s20, s29, s27
	s_cmp_lg_u32 s7, 0
	s_sub_co_ci_u32 s7, s19, s21
	s_cmp_ge_u32 s7, s17
	s_cselect_b32 s19, -1, 0
	s_cmp_ge_u32 s2, s16
	s_cselect_b32 s2, -1, 0
	s_cmp_eq_u32 s7, s17
	s_cselect_b32 s2, s2, s19
	s_delay_alu instid0(SALU_CYCLE_1) | instskip(SKIP_4) | instid1(SALU_CYCLE_1)
	s_cmp_lg_u32 s2, 0
	s_mov_b32 s2, s9
	s_cselect_b32 s17, s20, s23
	s_cselect_b32 s16, s18, s22
	s_xor_b64 s[10:11], 0, s[10:11]
	s_xor_b64 s[16:17], s[16:17], s[10:11]
	s_delay_alu instid0(SALU_CYCLE_1)
	s_sub_nc_u64 s[22:23], s[16:17], s[10:11]
	s_clause 0x1
	s_load_b64 s[10:11], s[0:1], 0x50
	s_load_b64 s[16:17], s[0:1], 0x20
	s_and_not1_b32 vcc_lo, exec_lo, s2
	s_cbranch_vccnz .LBB110_7
.LBB110_6:
	v_cvt_f32_u32_e32 v1, s12
	s_sub_co_i32 s7, 0, s12
	s_mov_b32 s23, 0
	s_delay_alu instid0(VALU_DEP_1) | instskip(SKIP_1) | instid1(TRANS32_DEP_1)
	v_rcp_iflag_f32_e32 v1, v1
	v_nop
	v_mul_f32_e32 v1, 0x4f7ffffe, v1
	s_delay_alu instid0(VALU_DEP_1) | instskip(NEXT) | instid1(VALU_DEP_1)
	v_cvt_u32_f32_e32 v1, v1
	v_readfirstlane_b32 s2, v1
	s_mul_i32 s7, s7, s2
	s_delay_alu instid0(SALU_CYCLE_1) | instskip(NEXT) | instid1(SALU_CYCLE_1)
	s_mul_hi_u32 s7, s2, s7
	s_add_co_i32 s2, s2, s7
	s_delay_alu instid0(SALU_CYCLE_1) | instskip(NEXT) | instid1(SALU_CYCLE_1)
	s_mul_hi_u32 s2, s8, s2
	s_mul_i32 s7, s2, s12
	s_add_co_i32 s18, s2, 1
	s_sub_co_i32 s7, s8, s7
	s_delay_alu instid0(SALU_CYCLE_1)
	s_sub_co_i32 s19, s7, s12
	s_cmp_ge_u32 s7, s12
	s_cselect_b32 s2, s18, s2
	s_cselect_b32 s7, s19, s7
	s_add_co_i32 s18, s2, 1
	s_cmp_ge_u32 s7, s12
	s_cselect_b32 s22, s18, s2
.LBB110_7:
	s_delay_alu instid0(SALU_CYCLE_1)
	s_mul_u64 s[12:13], s[22:23], s[12:13]
	s_load_b32 s7, s[0:1], 0x0
	s_sub_nc_u64 s[8:9], s[8:9], s[12:13]
	s_lshl_b64 s[22:23], s[22:23], 9
	s_lshl_b64 s[8:9], s[8:9], 3
	v_dual_mov_b32 v3, s23 :: v_dual_bitop2_b32 v2, s22, v0 bitop3:0x54
	s_wait_kmcnt 0x0
	s_add_nc_u64 s[18:19], s[10:11], s[8:9]
	s_load_b64 s[20:21], s[18:19], 0x0
	s_load_b128 s[8:11], s[0:1], 0x38
	v_mov_b32_e32 v1, 0
	v_cmp_gt_i64_e64 s2, s[14:15], v[2:3]
	s_wait_kmcnt 0x0
	s_lshl_b64 s[18:19], s[20:21], 3
	s_mul_u64 s[22:23], s[20:21], s[10:11]
	s_add_nc_u64 s[26:27], s[16:17], s[18:19]
	v_add_nc_u64_e32 v[6:7], s[22:23], v[2:3]
	s_load_b128 s[16:19], s[26:27], 0x0
	s_cmp_lg_u32 s7, 0x71
	s_cbranch_scc0 .LBB110_11
; %bb.8:
	v_mov_b64_e32 v[4:5], 0
	s_and_saveexec_b32 s7, s2
	s_cbranch_execz .LBB110_10
; %bb.9:
	v_lshl_add_u64 v[4:5], v[6:7], 3, s[8:9]
	s_xor_b32 s14, s3, 0x80000000
	s_delay_alu instid0(SALU_CYCLE_1) | instskip(SKIP_4) | instid1(VALU_DEP_1)
	v_dual_mov_b32 v9, s25 :: v_dual_mov_b32 v11, s14
	v_dual_mov_b32 v10, s25 :: v_dual_mov_b32 v8, s3
	global_load_b64 v[4:5], v[4:5], off
	s_wait_loadcnt 0x0
	v_pk_mul_f32 v[10:11], v[4:5], v[10:11] op_sel:[1,0]
	v_pk_fma_f32 v[4:5], v[8:9], v[4:5], v[10:11] op_sel_hi:[1,0,1]
.LBB110_10:
	s_or_b32 exec_lo, exec_lo, s7
	s_cbranch_execz .LBB110_12
	s_branch .LBB110_15
.LBB110_11:
                                        ; implicit-def: $vgpr4_vgpr5
.LBB110_12:
	v_mov_b64_e32 v[4:5], 0
	s_and_saveexec_b32 s7, s2
	s_cbranch_execz .LBB110_14
; %bb.13:
	v_lshl_add_u64 v[4:5], v[6:7], 3, s[8:9]
	s_mov_b32 s24, s3
	s_delay_alu instid0(SALU_CYCLE_1) | instskip(SKIP_3) | instid1(VALU_DEP_1)
	v_mov_b64_e32 v[6:7], s[24:25]
	global_load_b64 v[4:5], v[4:5], off
	s_wait_loadcnt 0x0
	v_pk_mul_f32 v[8:9], v[4:5], v[6:7] op_sel:[1,0] neg_hi:[1,0]
	v_pk_fma_f32 v[4:5], v[6:7], v[4:5], v[8:9] op_sel:[0,0,1] op_sel_hi:[1,0,0]
.LBB110_14:
	s_or_b32 exec_lo, exec_lo, s7
.LBB110_15:
	s_load_b64 s[14:15], s[0:1], 0x48
	s_wait_kmcnt 0x0
	v_cmp_ge_i64_e64 s3, s[16:17], s[18:19]
	v_dual_mov_b32 v9, 1.0 :: v_dual_mov_b32 v8, v4
	v_lshl_add_u64 v[2:3], v[2:3], 3, s[8:9]
	v_dual_mov_b32 v15, v5 :: v_dual_mov_b32 v20, 0
	s_delay_alu instid0(VALU_DEP_3)
	v_mov_b32_e32 v14, v9
	s_and_b32 vcc_lo, exec_lo, s3
	v_cmp_eq_u32_e64 s3, 0, v0
	s_cbranch_vccnz .LBB110_58
; %bb.16:
	s_clause 0x1
	s_load_b128 s[28:31], s[0:1], 0x28
	s_load_b64 s[8:9], s[0:1], 0x58
	v_dual_mov_b32 v4, 0 :: v_dual_lshlrev_b32 v6, 3, v0
	s_wait_xcnt 0x0
	s_mov_b32 s1, 0
	s_mov_b32 s0, s4
	s_lshl_b64 s[24:25], s[12:13], 2
	v_mov_b32_e32 v7, v4
	v_or_b32_e32 v21, 0x1000, v6
	s_cmp_eq_u32 s6, 0
	s_sub_nc_u64 s[16:17], s[16:17], s[0:1]
	s_add_nc_u64 s[24:25], s[14:15], s[24:25]
	s_cselect_b32 s4, -1, 0
	s_sub_nc_u64 s[18:19], s[18:19], s[0:1]
	s_add_nc_u64 s[26:27], s[20:21], s[0:1]
	s_wait_kmcnt 0x0
	v_add_nc_u64_e32 v[10:11], s[28:29], v[6:7]
	v_add_nc_u64_e32 v[12:13], s[30:31], v[6:7]
	v_mov_b32_e32 v7, 0
	s_mov_b64 s[28:29], s[16:17]
	s_delay_alu instid0(SALU_CYCLE_1) | instskip(NEXT) | instid1(SALU_CYCLE_1)
	s_sub_co_i32 s7, s28, s16
	s_and_b32 s7, s7, 0x1ff
	s_delay_alu instid0(SALU_CYCLE_1)
	s_cmp_lg_u32 s7, 0
	s_cbranch_scc1 .LBB110_20
.LBB110_17:
	v_mov_b64_e32 v[18:19], -1
	v_dual_mov_b32 v17, 0 :: v_dual_mov_b32 v16, -1.0
	s_sub_nc_u64 s[30:31], s[18:19], s[28:29]
	s_mov_b32 s17, exec_lo
	v_cmpx_gt_i64_e64 s[30:31], v[0:1]
	s_cbranch_execz .LBB110_19
; %bb.18:
	s_lshl_b64 s[30:31], s[28:29], 3
	s_delay_alu instid0(SALU_CYCLE_1)
	v_add_nc_u64_e32 v[16:17], s[30:31], v[10:11]
	global_load_b64 v[18:19], v[16:17], off
	s_wait_xcnt 0x0
	v_add_nc_u64_e32 v[16:17], s[30:31], v[12:13]
	global_load_b64 v[16:17], v[16:17], off
	s_wait_loadcnt 0x1
	v_sub_nc_u64_e64 v[18:19], v[18:19], s[0:1]
.LBB110_19:
	s_wait_xcnt 0x0
	s_or_b32 exec_lo, exec_lo, s17
	ds_store_b64 v6, v[18:19]
	s_wait_loadcnt 0x0
	ds_store_b64 v21, v[16:17]
.LBB110_20:                             ; =>This Loop Header: Depth=1
                                        ;     Child Loop BB110_56 Depth 2
                                        ;       Child Loop BB110_57 Depth 3
	s_lshl_b32 s7, s7, 3
	s_wait_dscnt 0x0
	v_mov_b32_e32 v5, s7
	s_barrier_signal -1
	s_barrier_wait -1
	ds_load_2addr_stride64_b64 v[16:19], v5 offset1:8
	s_wait_dscnt 0x0
	v_readfirstlane_b32 s7, v18
	v_readfirstlane_b32 s33, v19
	;; [unrolled: 1-line block ×4, first 2 shown]
	s_cmp_eq_f32 s7, 0
	s_cselect_b32 s17, -1, 0
	s_cmp_eq_f32 s33, 0
	s_cselect_b32 s34, -1, 0
	s_delay_alu instid0(SALU_CYCLE_1)
	s_and_b32 s35, s17, s34
	s_cmp_eq_u64 s[30:31], s[20:21]
	s_cselect_b32 s34, -1, 0
	s_cmp_lg_u64 s[30:31], s[20:21]
	s_cselect_b32 s17, -1, 0
	s_and_b32 s35, s35, s34
	s_delay_alu instid0(SALU_CYCLE_1) | instskip(NEXT) | instid1(SALU_CYCLE_1)
	s_and_b32 s35, s4, s35
	s_and_b32 s36, s3, s35
	s_and_b32 s35, s35, exec_lo
	s_cselect_b32 s33, 0, s33
	s_cselect_b32 s7, 1.0, s7
	s_delay_alu instid0(SALU_CYCLE_1)
	v_dual_mov_b32 v22, s33 :: v_dual_mov_b32 v23, s7
	s_and_saveexec_b32 s7, s36
	s_cbranch_execz .LBB110_24
; %bb.21:                               ;   in Loop: Header=BB110_20 Depth=1
	v_mbcnt_lo_u32_b32 v5, exec_lo, 0
	s_mov_b32 s33, exec_lo
	s_delay_alu instid0(VALU_DEP_1)
	v_cmpx_eq_u32_e32 0, v5
	s_cbranch_execz .LBB110_23
; %bb.22:                               ;   in Loop: Header=BB110_20 Depth=1
	v_mov_b64_e32 v[16:17], s[26:27]
	global_atomic_min_u64 v4, v[16:17], s[8:9] scope:SCOPE_DEV
.LBB110_23:                             ;   in Loop: Header=BB110_20 Depth=1
	s_wait_xcnt 0x0
	s_or_b32 exec_lo, exec_lo, s33
	v_dual_mov_b32 v23, 1.0 :: v_dual_mov_b32 v22, 0
.LBB110_24:                             ;   in Loop: Header=BB110_20 Depth=1
	s_or_b32 exec_lo, exec_lo, s7
	s_mov_b32 s35, -1
	s_mov_b32 s7, 0
	s_cmp_lt_i32 s5, 1
	s_mov_b32 s33, 0
                                        ; implicit-def: $vgpr16_vgpr17
                                        ; implicit-def: $vgpr18_vgpr19
                                        ; implicit-def: $vgpr20
	s_cbranch_scc0 .LBB110_31
; %bb.25:                               ;   in Loop: Header=BB110_20 Depth=1
	s_and_b32 vcc_lo, exec_lo, s35
	s_mov_b32 s34, 4
	s_cbranch_vccnz .LBB110_38
.LBB110_26:                             ;   in Loop: Header=BB110_20 Depth=1
	s_and_b32 vcc_lo, exec_lo, s33
	s_cbranch_vccnz .LBB110_43
.LBB110_27:                             ;   in Loop: Header=BB110_20 Depth=1
	s_and_b32 vcc_lo, exec_lo, s7
	s_cbranch_vccnz .LBB110_48
.LBB110_28:                             ;   in Loop: Header=BB110_20 Depth=1
	s_mov_b32 s7, -1
	s_cmp_gt_i32 s34, 3
	s_mov_b32 s17, -1
	s_cbranch_scc0 .LBB110_51
.LBB110_29:                             ;   in Loop: Header=BB110_20 Depth=1
	s_and_not1_b32 vcc_lo, exec_lo, s17
	s_cbranch_vccz .LBB110_52
.LBB110_30:                             ;   in Loop: Header=BB110_20 Depth=1
	s_and_not1_b32 vcc_lo, exec_lo, s7
	s_cbranch_vccnz .LBB110_53
	s_branch .LBB110_59
.LBB110_31:                             ;   in Loop: Header=BB110_20 Depth=1
	s_cmp_eq_u32 s5, 1
	s_mov_b32 s33, -1
                                        ; implicit-def: $vgpr16_vgpr17
                                        ; implicit-def: $vgpr18_vgpr19
                                        ; implicit-def: $vgpr20
	s_cbranch_scc0 .LBB110_37
; %bb.32:                               ;   in Loop: Header=BB110_20 Depth=1
	v_cmp_ge_i64_e64 s33, s[30:31], s[20:21]
	v_mov_b64_e32 v[16:17], v[14:15]
	v_mov_b64_e32 v[18:19], v[8:9]
	v_mov_b32_e32 v20, v7
	s_and_b32 vcc_lo, exec_lo, s33
	s_mov_b32 s33, 0
	s_cbranch_vccz .LBB110_37
; %bb.33:                               ;   in Loop: Header=BB110_20 Depth=1
	s_and_b32 vcc_lo, exec_lo, s34
	s_mov_b32 s33, -1
                                        ; implicit-def: $vgpr16_vgpr17
                                        ; implicit-def: $vgpr18_vgpr19
                                        ; implicit-def: $vgpr20
	s_cbranch_vccz .LBB110_37
; %bb.34:                               ;   in Loop: Header=BB110_20 Depth=1
	v_mov_b64_e32 v[16:17], v[14:15]
	v_mov_b64_e32 v[18:19], v[8:9]
	v_mov_b32_e32 v20, v7
	s_and_not1_b32 vcc_lo, exec_lo, s4
	s_cbranch_vccnz .LBB110_36
; %bb.35:                               ;   in Loop: Header=BB110_20 Depth=1
	v_mul_f32_e32 v5, v22, v22
	s_delay_alu instid0(VALU_DEP_1) | instskip(NEXT) | instid1(VALU_DEP_1)
	v_fmac_f32_e32 v5, v23, v23
	v_div_scale_f32 v16, null, v5, v5, 1.0
	v_div_scale_f32 v19, vcc_lo, 1.0, v5, 1.0
	s_delay_alu instid0(VALU_DEP_2) | instskip(SKIP_1) | instid1(TRANS32_DEP_1)
	v_rcp_f32_e32 v17, v16
	v_nop
	v_fma_f32 v18, -v16, v17, 1.0
	s_delay_alu instid0(VALU_DEP_1) | instskip(NEXT) | instid1(VALU_DEP_1)
	v_fmac_f32_e32 v17, v18, v17
	v_mul_f32_e32 v18, v19, v17
	s_delay_alu instid0(VALU_DEP_1) | instskip(NEXT) | instid1(VALU_DEP_1)
	v_fma_f32 v20, -v16, v18, v19
	v_fmac_f32_e32 v18, v20, v17
	s_delay_alu instid0(VALU_DEP_1) | instskip(NEXT) | instid1(VALU_DEP_1)
	v_fma_f32 v16, -v16, v18, v19
	v_div_fmas_f32 v16, v16, v17, v18
	v_dual_fma_f32 v17, 0, v22, v23 :: v_dual_mov_b32 v18, v8
	s_delay_alu instid0(VALU_DEP_2) | instskip(SKIP_1) | instid1(VALU_DEP_1)
	v_div_fixup_f32 v5, v16, v5, 1.0
	v_fma_f32 v16, v23, 0, -v22
	v_dual_mul_f32 v19, v17, v5 :: v_dual_mul_f32 v20, v16, v5
	s_delay_alu instid0(VALU_DEP_1)
	v_dual_mov_b32 v17, v15 :: v_dual_mov_b32 v16, v19
.LBB110_36:                             ;   in Loop: Header=BB110_20 Depth=1
	s_mov_b32 s33, 0
.LBB110_37:                             ;   in Loop: Header=BB110_20 Depth=1
	s_mov_b32 s34, 4
	s_branch .LBB110_26
.LBB110_38:                             ;   in Loop: Header=BB110_20 Depth=1
	s_cmp_eq_u32 s5, 0
	s_cbranch_scc1 .LBB110_40
; %bb.39:                               ;   in Loop: Header=BB110_20 Depth=1
	s_mov_b32 s33, -1
	s_branch .LBB110_42
.LBB110_40:                             ;   in Loop: Header=BB110_20 Depth=1
	v_cmp_le_i64_e64 s33, s[30:31], s[20:21]
	s_and_b32 vcc_lo, exec_lo, s33
	s_mov_b32 s33, 0
	s_cbranch_vccz .LBB110_42
; %bb.41:                               ;   in Loop: Header=BB110_20 Depth=1
	s_mov_b32 s7, -1
	s_mov_b32 s33, s17
.LBB110_42:                             ;   in Loop: Header=BB110_20 Depth=1
	v_mov_b64_e32 v[16:17], v[14:15]
	v_mov_b64_e32 v[18:19], v[8:9]
	v_mov_b32_e32 v20, v7
	s_mov_b32 s34, 2
	s_and_b32 vcc_lo, exec_lo, s33
	s_cbranch_vccz .LBB110_27
.LBB110_43:                             ;   in Loop: Header=BB110_20 Depth=1
	s_and_saveexec_b32 s7, s3
	s_cbranch_execz .LBB110_45
; %bb.44:                               ;   in Loop: Header=BB110_20 Depth=1
	s_lshl_b64 s[34:35], s[30:31], 2
	s_delay_alu instid0(SALU_CYCLE_1)
	s_add_nc_u64 s[34:35], s[24:25], s[34:35]
	global_load_b32 v5, v4, s[34:35] scope:SCOPE_DEV
	s_wait_loadcnt 0x0
	v_cmp_ne_u32_e32 vcc_lo, 0, v5
	s_cbranch_vccz .LBB110_54
.LBB110_45:                             ;   in Loop: Header=BB110_20 Depth=1
	s_wait_xcnt 0x0
	s_or_b32 exec_lo, exec_lo, s7
	v_dual_mov_b32 v5, v9 :: v_dual_mov_b32 v16, v9
	v_mov_b32_e32 v17, v4
	s_wait_storecnt 0x0
	s_barrier_signal -1
	s_delay_alu instid0(VALU_DEP_2)
	v_mov_b64_e32 v[18:19], v[4:5]
	s_barrier_wait -1
	global_inv scope:SCOPE_DEV
	s_and_saveexec_b32 s7, s2
	s_cbranch_execz .LBB110_47
; %bb.46:                               ;   in Loop: Header=BB110_20 Depth=1
	s_mul_u64 s[30:31], s[30:31], s[10:11]
	s_delay_alu instid0(SALU_CYCLE_1) | instskip(SKIP_4) | instid1(VALU_DEP_2)
	v_lshl_add_u64 v[16:17], s[30:31], 3, v[2:3]
	global_load_b64 v[24:25], v[16:17], off
	s_wait_loadcnt 0x0
	v_dual_mov_b32 v16, v9 :: v_dual_fma_f32 v17, -v23, v24, v15
	v_dual_fma_f32 v5, -v22, v24, v8 :: v_dual_mov_b32 v19, v9
	v_fmac_f32_e32 v17, v22, v25
	s_delay_alu instid0(VALU_DEP_2)
	v_fma_f32 v18, -v23, v25, v5
.LBB110_47:                             ;   in Loop: Header=BB110_20 Depth=1
	s_or_b32 exec_lo, exec_lo, s7
	v_mov_b32_e32 v20, v7
	s_mov_b32 s34, 0
	s_branch .LBB110_28
.LBB110_48:                             ;   in Loop: Header=BB110_20 Depth=1
	s_and_not1_b32 vcc_lo, exec_lo, s4
	s_cbranch_vccnz .LBB110_50
; %bb.49:                               ;   in Loop: Header=BB110_20 Depth=1
	v_mul_f32_e32 v5, v22, v22
	s_delay_alu instid0(VALU_DEP_1) | instskip(NEXT) | instid1(VALU_DEP_1)
	v_fmac_f32_e32 v5, v23, v23
	v_div_scale_f32 v7, null, v5, v5, 1.0
	v_div_scale_f32 v16, vcc_lo, 1.0, v5, 1.0
	s_delay_alu instid0(VALU_DEP_2) | instskip(SKIP_1) | instid1(TRANS32_DEP_1)
	v_rcp_f32_e32 v9, v7
	v_nop
	v_fma_f32 v14, -v7, v9, 1.0
	s_delay_alu instid0(VALU_DEP_1) | instskip(NEXT) | instid1(VALU_DEP_1)
	v_fmac_f32_e32 v9, v14, v9
	v_mul_f32_e32 v14, v16, v9
	s_delay_alu instid0(VALU_DEP_1) | instskip(NEXT) | instid1(VALU_DEP_1)
	v_fma_f32 v17, -v7, v14, v16
	v_fmac_f32_e32 v14, v17, v9
	s_delay_alu instid0(VALU_DEP_1) | instskip(NEXT) | instid1(VALU_DEP_1)
	v_fma_f32 v7, -v7, v14, v16
	v_div_fmas_f32 v7, v7, v9, v14
	v_fma_f32 v14, v23, 0, -v22
	s_delay_alu instid0(VALU_DEP_2) | instskip(SKIP_1) | instid1(VALU_DEP_1)
	v_div_fixup_f32 v5, v7, v5, 1.0
	v_fma_f32 v7, 0, v22, v23
	v_dual_mul_f32 v9, v7, v5 :: v_dual_mul_f32 v7, v14, v5
	s_delay_alu instid0(VALU_DEP_1)
	v_mov_b32_e32 v14, v9
.LBB110_50:                             ;   in Loop: Header=BB110_20 Depth=1
	v_mov_b64_e32 v[18:19], v[8:9]
	s_delay_alu instid0(VALU_DEP_2) | instskip(NEXT) | instid1(VALU_DEP_4)
	v_mov_b64_e32 v[16:17], v[14:15]
	v_mov_b32_e32 v20, v7
	s_mov_b32 s34, 2
	s_mov_b32 s7, -1
	s_cmp_gt_i32 s34, 3
	s_mov_b32 s17, -1
	s_cbranch_scc1 .LBB110_29
.LBB110_51:                             ;   in Loop: Header=BB110_20 Depth=1
	s_cmp_eq_u32 s34, 0
	s_cselect_b32 s17, -1, 0
	s_delay_alu instid0(SALU_CYCLE_1)
	s_and_not1_b32 vcc_lo, exec_lo, s17
	s_cbranch_vccnz .LBB110_30
.LBB110_52:                             ;   in Loop: Header=BB110_20 Depth=1
	s_add_nc_u64 s[28:29], s[28:29], 1
	s_delay_alu instid0(SALU_CYCLE_1)
	v_cmp_ge_i64_e64 s7, s[28:29], s[18:19]
	s_and_not1_b32 vcc_lo, exec_lo, s7
	s_cbranch_vccz .LBB110_59
.LBB110_53:                             ;   in Loop: Header=BB110_20 Depth=1
	v_mov_b32_e32 v7, v20
	v_mov_b64_e32 v[8:9], v[18:19]
	v_mov_b64_e32 v[14:15], v[16:17]
	s_sub_co_i32 s7, s28, s16
	s_delay_alu instid0(SALU_CYCLE_1) | instskip(NEXT) | instid1(SALU_CYCLE_1)
	s_and_b32 s7, s7, 0x1ff
	s_cmp_lg_u32 s7, 0
	s_cbranch_scc1 .LBB110_20
	s_branch .LBB110_17
.LBB110_54:                             ;   in Loop: Header=BB110_20 Depth=1
	s_mov_b32 s17, 0
	s_branch .LBB110_56
.LBB110_55:                             ;   in Loop: Header=BB110_56 Depth=2
	global_load_b32 v5, v4, s[34:35] scope:SCOPE_DEV
	s_cmp_lt_u32 s17, 0xf43
	s_cselect_b32 s33, -1, 0
	s_delay_alu instid0(SALU_CYCLE_1)
	s_cmp_lg_u32 s33, 0
	s_add_co_ci_u32 s17, s17, 0
	s_wait_loadcnt 0x0
	v_cmp_ne_u32_e32 vcc_lo, 0, v5
	s_cbranch_vccnz .LBB110_45
.LBB110_56:                             ;   Parent Loop BB110_20 Depth=1
                                        ; =>  This Loop Header: Depth=2
                                        ;       Child Loop BB110_57 Depth 3
	s_cmp_eq_u32 s17, 0
	s_mov_b32 s33, s17
	s_cbranch_scc1 .LBB110_55
.LBB110_57:                             ;   Parent Loop BB110_20 Depth=1
                                        ;     Parent Loop BB110_56 Depth=2
                                        ; =>    This Inner Loop Header: Depth=3
	s_add_co_i32 s33, s33, -1
	s_sleep 1
	s_cmp_eq_u32 s33, 0
	s_cbranch_scc0 .LBB110_57
	s_branch .LBB110_55
.LBB110_58:
	v_mov_b64_e32 v[16:17], v[14:15]
	v_mov_b64_e32 v[18:19], v[8:9]
	s_and_saveexec_b32 s0, s2
	s_cbranch_execnz .LBB110_60
	s_branch .LBB110_61
.LBB110_59:
	v_dual_mov_b32 v4, v18 :: v_dual_mov_b32 v5, v17
	s_and_saveexec_b32 s0, s2
	s_cbranch_execz .LBB110_61
.LBB110_60:
	s_delay_alu instid0(VALU_DEP_1) | instskip(NEXT) | instid1(VALU_DEP_3)
	v_xor_b32_e32 v7, 0x80000000, v18
	v_mov_b32_e32 v6, v17
	s_cmp_eq_u32 s6, 0
	v_lshl_add_u64 v[2:3], s[22:23], 3, v[2:3]
	s_cselect_b32 vcc_lo, -1, 0
	s_delay_alu instid0(VALU_DEP_2) | instskip(NEXT) | instid1(VALU_DEP_1)
	v_pk_mul_f32 v[6:7], v[20:21], v[6:7] op_sel_hi:[0,1]
	v_pk_fma_f32 v[6:7], v[18:19], v[16:17], v[6:7]
	s_delay_alu instid0(VALU_DEP_1)
	v_dual_cndmask_b32 v9, v4, v6 :: v_dual_cndmask_b32 v8, v5, v7
	global_store_b64 v[2:3], v[8:9], off
.LBB110_61:
	s_wait_xcnt 0x0
	s_or_b32 exec_lo, exec_lo, s0
	global_wb scope:SCOPE_DEV
	s_wait_loadcnt 0x0
	s_wait_storecnt 0x0
	global_inv scope:SCOPE_DEV
	s_wait_loadcnt 0x0
	s_barrier_signal -1
	s_barrier_wait -1
	s_mov_b32 s0, exec_lo
	v_cmpx_eq_u32_e32 0, v0
	s_cbranch_execz .LBB110_63
; %bb.62:
	s_lshl_b64 s[0:1], s[20:21], 2
	v_dual_mov_b32 v0, 0 :: v_dual_mov_b32 v1, 1
	s_add_nc_u64 s[0:1], s[14:15], s[0:1]
	s_lshl_b64 s[2:3], s[12:13], 2
	s_delay_alu instid0(SALU_CYCLE_1)
	s_add_nc_u64 s[0:1], s[0:1], s[2:3]
	global_store_b32 v0, v1, s[0:1] scope:SCOPE_DEV
.LBB110_63:
	s_endpgm
.LBB110_64:
                                        ; implicit-def: $sgpr22_sgpr23
	s_clause 0x1
	s_load_b64 s[10:11], s[0:1], 0x50
	s_load_b64 s[16:17], s[0:1], 0x20
	s_branch .LBB110_6
	.section	.rodata,"a",@progbits
	.p2align	6, 0x0
	.amdhsa_kernel _ZN9rocsparseL5csrsmILj512ELj64ELb1Ell21rocsparse_complex_numIfEEEv20rocsparse_operation_T3_S4_NS_24const_host_device_scalarIT4_EEPKT2_PKS4_PKS6_PS6_lPiSC_PS4_21rocsparse_index_base_20rocsparse_fill_mode_20rocsparse_diag_type_b
		.amdhsa_group_segment_fixed_size 8192
		.amdhsa_private_segment_fixed_size 0
		.amdhsa_kernarg_size 112
		.amdhsa_user_sgpr_count 2
		.amdhsa_user_sgpr_dispatch_ptr 0
		.amdhsa_user_sgpr_queue_ptr 0
		.amdhsa_user_sgpr_kernarg_segment_ptr 1
		.amdhsa_user_sgpr_dispatch_id 0
		.amdhsa_user_sgpr_kernarg_preload_length 0
		.amdhsa_user_sgpr_kernarg_preload_offset 0
		.amdhsa_user_sgpr_private_segment_size 0
		.amdhsa_wavefront_size32 1
		.amdhsa_uses_dynamic_stack 0
		.amdhsa_enable_private_segment 0
		.amdhsa_system_sgpr_workgroup_id_x 1
		.amdhsa_system_sgpr_workgroup_id_y 0
		.amdhsa_system_sgpr_workgroup_id_z 0
		.amdhsa_system_sgpr_workgroup_info 0
		.amdhsa_system_vgpr_workitem_id 0
		.amdhsa_next_free_vgpr 26
		.amdhsa_next_free_sgpr 37
		.amdhsa_named_barrier_count 0
		.amdhsa_reserve_vcc 1
		.amdhsa_float_round_mode_32 0
		.amdhsa_float_round_mode_16_64 0
		.amdhsa_float_denorm_mode_32 3
		.amdhsa_float_denorm_mode_16_64 3
		.amdhsa_fp16_overflow 0
		.amdhsa_memory_ordered 1
		.amdhsa_forward_progress 1
		.amdhsa_inst_pref_size 22
		.amdhsa_round_robin_scheduling 0
		.amdhsa_exception_fp_ieee_invalid_op 0
		.amdhsa_exception_fp_denorm_src 0
		.amdhsa_exception_fp_ieee_div_zero 0
		.amdhsa_exception_fp_ieee_overflow 0
		.amdhsa_exception_fp_ieee_underflow 0
		.amdhsa_exception_fp_ieee_inexact 0
		.amdhsa_exception_int_div_zero 0
	.end_amdhsa_kernel
	.section	.text._ZN9rocsparseL5csrsmILj512ELj64ELb1Ell21rocsparse_complex_numIfEEEv20rocsparse_operation_T3_S4_NS_24const_host_device_scalarIT4_EEPKT2_PKS4_PKS6_PS6_lPiSC_PS4_21rocsparse_index_base_20rocsparse_fill_mode_20rocsparse_diag_type_b,"axG",@progbits,_ZN9rocsparseL5csrsmILj512ELj64ELb1Ell21rocsparse_complex_numIfEEEv20rocsparse_operation_T3_S4_NS_24const_host_device_scalarIT4_EEPKT2_PKS4_PKS6_PS6_lPiSC_PS4_21rocsparse_index_base_20rocsparse_fill_mode_20rocsparse_diag_type_b,comdat
.Lfunc_end110:
	.size	_ZN9rocsparseL5csrsmILj512ELj64ELb1Ell21rocsparse_complex_numIfEEEv20rocsparse_operation_T3_S4_NS_24const_host_device_scalarIT4_EEPKT2_PKS4_PKS6_PS6_lPiSC_PS4_21rocsparse_index_base_20rocsparse_fill_mode_20rocsparse_diag_type_b, .Lfunc_end110-_ZN9rocsparseL5csrsmILj512ELj64ELb1Ell21rocsparse_complex_numIfEEEv20rocsparse_operation_T3_S4_NS_24const_host_device_scalarIT4_EEPKT2_PKS4_PKS6_PS6_lPiSC_PS4_21rocsparse_index_base_20rocsparse_fill_mode_20rocsparse_diag_type_b
                                        ; -- End function
	.set _ZN9rocsparseL5csrsmILj512ELj64ELb1Ell21rocsparse_complex_numIfEEEv20rocsparse_operation_T3_S4_NS_24const_host_device_scalarIT4_EEPKT2_PKS4_PKS6_PS6_lPiSC_PS4_21rocsparse_index_base_20rocsparse_fill_mode_20rocsparse_diag_type_b.num_vgpr, 26
	.set _ZN9rocsparseL5csrsmILj512ELj64ELb1Ell21rocsparse_complex_numIfEEEv20rocsparse_operation_T3_S4_NS_24const_host_device_scalarIT4_EEPKT2_PKS4_PKS6_PS6_lPiSC_PS4_21rocsparse_index_base_20rocsparse_fill_mode_20rocsparse_diag_type_b.num_agpr, 0
	.set _ZN9rocsparseL5csrsmILj512ELj64ELb1Ell21rocsparse_complex_numIfEEEv20rocsparse_operation_T3_S4_NS_24const_host_device_scalarIT4_EEPKT2_PKS4_PKS6_PS6_lPiSC_PS4_21rocsparse_index_base_20rocsparse_fill_mode_20rocsparse_diag_type_b.numbered_sgpr, 37
	.set _ZN9rocsparseL5csrsmILj512ELj64ELb1Ell21rocsparse_complex_numIfEEEv20rocsparse_operation_T3_S4_NS_24const_host_device_scalarIT4_EEPKT2_PKS4_PKS6_PS6_lPiSC_PS4_21rocsparse_index_base_20rocsparse_fill_mode_20rocsparse_diag_type_b.num_named_barrier, 0
	.set _ZN9rocsparseL5csrsmILj512ELj64ELb1Ell21rocsparse_complex_numIfEEEv20rocsparse_operation_T3_S4_NS_24const_host_device_scalarIT4_EEPKT2_PKS4_PKS6_PS6_lPiSC_PS4_21rocsparse_index_base_20rocsparse_fill_mode_20rocsparse_diag_type_b.private_seg_size, 0
	.set _ZN9rocsparseL5csrsmILj512ELj64ELb1Ell21rocsparse_complex_numIfEEEv20rocsparse_operation_T3_S4_NS_24const_host_device_scalarIT4_EEPKT2_PKS4_PKS6_PS6_lPiSC_PS4_21rocsparse_index_base_20rocsparse_fill_mode_20rocsparse_diag_type_b.uses_vcc, 1
	.set _ZN9rocsparseL5csrsmILj512ELj64ELb1Ell21rocsparse_complex_numIfEEEv20rocsparse_operation_T3_S4_NS_24const_host_device_scalarIT4_EEPKT2_PKS4_PKS6_PS6_lPiSC_PS4_21rocsparse_index_base_20rocsparse_fill_mode_20rocsparse_diag_type_b.uses_flat_scratch, 0
	.set _ZN9rocsparseL5csrsmILj512ELj64ELb1Ell21rocsparse_complex_numIfEEEv20rocsparse_operation_T3_S4_NS_24const_host_device_scalarIT4_EEPKT2_PKS4_PKS6_PS6_lPiSC_PS4_21rocsparse_index_base_20rocsparse_fill_mode_20rocsparse_diag_type_b.has_dyn_sized_stack, 0
	.set _ZN9rocsparseL5csrsmILj512ELj64ELb1Ell21rocsparse_complex_numIfEEEv20rocsparse_operation_T3_S4_NS_24const_host_device_scalarIT4_EEPKT2_PKS4_PKS6_PS6_lPiSC_PS4_21rocsparse_index_base_20rocsparse_fill_mode_20rocsparse_diag_type_b.has_recursion, 0
	.set _ZN9rocsparseL5csrsmILj512ELj64ELb1Ell21rocsparse_complex_numIfEEEv20rocsparse_operation_T3_S4_NS_24const_host_device_scalarIT4_EEPKT2_PKS4_PKS6_PS6_lPiSC_PS4_21rocsparse_index_base_20rocsparse_fill_mode_20rocsparse_diag_type_b.has_indirect_call, 0
	.section	.AMDGPU.csdata,"",@progbits
; Kernel info:
; codeLenInByte = 2788
; TotalNumSgprs: 39
; NumVgprs: 26
; ScratchSize: 0
; MemoryBound: 0
; FloatMode: 240
; IeeeMode: 1
; LDSByteSize: 8192 bytes/workgroup (compile time only)
; SGPRBlocks: 0
; VGPRBlocks: 1
; NumSGPRsForWavesPerEU: 39
; NumVGPRsForWavesPerEU: 26
; NamedBarCnt: 0
; Occupancy: 16
; WaveLimiterHint : 1
; COMPUTE_PGM_RSRC2:SCRATCH_EN: 0
; COMPUTE_PGM_RSRC2:USER_SGPR: 2
; COMPUTE_PGM_RSRC2:TRAP_HANDLER: 0
; COMPUTE_PGM_RSRC2:TGID_X_EN: 1
; COMPUTE_PGM_RSRC2:TGID_Y_EN: 0
; COMPUTE_PGM_RSRC2:TGID_Z_EN: 0
; COMPUTE_PGM_RSRC2:TIDIG_COMP_CNT: 0
	.section	.text._ZN9rocsparseL5csrsmILj512ELj64ELb0Ell21rocsparse_complex_numIfEEEv20rocsparse_operation_T3_S4_NS_24const_host_device_scalarIT4_EEPKT2_PKS4_PKS6_PS6_lPiSC_PS4_21rocsparse_index_base_20rocsparse_fill_mode_20rocsparse_diag_type_b,"axG",@progbits,_ZN9rocsparseL5csrsmILj512ELj64ELb0Ell21rocsparse_complex_numIfEEEv20rocsparse_operation_T3_S4_NS_24const_host_device_scalarIT4_EEPKT2_PKS4_PKS6_PS6_lPiSC_PS4_21rocsparse_index_base_20rocsparse_fill_mode_20rocsparse_diag_type_b,comdat
	.globl	_ZN9rocsparseL5csrsmILj512ELj64ELb0Ell21rocsparse_complex_numIfEEEv20rocsparse_operation_T3_S4_NS_24const_host_device_scalarIT4_EEPKT2_PKS4_PKS6_PS6_lPiSC_PS4_21rocsparse_index_base_20rocsparse_fill_mode_20rocsparse_diag_type_b ; -- Begin function _ZN9rocsparseL5csrsmILj512ELj64ELb0Ell21rocsparse_complex_numIfEEEv20rocsparse_operation_T3_S4_NS_24const_host_device_scalarIT4_EEPKT2_PKS4_PKS6_PS6_lPiSC_PS4_21rocsparse_index_base_20rocsparse_fill_mode_20rocsparse_diag_type_b
	.p2align	8
	.type	_ZN9rocsparseL5csrsmILj512ELj64ELb0Ell21rocsparse_complex_numIfEEEv20rocsparse_operation_T3_S4_NS_24const_host_device_scalarIT4_EEPKT2_PKS4_PKS6_PS6_lPiSC_PS4_21rocsparse_index_base_20rocsparse_fill_mode_20rocsparse_diag_type_b,@function
_ZN9rocsparseL5csrsmILj512ELj64ELb0Ell21rocsparse_complex_numIfEEEv20rocsparse_operation_T3_S4_NS_24const_host_device_scalarIT4_EEPKT2_PKS4_PKS6_PS6_lPiSC_PS4_21rocsparse_index_base_20rocsparse_fill_mode_20rocsparse_diag_type_b: ; @_ZN9rocsparseL5csrsmILj512ELj64ELb0Ell21rocsparse_complex_numIfEEEv20rocsparse_operation_T3_S4_NS_24const_host_device_scalarIT4_EEPKT2_PKS4_PKS6_PS6_lPiSC_PS4_21rocsparse_index_base_20rocsparse_fill_mode_20rocsparse_diag_type_b
; %bb.0:
	s_clause 0x2
	s_load_b128 s[4:7], s[0:1], 0x60
	s_load_b64 s[2:3], s[0:1], 0x18
	s_load_b128 s[12:15], s[0:1], 0x8
	s_wait_kmcnt 0x0
	s_bitcmp1_b32 s7, 0
	s_mov_b32 s25, s2
	s_cselect_b32 s8, -1, 0
	s_delay_alu instid0(SALU_CYCLE_1)
	s_xor_b32 s7, s8, -1
	s_and_b32 vcc_lo, exec_lo, s8
	s_cbranch_vccnz .LBB111_2
; %bb.1:
	s_load_b32 s25, s[2:3], 0x0
.LBB111_2:
	s_and_not1_b32 vcc_lo, exec_lo, s7
	s_cbranch_vccnz .LBB111_4
; %bb.3:
	s_wait_xcnt 0x0
	s_load_b32 s3, s[2:3], 0x4
.LBB111_4:
	s_wait_xcnt 0x0
	s_bfe_u32 s2, ttmp6, 0x4000c
	s_and_b32 s7, ttmp6, 15
	s_add_co_i32 s2, s2, 1
	s_getreg_b32 s8, hwreg(HW_REG_IB_STS2, 6, 4)
	s_mul_i32 s2, ttmp9, s2
	s_mov_b32 s9, 0
	s_add_co_i32 s7, s7, s2
	s_cmp_eq_u32 s8, 0
	s_cselect_b32 s8, ttmp9, s7
	s_and_b64 s[10:11], s[12:13], 0xffffffff00000000
	s_delay_alu instid0(SALU_CYCLE_1)
	s_cmp_lg_u64 s[10:11], 0
	s_cbranch_scc0 .LBB111_61
; %bb.5:
	s_ashr_i32 s10, s13, 31
	s_mov_b32 s23, s9
	s_mov_b32 s11, s10
	;; [unrolled: 1-line block ×3, first 2 shown]
	s_add_nc_u64 s[16:17], s[12:13], s[10:11]
	s_delay_alu instid0(SALU_CYCLE_1) | instskip(NEXT) | instid1(SALU_CYCLE_1)
	s_xor_b64 s[16:17], s[16:17], s[10:11]
	s_cvt_f32_u32 s2, s16
	s_cvt_f32_u32 s7, s17
	s_sub_nc_u64 s[20:21], 0, s[16:17]
	s_delay_alu instid0(SALU_CYCLE_2) | instskip(NEXT) | instid1(SALU_CYCLE_3)
	s_fmamk_f32 s2, s7, 0x4f800000, s2
	v_s_rcp_f32 s2, s2
	s_delay_alu instid0(TRANS32_DEP_1) | instskip(NEXT) | instid1(SALU_CYCLE_3)
	s_mul_f32 s2, s2, 0x5f7ffffc
	s_mul_f32 s7, s2, 0x2f800000
	s_delay_alu instid0(SALU_CYCLE_3) | instskip(NEXT) | instid1(SALU_CYCLE_3)
	s_trunc_f32 s7, s7
	s_fmamk_f32 s2, s7, 0xcf800000, s2
	s_cvt_u32_f32 s19, s7
	s_delay_alu instid0(SALU_CYCLE_2) | instskip(NEXT) | instid1(SALU_CYCLE_3)
	s_cvt_u32_f32 s18, s2
	s_mul_u64 s[26:27], s[20:21], s[18:19]
	s_delay_alu instid0(SALU_CYCLE_1)
	s_mul_hi_u32 s31, s18, s27
	s_mul_i32 s30, s18, s27
	s_mul_hi_u32 s22, s18, s26
	s_mul_i32 s7, s19, s26
	s_add_nc_u64 s[22:23], s[22:23], s[30:31]
	s_mul_hi_u32 s2, s19, s26
	s_mul_hi_u32 s24, s19, s27
	s_add_co_u32 s7, s22, s7
	s_add_co_ci_u32 s28, s23, s2
	s_mul_i32 s26, s19, s27
	s_add_co_ci_u32 s27, s24, 0
	s_delay_alu instid0(SALU_CYCLE_1) | instskip(SKIP_3) | instid1(SALU_CYCLE_1)
	s_add_nc_u64 s[22:23], s[28:29], s[26:27]
	s_mov_b32 s27, s9
	s_add_co_u32 s18, s18, s22
	s_cselect_b32 s2, -1, 0
	s_cmp_lg_u32 s2, 0
	s_add_co_ci_u32 s19, s19, s23
	s_mov_b32 s23, s9
	s_mul_u64 s[20:21], s[20:21], s[18:19]
	s_delay_alu instid0(SALU_CYCLE_1)
	s_mul_hi_u32 s29, s18, s21
	s_mul_i32 s28, s18, s21
	s_mul_hi_u32 s22, s18, s20
	s_mul_i32 s7, s19, s20
	s_add_nc_u64 s[22:23], s[22:23], s[28:29]
	s_mul_hi_u32 s2, s19, s20
	s_mul_hi_u32 s24, s19, s21
	s_add_co_u32 s7, s22, s7
	s_add_co_ci_u32 s26, s23, s2
	s_mul_i32 s20, s19, s21
	s_add_co_ci_u32 s21, s24, 0
	s_add_nc_u64 s[22:23], s[8:9], 0
	s_add_nc_u64 s[20:21], s[26:27], s[20:21]
	s_delay_alu instid0(SALU_CYCLE_1) | instskip(SKIP_1) | instid1(SALU_CYCLE_1)
	s_add_co_u32 s2, s18, s20
	s_cselect_b32 s7, -1, 0
	s_cmp_lg_u32 s7, 0
	s_add_co_ci_u32 s7, s19, s21
	s_xor_b64 s[18:19], s[22:23], 0
	s_mov_b32 s21, s9
	s_mul_hi_u32 s23, s18, s7
	s_mul_i32 s22, s18, s7
	s_mul_hi_u32 s26, s18, s2
	s_mul_hi_u32 s20, s19, s2
	s_mul_i32 s2, s19, s2
	s_add_nc_u64 s[22:23], s[26:27], s[22:23]
	s_mul_hi_u32 s24, s19, s7
	s_add_co_u32 s2, s22, s2
	s_add_co_ci_u32 s20, s23, s20
	s_mul_i32 s26, s19, s7
	s_add_co_ci_u32 s27, s24, 0
	s_delay_alu instid0(SALU_CYCLE_1) | instskip(NEXT) | instid1(SALU_CYCLE_1)
	s_add_nc_u64 s[20:21], s[20:21], s[26:27]
	s_and_b64 s[22:23], s[20:21], 0xffffffff00000000
	s_delay_alu instid0(SALU_CYCLE_1) | instskip(NEXT) | instid1(SALU_CYCLE_1)
	s_or_b32 s22, s22, s20
	s_mul_u64 s[20:21], s[16:17], s[22:23]
	s_add_nc_u64 s[26:27], s[22:23], 1
	s_sub_co_u32 s2, s18, s20
	s_cselect_b32 s7, -1, 0
	s_sub_co_i32 s18, s19, s21
	s_cmp_lg_u32 s7, 0
	s_add_nc_u64 s[28:29], s[22:23], 2
	s_sub_co_ci_u32 s18, s18, s17
	s_sub_co_u32 s20, s2, s16
	s_cselect_b32 s24, -1, 0
	s_delay_alu instid0(SALU_CYCLE_1) | instskip(SKIP_1) | instid1(SALU_CYCLE_1)
	s_cmp_lg_u32 s24, 0
	s_sub_co_ci_u32 s18, s18, 0
	s_cmp_ge_u32 s18, s17
	s_cselect_b32 s24, -1, 0
	s_cmp_ge_u32 s20, s16
	s_cselect_b32 s20, -1, 0
	s_cmp_eq_u32 s18, s17
	s_cselect_b32 s18, s20, s24
	s_delay_alu instid0(SALU_CYCLE_1) | instskip(SKIP_4) | instid1(SALU_CYCLE_1)
	s_cmp_lg_u32 s18, 0
	s_cselect_b32 s18, s28, s26
	s_cselect_b32 s20, s29, s27
	s_cmp_lg_u32 s7, 0
	s_sub_co_ci_u32 s7, s19, s21
	s_cmp_ge_u32 s7, s17
	s_cselect_b32 s19, -1, 0
	s_cmp_ge_u32 s2, s16
	s_cselect_b32 s2, -1, 0
	s_cmp_eq_u32 s7, s17
	s_cselect_b32 s2, s2, s19
	s_delay_alu instid0(SALU_CYCLE_1) | instskip(SKIP_4) | instid1(SALU_CYCLE_1)
	s_cmp_lg_u32 s2, 0
	s_mov_b32 s2, s9
	s_cselect_b32 s17, s20, s23
	s_cselect_b32 s16, s18, s22
	s_xor_b64 s[10:11], 0, s[10:11]
	s_xor_b64 s[16:17], s[16:17], s[10:11]
	s_delay_alu instid0(SALU_CYCLE_1)
	s_sub_nc_u64 s[22:23], s[16:17], s[10:11]
	s_clause 0x1
	s_load_b64 s[10:11], s[0:1], 0x50
	s_load_b64 s[16:17], s[0:1], 0x20
	s_and_not1_b32 vcc_lo, exec_lo, s2
	s_cbranch_vccnz .LBB111_7
.LBB111_6:
	v_cvt_f32_u32_e32 v1, s12
	s_sub_co_i32 s7, 0, s12
	s_mov_b32 s23, 0
	s_delay_alu instid0(VALU_DEP_1) | instskip(SKIP_1) | instid1(TRANS32_DEP_1)
	v_rcp_iflag_f32_e32 v1, v1
	v_nop
	v_mul_f32_e32 v1, 0x4f7ffffe, v1
	s_delay_alu instid0(VALU_DEP_1) | instskip(NEXT) | instid1(VALU_DEP_1)
	v_cvt_u32_f32_e32 v1, v1
	v_readfirstlane_b32 s2, v1
	s_mul_i32 s7, s7, s2
	s_delay_alu instid0(SALU_CYCLE_1) | instskip(NEXT) | instid1(SALU_CYCLE_1)
	s_mul_hi_u32 s7, s2, s7
	s_add_co_i32 s2, s2, s7
	s_delay_alu instid0(SALU_CYCLE_1) | instskip(NEXT) | instid1(SALU_CYCLE_1)
	s_mul_hi_u32 s2, s8, s2
	s_mul_i32 s7, s2, s12
	s_add_co_i32 s18, s2, 1
	s_sub_co_i32 s7, s8, s7
	s_delay_alu instid0(SALU_CYCLE_1)
	s_sub_co_i32 s19, s7, s12
	s_cmp_ge_u32 s7, s12
	s_cselect_b32 s2, s18, s2
	s_cselect_b32 s7, s19, s7
	s_add_co_i32 s18, s2, 1
	s_cmp_ge_u32 s7, s12
	s_cselect_b32 s22, s18, s2
.LBB111_7:
	s_delay_alu instid0(SALU_CYCLE_1)
	s_mul_u64 s[12:13], s[22:23], s[12:13]
	s_load_b32 s7, s[0:1], 0x0
	s_sub_nc_u64 s[8:9], s[8:9], s[12:13]
	s_lshl_b64 s[22:23], s[22:23], 9
	s_lshl_b64 s[8:9], s[8:9], 3
	v_dual_mov_b32 v3, s23 :: v_dual_bitop2_b32 v2, s22, v0 bitop3:0x54
	s_wait_kmcnt 0x0
	s_add_nc_u64 s[18:19], s[10:11], s[8:9]
	s_load_b64 s[20:21], s[18:19], 0x0
	s_load_b128 s[8:11], s[0:1], 0x38
	v_mov_b32_e32 v1, 0
	v_cmp_gt_i64_e64 s2, s[14:15], v[2:3]
	s_wait_kmcnt 0x0
	s_lshl_b64 s[18:19], s[20:21], 3
	s_mul_u64 s[22:23], s[20:21], s[10:11]
	s_add_nc_u64 s[26:27], s[16:17], s[18:19]
	v_add_nc_u64_e32 v[6:7], s[22:23], v[2:3]
	s_load_b128 s[16:19], s[26:27], 0x0
	s_cmp_lg_u32 s7, 0x71
	s_cbranch_scc0 .LBB111_11
; %bb.8:
	v_mov_b64_e32 v[4:5], 0
	s_and_saveexec_b32 s7, s2
	s_cbranch_execz .LBB111_10
; %bb.9:
	v_lshl_add_u64 v[4:5], v[6:7], 3, s[8:9]
	s_xor_b32 s14, s3, 0x80000000
	s_delay_alu instid0(SALU_CYCLE_1) | instskip(SKIP_4) | instid1(VALU_DEP_1)
	v_dual_mov_b32 v9, s25 :: v_dual_mov_b32 v11, s14
	v_dual_mov_b32 v10, s25 :: v_dual_mov_b32 v8, s3
	global_load_b64 v[4:5], v[4:5], off
	s_wait_loadcnt 0x0
	v_pk_mul_f32 v[10:11], v[4:5], v[10:11] op_sel:[1,0]
	v_pk_fma_f32 v[4:5], v[8:9], v[4:5], v[10:11] op_sel_hi:[1,0,1]
.LBB111_10:
	s_or_b32 exec_lo, exec_lo, s7
	s_cbranch_execz .LBB111_12
	s_branch .LBB111_15
.LBB111_11:
                                        ; implicit-def: $vgpr4_vgpr5
.LBB111_12:
	v_mov_b64_e32 v[4:5], 0
	s_and_saveexec_b32 s7, s2
	s_cbranch_execz .LBB111_14
; %bb.13:
	v_lshl_add_u64 v[4:5], v[6:7], 3, s[8:9]
	s_mov_b32 s24, s3
	s_delay_alu instid0(SALU_CYCLE_1) | instskip(SKIP_3) | instid1(VALU_DEP_1)
	v_mov_b64_e32 v[6:7], s[24:25]
	global_load_b64 v[4:5], v[4:5], off
	s_wait_loadcnt 0x0
	v_pk_mul_f32 v[8:9], v[4:5], v[6:7] op_sel:[1,0] neg_hi:[1,0]
	v_pk_fma_f32 v[4:5], v[6:7], v[4:5], v[8:9] op_sel:[0,0,1] op_sel_hi:[1,0,0]
.LBB111_14:
	s_or_b32 exec_lo, exec_lo, s7
.LBB111_15:
	s_load_b64 s[14:15], s[0:1], 0x48
	s_wait_kmcnt 0x0
	v_cmp_ge_i64_e64 s3, s[16:17], s[18:19]
	v_dual_mov_b32 v9, 1.0 :: v_dual_mov_b32 v8, v4
	v_lshl_add_u64 v[2:3], v[2:3], 3, s[8:9]
	v_dual_mov_b32 v15, v5 :: v_dual_mov_b32 v20, 0
	s_delay_alu instid0(VALU_DEP_3)
	v_mov_b32_e32 v14, v9
	s_and_b32 vcc_lo, exec_lo, s3
	v_cmp_eq_u32_e64 s3, 0, v0
	s_cbranch_vccnz .LBB111_55
; %bb.16:
	s_clause 0x1
	s_load_b128 s[28:31], s[0:1], 0x28
	s_load_b64 s[8:9], s[0:1], 0x58
	v_dual_mov_b32 v4, 0 :: v_dual_lshlrev_b32 v6, 3, v0
	s_wait_xcnt 0x0
	s_mov_b32 s1, 0
	s_mov_b32 s0, s4
	s_lshl_b64 s[24:25], s[12:13], 2
	v_mov_b32_e32 v7, v4
	v_or_b32_e32 v21, 0x1000, v6
	s_cmp_eq_u32 s6, 0
	s_sub_nc_u64 s[16:17], s[16:17], s[0:1]
	s_add_nc_u64 s[24:25], s[14:15], s[24:25]
	s_cselect_b32 s4, -1, 0
	s_sub_nc_u64 s[18:19], s[18:19], s[0:1]
	s_add_nc_u64 s[26:27], s[20:21], s[0:1]
	s_wait_kmcnt 0x0
	v_add_nc_u64_e32 v[10:11], s[28:29], v[6:7]
	v_add_nc_u64_e32 v[12:13], s[30:31], v[6:7]
	v_mov_b32_e32 v7, 0
	s_mov_b64 s[28:29], s[16:17]
	s_delay_alu instid0(SALU_CYCLE_1) | instskip(NEXT) | instid1(SALU_CYCLE_1)
	s_sub_co_i32 s7, s28, s16
	s_and_b32 s7, s7, 0x1ff
	s_delay_alu instid0(SALU_CYCLE_1)
	s_cmp_lg_u32 s7, 0
	s_cbranch_scc1 .LBB111_20
.LBB111_17:
	v_mov_b64_e32 v[18:19], -1
	v_dual_mov_b32 v17, 0 :: v_dual_mov_b32 v16, -1.0
	s_sub_nc_u64 s[30:31], s[18:19], s[28:29]
	s_mov_b32 s17, exec_lo
	v_cmpx_gt_i64_e64 s[30:31], v[0:1]
	s_cbranch_execz .LBB111_19
; %bb.18:
	s_lshl_b64 s[30:31], s[28:29], 3
	s_delay_alu instid0(SALU_CYCLE_1)
	v_add_nc_u64_e32 v[16:17], s[30:31], v[10:11]
	global_load_b64 v[18:19], v[16:17], off
	s_wait_xcnt 0x0
	v_add_nc_u64_e32 v[16:17], s[30:31], v[12:13]
	global_load_b64 v[16:17], v[16:17], off
	s_wait_loadcnt 0x1
	v_sub_nc_u64_e64 v[18:19], v[18:19], s[0:1]
.LBB111_19:
	s_wait_xcnt 0x0
	s_or_b32 exec_lo, exec_lo, s17
	ds_store_b64 v6, v[18:19]
	s_wait_loadcnt 0x0
	ds_store_b64 v21, v[16:17]
.LBB111_20:                             ; =>This Loop Header: Depth=1
                                        ;     Child Loop BB111_45 Depth 2
	s_lshl_b32 s7, s7, 3
	s_wait_dscnt 0x0
	v_mov_b32_e32 v5, s7
	s_barrier_signal -1
	s_barrier_wait -1
	ds_load_2addr_stride64_b64 v[16:19], v5 offset1:8
	s_wait_dscnt 0x0
	v_readfirstlane_b32 s7, v18
	v_readfirstlane_b32 s33, v19
	;; [unrolled: 1-line block ×4, first 2 shown]
	s_cmp_eq_f32 s7, 0
	s_cselect_b32 s17, -1, 0
	s_cmp_eq_f32 s33, 0
	s_cselect_b32 s34, -1, 0
	s_delay_alu instid0(SALU_CYCLE_1)
	s_and_b32 s35, s17, s34
	s_cmp_eq_u64 s[30:31], s[20:21]
	s_cselect_b32 s34, -1, 0
	s_cmp_lg_u64 s[30:31], s[20:21]
	s_cselect_b32 s17, -1, 0
	s_and_b32 s35, s35, s34
	s_delay_alu instid0(SALU_CYCLE_1) | instskip(NEXT) | instid1(SALU_CYCLE_1)
	s_and_b32 s35, s4, s35
	s_and_b32 s36, s3, s35
	s_and_b32 s35, s35, exec_lo
	s_cselect_b32 s33, 0, s33
	s_cselect_b32 s7, 1.0, s7
	s_delay_alu instid0(SALU_CYCLE_1)
	v_dual_mov_b32 v22, s33 :: v_dual_mov_b32 v23, s7
	s_and_saveexec_b32 s7, s36
	s_cbranch_execz .LBB111_24
; %bb.21:                               ;   in Loop: Header=BB111_20 Depth=1
	v_mbcnt_lo_u32_b32 v5, exec_lo, 0
	s_mov_b32 s33, exec_lo
	s_delay_alu instid0(VALU_DEP_1)
	v_cmpx_eq_u32_e32 0, v5
	s_cbranch_execz .LBB111_23
; %bb.22:                               ;   in Loop: Header=BB111_20 Depth=1
	v_mov_b64_e32 v[16:17], s[26:27]
	global_atomic_min_u64 v4, v[16:17], s[8:9] scope:SCOPE_DEV
.LBB111_23:                             ;   in Loop: Header=BB111_20 Depth=1
	s_wait_xcnt 0x0
	s_or_b32 exec_lo, exec_lo, s33
	v_dual_mov_b32 v23, 1.0 :: v_dual_mov_b32 v22, 0
.LBB111_24:                             ;   in Loop: Header=BB111_20 Depth=1
	s_or_b32 exec_lo, exec_lo, s7
	s_mov_b32 s35, -1
	s_mov_b32 s7, 0
	s_cmp_lt_i32 s5, 1
	s_mov_b32 s33, 0
                                        ; implicit-def: $vgpr16_vgpr17
                                        ; implicit-def: $vgpr18_vgpr19
                                        ; implicit-def: $vgpr20
	s_cbranch_scc0 .LBB111_31
; %bb.25:                               ;   in Loop: Header=BB111_20 Depth=1
	s_and_b32 vcc_lo, exec_lo, s35
	s_mov_b32 s34, 4
	s_cbranch_vccnz .LBB111_38
.LBB111_26:                             ;   in Loop: Header=BB111_20 Depth=1
	s_and_b32 vcc_lo, exec_lo, s33
	s_cbranch_vccnz .LBB111_43
.LBB111_27:                             ;   in Loop: Header=BB111_20 Depth=1
	s_and_b32 vcc_lo, exec_lo, s7
	s_cbranch_vccnz .LBB111_49
.LBB111_28:                             ;   in Loop: Header=BB111_20 Depth=1
	s_mov_b32 s7, -1
	s_cmp_gt_i32 s34, 3
	s_mov_b32 s17, -1
	s_cbranch_scc0 .LBB111_52
.LBB111_29:                             ;   in Loop: Header=BB111_20 Depth=1
	s_and_not1_b32 vcc_lo, exec_lo, s17
	s_cbranch_vccz .LBB111_53
.LBB111_30:                             ;   in Loop: Header=BB111_20 Depth=1
	s_and_not1_b32 vcc_lo, exec_lo, s7
	s_cbranch_vccnz .LBB111_54
	s_branch .LBB111_56
.LBB111_31:                             ;   in Loop: Header=BB111_20 Depth=1
	s_cmp_eq_u32 s5, 1
	s_mov_b32 s33, -1
                                        ; implicit-def: $vgpr16_vgpr17
                                        ; implicit-def: $vgpr18_vgpr19
                                        ; implicit-def: $vgpr20
	s_cbranch_scc0 .LBB111_37
; %bb.32:                               ;   in Loop: Header=BB111_20 Depth=1
	v_cmp_ge_i64_e64 s33, s[30:31], s[20:21]
	v_mov_b64_e32 v[16:17], v[14:15]
	v_mov_b64_e32 v[18:19], v[8:9]
	v_mov_b32_e32 v20, v7
	s_and_b32 vcc_lo, exec_lo, s33
	s_mov_b32 s33, 0
	s_cbranch_vccz .LBB111_37
; %bb.33:                               ;   in Loop: Header=BB111_20 Depth=1
	s_and_b32 vcc_lo, exec_lo, s34
	s_mov_b32 s33, -1
                                        ; implicit-def: $vgpr16_vgpr17
                                        ; implicit-def: $vgpr18_vgpr19
                                        ; implicit-def: $vgpr20
	s_cbranch_vccz .LBB111_37
; %bb.34:                               ;   in Loop: Header=BB111_20 Depth=1
	v_mov_b64_e32 v[16:17], v[14:15]
	v_mov_b64_e32 v[18:19], v[8:9]
	v_mov_b32_e32 v20, v7
	s_and_not1_b32 vcc_lo, exec_lo, s4
	s_cbranch_vccnz .LBB111_36
; %bb.35:                               ;   in Loop: Header=BB111_20 Depth=1
	v_mul_f32_e32 v5, v22, v22
	s_delay_alu instid0(VALU_DEP_1) | instskip(NEXT) | instid1(VALU_DEP_1)
	v_fmac_f32_e32 v5, v23, v23
	v_div_scale_f32 v16, null, v5, v5, 1.0
	v_div_scale_f32 v19, vcc_lo, 1.0, v5, 1.0
	s_delay_alu instid0(VALU_DEP_2) | instskip(SKIP_1) | instid1(TRANS32_DEP_1)
	v_rcp_f32_e32 v17, v16
	v_nop
	v_fma_f32 v18, -v16, v17, 1.0
	s_delay_alu instid0(VALU_DEP_1) | instskip(NEXT) | instid1(VALU_DEP_1)
	v_fmac_f32_e32 v17, v18, v17
	v_mul_f32_e32 v18, v19, v17
	s_delay_alu instid0(VALU_DEP_1) | instskip(NEXT) | instid1(VALU_DEP_1)
	v_fma_f32 v20, -v16, v18, v19
	v_fmac_f32_e32 v18, v20, v17
	s_delay_alu instid0(VALU_DEP_1) | instskip(NEXT) | instid1(VALU_DEP_1)
	v_fma_f32 v16, -v16, v18, v19
	v_div_fmas_f32 v16, v16, v17, v18
	v_dual_fma_f32 v17, 0, v22, v23 :: v_dual_mov_b32 v18, v8
	s_delay_alu instid0(VALU_DEP_2) | instskip(SKIP_1) | instid1(VALU_DEP_1)
	v_div_fixup_f32 v5, v16, v5, 1.0
	v_fma_f32 v16, v23, 0, -v22
	v_dual_mul_f32 v19, v17, v5 :: v_dual_mul_f32 v20, v16, v5
	s_delay_alu instid0(VALU_DEP_1)
	v_dual_mov_b32 v17, v15 :: v_dual_mov_b32 v16, v19
.LBB111_36:                             ;   in Loop: Header=BB111_20 Depth=1
	s_mov_b32 s33, 0
.LBB111_37:                             ;   in Loop: Header=BB111_20 Depth=1
	s_mov_b32 s34, 4
	s_branch .LBB111_26
.LBB111_38:                             ;   in Loop: Header=BB111_20 Depth=1
	s_cmp_eq_u32 s5, 0
	s_cbranch_scc1 .LBB111_40
; %bb.39:                               ;   in Loop: Header=BB111_20 Depth=1
	s_mov_b32 s33, -1
	s_branch .LBB111_42
.LBB111_40:                             ;   in Loop: Header=BB111_20 Depth=1
	v_cmp_le_i64_e64 s33, s[30:31], s[20:21]
	s_and_b32 vcc_lo, exec_lo, s33
	s_mov_b32 s33, 0
	s_cbranch_vccz .LBB111_42
; %bb.41:                               ;   in Loop: Header=BB111_20 Depth=1
	s_mov_b32 s7, -1
	s_mov_b32 s33, s17
.LBB111_42:                             ;   in Loop: Header=BB111_20 Depth=1
	v_mov_b64_e32 v[16:17], v[14:15]
	v_mov_b64_e32 v[18:19], v[8:9]
	v_mov_b32_e32 v20, v7
	s_mov_b32 s34, 2
	s_and_b32 vcc_lo, exec_lo, s33
	s_cbranch_vccz .LBB111_27
.LBB111_43:                             ;   in Loop: Header=BB111_20 Depth=1
	s_and_saveexec_b32 s7, s3
	s_cbranch_execz .LBB111_46
; %bb.44:                               ;   in Loop: Header=BB111_20 Depth=1
	s_lshl_b64 s[34:35], s[30:31], 2
	s_delay_alu instid0(SALU_CYCLE_1)
	s_add_nc_u64 s[34:35], s[24:25], s[34:35]
	global_load_b32 v5, v4, s[34:35] scope:SCOPE_DEV
	s_wait_loadcnt 0x0
	v_cmp_ne_u32_e32 vcc_lo, 0, v5
	s_cbranch_vccnz .LBB111_46
.LBB111_45:                             ;   Parent Loop BB111_20 Depth=1
                                        ; =>  This Inner Loop Header: Depth=2
	global_load_b32 v5, v4, s[34:35] scope:SCOPE_DEV
	s_wait_loadcnt 0x0
	v_cmp_eq_u32_e32 vcc_lo, 0, v5
	s_cbranch_vccnz .LBB111_45
.LBB111_46:                             ;   in Loop: Header=BB111_20 Depth=1
	s_wait_xcnt 0x0
	s_or_b32 exec_lo, exec_lo, s7
	v_dual_mov_b32 v5, v9 :: v_dual_mov_b32 v16, v9
	v_mov_b32_e32 v17, v4
	s_wait_storecnt 0x0
	s_barrier_signal -1
	s_delay_alu instid0(VALU_DEP_2)
	v_mov_b64_e32 v[18:19], v[4:5]
	s_barrier_wait -1
	global_inv scope:SCOPE_DEV
	s_and_saveexec_b32 s7, s2
	s_cbranch_execz .LBB111_48
; %bb.47:                               ;   in Loop: Header=BB111_20 Depth=1
	s_mul_u64 s[30:31], s[30:31], s[10:11]
	s_delay_alu instid0(SALU_CYCLE_1) | instskip(SKIP_4) | instid1(VALU_DEP_2)
	v_lshl_add_u64 v[16:17], s[30:31], 3, v[2:3]
	global_load_b64 v[24:25], v[16:17], off
	s_wait_loadcnt 0x0
	v_dual_mov_b32 v16, v9 :: v_dual_fma_f32 v17, -v23, v24, v15
	v_dual_fma_f32 v5, -v22, v24, v8 :: v_dual_mov_b32 v19, v9
	v_fmac_f32_e32 v17, v22, v25
	s_delay_alu instid0(VALU_DEP_2)
	v_fma_f32 v18, -v23, v25, v5
.LBB111_48:                             ;   in Loop: Header=BB111_20 Depth=1
	s_or_b32 exec_lo, exec_lo, s7
	v_mov_b32_e32 v20, v7
	s_mov_b32 s34, 0
	s_branch .LBB111_28
.LBB111_49:                             ;   in Loop: Header=BB111_20 Depth=1
	s_and_not1_b32 vcc_lo, exec_lo, s4
	s_cbranch_vccnz .LBB111_51
; %bb.50:                               ;   in Loop: Header=BB111_20 Depth=1
	v_mul_f32_e32 v5, v22, v22
	s_delay_alu instid0(VALU_DEP_1) | instskip(NEXT) | instid1(VALU_DEP_1)
	v_fmac_f32_e32 v5, v23, v23
	v_div_scale_f32 v7, null, v5, v5, 1.0
	v_div_scale_f32 v16, vcc_lo, 1.0, v5, 1.0
	s_delay_alu instid0(VALU_DEP_2) | instskip(SKIP_1) | instid1(TRANS32_DEP_1)
	v_rcp_f32_e32 v9, v7
	v_nop
	v_fma_f32 v14, -v7, v9, 1.0
	s_delay_alu instid0(VALU_DEP_1) | instskip(NEXT) | instid1(VALU_DEP_1)
	v_fmac_f32_e32 v9, v14, v9
	v_mul_f32_e32 v14, v16, v9
	s_delay_alu instid0(VALU_DEP_1) | instskip(NEXT) | instid1(VALU_DEP_1)
	v_fma_f32 v17, -v7, v14, v16
	v_fmac_f32_e32 v14, v17, v9
	s_delay_alu instid0(VALU_DEP_1) | instskip(NEXT) | instid1(VALU_DEP_1)
	v_fma_f32 v7, -v7, v14, v16
	v_div_fmas_f32 v7, v7, v9, v14
	v_fma_f32 v14, v23, 0, -v22
	s_delay_alu instid0(VALU_DEP_2) | instskip(SKIP_1) | instid1(VALU_DEP_1)
	v_div_fixup_f32 v5, v7, v5, 1.0
	v_fma_f32 v7, 0, v22, v23
	v_dual_mul_f32 v9, v7, v5 :: v_dual_mul_f32 v7, v14, v5
	s_delay_alu instid0(VALU_DEP_1)
	v_mov_b32_e32 v14, v9
.LBB111_51:                             ;   in Loop: Header=BB111_20 Depth=1
	v_mov_b64_e32 v[18:19], v[8:9]
	s_delay_alu instid0(VALU_DEP_2) | instskip(NEXT) | instid1(VALU_DEP_4)
	v_mov_b64_e32 v[16:17], v[14:15]
	v_mov_b32_e32 v20, v7
	s_mov_b32 s34, 2
	s_mov_b32 s7, -1
	s_cmp_gt_i32 s34, 3
	s_mov_b32 s17, -1
	s_cbranch_scc1 .LBB111_29
.LBB111_52:                             ;   in Loop: Header=BB111_20 Depth=1
	s_cmp_eq_u32 s34, 0
	s_cselect_b32 s17, -1, 0
	s_delay_alu instid0(SALU_CYCLE_1)
	s_and_not1_b32 vcc_lo, exec_lo, s17
	s_cbranch_vccnz .LBB111_30
.LBB111_53:                             ;   in Loop: Header=BB111_20 Depth=1
	s_add_nc_u64 s[28:29], s[28:29], 1
	s_delay_alu instid0(SALU_CYCLE_1)
	v_cmp_ge_i64_e64 s7, s[28:29], s[18:19]
	s_and_not1_b32 vcc_lo, exec_lo, s7
	s_cbranch_vccz .LBB111_56
.LBB111_54:                             ;   in Loop: Header=BB111_20 Depth=1
	v_mov_b32_e32 v7, v20
	v_mov_b64_e32 v[8:9], v[18:19]
	v_mov_b64_e32 v[14:15], v[16:17]
	s_sub_co_i32 s7, s28, s16
	s_delay_alu instid0(SALU_CYCLE_1) | instskip(NEXT) | instid1(SALU_CYCLE_1)
	s_and_b32 s7, s7, 0x1ff
	s_cmp_lg_u32 s7, 0
	s_cbranch_scc1 .LBB111_20
	s_branch .LBB111_17
.LBB111_55:
	v_mov_b64_e32 v[16:17], v[14:15]
	v_mov_b64_e32 v[18:19], v[8:9]
	s_and_saveexec_b32 s0, s2
	s_cbranch_execnz .LBB111_57
	s_branch .LBB111_58
.LBB111_56:
	v_dual_mov_b32 v4, v18 :: v_dual_mov_b32 v5, v17
	s_and_saveexec_b32 s0, s2
	s_cbranch_execz .LBB111_58
.LBB111_57:
	s_delay_alu instid0(VALU_DEP_1) | instskip(NEXT) | instid1(VALU_DEP_3)
	v_xor_b32_e32 v7, 0x80000000, v18
	v_mov_b32_e32 v6, v17
	s_cmp_eq_u32 s6, 0
	v_lshl_add_u64 v[2:3], s[22:23], 3, v[2:3]
	s_cselect_b32 vcc_lo, -1, 0
	s_delay_alu instid0(VALU_DEP_2) | instskip(NEXT) | instid1(VALU_DEP_1)
	v_pk_mul_f32 v[6:7], v[20:21], v[6:7] op_sel_hi:[0,1]
	v_pk_fma_f32 v[6:7], v[18:19], v[16:17], v[6:7]
	s_delay_alu instid0(VALU_DEP_1)
	v_dual_cndmask_b32 v9, v4, v6 :: v_dual_cndmask_b32 v8, v5, v7
	global_store_b64 v[2:3], v[8:9], off
.LBB111_58:
	s_wait_xcnt 0x0
	s_or_b32 exec_lo, exec_lo, s0
	global_wb scope:SCOPE_DEV
	s_wait_loadcnt 0x0
	s_wait_storecnt 0x0
	global_inv scope:SCOPE_DEV
	s_wait_loadcnt 0x0
	s_barrier_signal -1
	s_barrier_wait -1
	s_mov_b32 s0, exec_lo
	v_cmpx_eq_u32_e32 0, v0
	s_cbranch_execz .LBB111_60
; %bb.59:
	s_lshl_b64 s[0:1], s[20:21], 2
	v_dual_mov_b32 v0, 0 :: v_dual_mov_b32 v1, 1
	s_add_nc_u64 s[0:1], s[14:15], s[0:1]
	s_lshl_b64 s[2:3], s[12:13], 2
	s_delay_alu instid0(SALU_CYCLE_1)
	s_add_nc_u64 s[0:1], s[0:1], s[2:3]
	global_store_b32 v0, v1, s[0:1] scope:SCOPE_DEV
.LBB111_60:
	s_endpgm
.LBB111_61:
                                        ; implicit-def: $sgpr22_sgpr23
	s_clause 0x1
	s_load_b64 s[10:11], s[0:1], 0x50
	s_load_b64 s[16:17], s[0:1], 0x20
	s_branch .LBB111_6
	.section	.rodata,"a",@progbits
	.p2align	6, 0x0
	.amdhsa_kernel _ZN9rocsparseL5csrsmILj512ELj64ELb0Ell21rocsparse_complex_numIfEEEv20rocsparse_operation_T3_S4_NS_24const_host_device_scalarIT4_EEPKT2_PKS4_PKS6_PS6_lPiSC_PS4_21rocsparse_index_base_20rocsparse_fill_mode_20rocsparse_diag_type_b
		.amdhsa_group_segment_fixed_size 8192
		.amdhsa_private_segment_fixed_size 0
		.amdhsa_kernarg_size 112
		.amdhsa_user_sgpr_count 2
		.amdhsa_user_sgpr_dispatch_ptr 0
		.amdhsa_user_sgpr_queue_ptr 0
		.amdhsa_user_sgpr_kernarg_segment_ptr 1
		.amdhsa_user_sgpr_dispatch_id 0
		.amdhsa_user_sgpr_kernarg_preload_length 0
		.amdhsa_user_sgpr_kernarg_preload_offset 0
		.amdhsa_user_sgpr_private_segment_size 0
		.amdhsa_wavefront_size32 1
		.amdhsa_uses_dynamic_stack 0
		.amdhsa_enable_private_segment 0
		.amdhsa_system_sgpr_workgroup_id_x 1
		.amdhsa_system_sgpr_workgroup_id_y 0
		.amdhsa_system_sgpr_workgroup_id_z 0
		.amdhsa_system_sgpr_workgroup_info 0
		.amdhsa_system_vgpr_workitem_id 0
		.amdhsa_next_free_vgpr 26
		.amdhsa_next_free_sgpr 37
		.amdhsa_named_barrier_count 0
		.amdhsa_reserve_vcc 1
		.amdhsa_float_round_mode_32 0
		.amdhsa_float_round_mode_16_64 0
		.amdhsa_float_denorm_mode_32 3
		.amdhsa_float_denorm_mode_16_64 3
		.amdhsa_fp16_overflow 0
		.amdhsa_memory_ordered 1
		.amdhsa_forward_progress 1
		.amdhsa_inst_pref_size 22
		.amdhsa_round_robin_scheduling 0
		.amdhsa_exception_fp_ieee_invalid_op 0
		.amdhsa_exception_fp_denorm_src 0
		.amdhsa_exception_fp_ieee_div_zero 0
		.amdhsa_exception_fp_ieee_overflow 0
		.amdhsa_exception_fp_ieee_underflow 0
		.amdhsa_exception_fp_ieee_inexact 0
		.amdhsa_exception_int_div_zero 0
	.end_amdhsa_kernel
	.section	.text._ZN9rocsparseL5csrsmILj512ELj64ELb0Ell21rocsparse_complex_numIfEEEv20rocsparse_operation_T3_S4_NS_24const_host_device_scalarIT4_EEPKT2_PKS4_PKS6_PS6_lPiSC_PS4_21rocsparse_index_base_20rocsparse_fill_mode_20rocsparse_diag_type_b,"axG",@progbits,_ZN9rocsparseL5csrsmILj512ELj64ELb0Ell21rocsparse_complex_numIfEEEv20rocsparse_operation_T3_S4_NS_24const_host_device_scalarIT4_EEPKT2_PKS4_PKS6_PS6_lPiSC_PS4_21rocsparse_index_base_20rocsparse_fill_mode_20rocsparse_diag_type_b,comdat
.Lfunc_end111:
	.size	_ZN9rocsparseL5csrsmILj512ELj64ELb0Ell21rocsparse_complex_numIfEEEv20rocsparse_operation_T3_S4_NS_24const_host_device_scalarIT4_EEPKT2_PKS4_PKS6_PS6_lPiSC_PS4_21rocsparse_index_base_20rocsparse_fill_mode_20rocsparse_diag_type_b, .Lfunc_end111-_ZN9rocsparseL5csrsmILj512ELj64ELb0Ell21rocsparse_complex_numIfEEEv20rocsparse_operation_T3_S4_NS_24const_host_device_scalarIT4_EEPKT2_PKS4_PKS6_PS6_lPiSC_PS4_21rocsparse_index_base_20rocsparse_fill_mode_20rocsparse_diag_type_b
                                        ; -- End function
	.set _ZN9rocsparseL5csrsmILj512ELj64ELb0Ell21rocsparse_complex_numIfEEEv20rocsparse_operation_T3_S4_NS_24const_host_device_scalarIT4_EEPKT2_PKS4_PKS6_PS6_lPiSC_PS4_21rocsparse_index_base_20rocsparse_fill_mode_20rocsparse_diag_type_b.num_vgpr, 26
	.set _ZN9rocsparseL5csrsmILj512ELj64ELb0Ell21rocsparse_complex_numIfEEEv20rocsparse_operation_T3_S4_NS_24const_host_device_scalarIT4_EEPKT2_PKS4_PKS6_PS6_lPiSC_PS4_21rocsparse_index_base_20rocsparse_fill_mode_20rocsparse_diag_type_b.num_agpr, 0
	.set _ZN9rocsparseL5csrsmILj512ELj64ELb0Ell21rocsparse_complex_numIfEEEv20rocsparse_operation_T3_S4_NS_24const_host_device_scalarIT4_EEPKT2_PKS4_PKS6_PS6_lPiSC_PS4_21rocsparse_index_base_20rocsparse_fill_mode_20rocsparse_diag_type_b.numbered_sgpr, 37
	.set _ZN9rocsparseL5csrsmILj512ELj64ELb0Ell21rocsparse_complex_numIfEEEv20rocsparse_operation_T3_S4_NS_24const_host_device_scalarIT4_EEPKT2_PKS4_PKS6_PS6_lPiSC_PS4_21rocsparse_index_base_20rocsparse_fill_mode_20rocsparse_diag_type_b.num_named_barrier, 0
	.set _ZN9rocsparseL5csrsmILj512ELj64ELb0Ell21rocsparse_complex_numIfEEEv20rocsparse_operation_T3_S4_NS_24const_host_device_scalarIT4_EEPKT2_PKS4_PKS6_PS6_lPiSC_PS4_21rocsparse_index_base_20rocsparse_fill_mode_20rocsparse_diag_type_b.private_seg_size, 0
	.set _ZN9rocsparseL5csrsmILj512ELj64ELb0Ell21rocsparse_complex_numIfEEEv20rocsparse_operation_T3_S4_NS_24const_host_device_scalarIT4_EEPKT2_PKS4_PKS6_PS6_lPiSC_PS4_21rocsparse_index_base_20rocsparse_fill_mode_20rocsparse_diag_type_b.uses_vcc, 1
	.set _ZN9rocsparseL5csrsmILj512ELj64ELb0Ell21rocsparse_complex_numIfEEEv20rocsparse_operation_T3_S4_NS_24const_host_device_scalarIT4_EEPKT2_PKS4_PKS6_PS6_lPiSC_PS4_21rocsparse_index_base_20rocsparse_fill_mode_20rocsparse_diag_type_b.uses_flat_scratch, 0
	.set _ZN9rocsparseL5csrsmILj512ELj64ELb0Ell21rocsparse_complex_numIfEEEv20rocsparse_operation_T3_S4_NS_24const_host_device_scalarIT4_EEPKT2_PKS4_PKS6_PS6_lPiSC_PS4_21rocsparse_index_base_20rocsparse_fill_mode_20rocsparse_diag_type_b.has_dyn_sized_stack, 0
	.set _ZN9rocsparseL5csrsmILj512ELj64ELb0Ell21rocsparse_complex_numIfEEEv20rocsparse_operation_T3_S4_NS_24const_host_device_scalarIT4_EEPKT2_PKS4_PKS6_PS6_lPiSC_PS4_21rocsparse_index_base_20rocsparse_fill_mode_20rocsparse_diag_type_b.has_recursion, 0
	.set _ZN9rocsparseL5csrsmILj512ELj64ELb0Ell21rocsparse_complex_numIfEEEv20rocsparse_operation_T3_S4_NS_24const_host_device_scalarIT4_EEPKT2_PKS4_PKS6_PS6_lPiSC_PS4_21rocsparse_index_base_20rocsparse_fill_mode_20rocsparse_diag_type_b.has_indirect_call, 0
	.section	.AMDGPU.csdata,"",@progbits
; Kernel info:
; codeLenInByte = 2724
; TotalNumSgprs: 39
; NumVgprs: 26
; ScratchSize: 0
; MemoryBound: 0
; FloatMode: 240
; IeeeMode: 1
; LDSByteSize: 8192 bytes/workgroup (compile time only)
; SGPRBlocks: 0
; VGPRBlocks: 1
; NumSGPRsForWavesPerEU: 39
; NumVGPRsForWavesPerEU: 26
; NamedBarCnt: 0
; Occupancy: 16
; WaveLimiterHint : 1
; COMPUTE_PGM_RSRC2:SCRATCH_EN: 0
; COMPUTE_PGM_RSRC2:USER_SGPR: 2
; COMPUTE_PGM_RSRC2:TRAP_HANDLER: 0
; COMPUTE_PGM_RSRC2:TGID_X_EN: 1
; COMPUTE_PGM_RSRC2:TGID_Y_EN: 0
; COMPUTE_PGM_RSRC2:TGID_Z_EN: 0
; COMPUTE_PGM_RSRC2:TIDIG_COMP_CNT: 0
	.section	.text._ZN9rocsparseL5csrsmILj1024ELj64ELb1Ell21rocsparse_complex_numIfEEEv20rocsparse_operation_T3_S4_NS_24const_host_device_scalarIT4_EEPKT2_PKS4_PKS6_PS6_lPiSC_PS4_21rocsparse_index_base_20rocsparse_fill_mode_20rocsparse_diag_type_b,"axG",@progbits,_ZN9rocsparseL5csrsmILj1024ELj64ELb1Ell21rocsparse_complex_numIfEEEv20rocsparse_operation_T3_S4_NS_24const_host_device_scalarIT4_EEPKT2_PKS4_PKS6_PS6_lPiSC_PS4_21rocsparse_index_base_20rocsparse_fill_mode_20rocsparse_diag_type_b,comdat
	.globl	_ZN9rocsparseL5csrsmILj1024ELj64ELb1Ell21rocsparse_complex_numIfEEEv20rocsparse_operation_T3_S4_NS_24const_host_device_scalarIT4_EEPKT2_PKS4_PKS6_PS6_lPiSC_PS4_21rocsparse_index_base_20rocsparse_fill_mode_20rocsparse_diag_type_b ; -- Begin function _ZN9rocsparseL5csrsmILj1024ELj64ELb1Ell21rocsparse_complex_numIfEEEv20rocsparse_operation_T3_S4_NS_24const_host_device_scalarIT4_EEPKT2_PKS4_PKS6_PS6_lPiSC_PS4_21rocsparse_index_base_20rocsparse_fill_mode_20rocsparse_diag_type_b
	.p2align	8
	.type	_ZN9rocsparseL5csrsmILj1024ELj64ELb1Ell21rocsparse_complex_numIfEEEv20rocsparse_operation_T3_S4_NS_24const_host_device_scalarIT4_EEPKT2_PKS4_PKS6_PS6_lPiSC_PS4_21rocsparse_index_base_20rocsparse_fill_mode_20rocsparse_diag_type_b,@function
_ZN9rocsparseL5csrsmILj1024ELj64ELb1Ell21rocsparse_complex_numIfEEEv20rocsparse_operation_T3_S4_NS_24const_host_device_scalarIT4_EEPKT2_PKS4_PKS6_PS6_lPiSC_PS4_21rocsparse_index_base_20rocsparse_fill_mode_20rocsparse_diag_type_b: ; @_ZN9rocsparseL5csrsmILj1024ELj64ELb1Ell21rocsparse_complex_numIfEEEv20rocsparse_operation_T3_S4_NS_24const_host_device_scalarIT4_EEPKT2_PKS4_PKS6_PS6_lPiSC_PS4_21rocsparse_index_base_20rocsparse_fill_mode_20rocsparse_diag_type_b
; %bb.0:
	s_clause 0x2
	s_load_b128 s[4:7], s[0:1], 0x60
	s_load_b64 s[2:3], s[0:1], 0x18
	s_load_b128 s[12:15], s[0:1], 0x8
	s_wait_kmcnt 0x0
	s_bitcmp1_b32 s7, 0
	s_mov_b32 s23, s2
	s_cselect_b32 s8, -1, 0
	s_delay_alu instid0(SALU_CYCLE_1)
	s_xor_b32 s7, s8, -1
	s_and_b32 vcc_lo, exec_lo, s8
	s_cbranch_vccnz .LBB112_2
; %bb.1:
	s_load_b32 s23, s[2:3], 0x0
.LBB112_2:
	s_and_not1_b32 vcc_lo, exec_lo, s7
	s_cbranch_vccnz .LBB112_4
; %bb.3:
	s_wait_xcnt 0x0
	s_load_b32 s3, s[2:3], 0x4
.LBB112_4:
	s_wait_xcnt 0x0
	s_bfe_u32 s2, ttmp6, 0x4000c
	s_and_b32 s7, ttmp6, 15
	s_add_co_i32 s2, s2, 1
	s_getreg_b32 s8, hwreg(HW_REG_IB_STS2, 6, 4)
	s_mul_i32 s2, ttmp9, s2
	s_mov_b32 s9, 0
	s_add_co_i32 s7, s7, s2
	s_cmp_eq_u32 s8, 0
	s_cselect_b32 s8, ttmp9, s7
	s_and_b64 s[10:11], s[12:13], 0xffffffff00000000
	s_delay_alu instid0(SALU_CYCLE_1)
	s_cmp_lg_u64 s[10:11], 0
	s_cbranch_scc0 .LBB112_64
; %bb.5:
	s_ashr_i32 s10, s13, 31
	s_mov_b32 s25, s9
	s_mov_b32 s11, s10
	s_mov_b32 s29, s9
	s_add_nc_u64 s[16:17], s[12:13], s[10:11]
	s_delay_alu instid0(SALU_CYCLE_1) | instskip(NEXT) | instid1(SALU_CYCLE_1)
	s_xor_b64 s[16:17], s[16:17], s[10:11]
	s_cvt_f32_u32 s2, s16
	s_cvt_f32_u32 s7, s17
	s_sub_nc_u64 s[20:21], 0, s[16:17]
	s_delay_alu instid0(SALU_CYCLE_2) | instskip(NEXT) | instid1(SALU_CYCLE_3)
	s_fmamk_f32 s2, s7, 0x4f800000, s2
	v_s_rcp_f32 s2, s2
	s_delay_alu instid0(TRANS32_DEP_1) | instskip(NEXT) | instid1(SALU_CYCLE_3)
	s_mul_f32 s2, s2, 0x5f7ffffc
	s_mul_f32 s7, s2, 0x2f800000
	s_delay_alu instid0(SALU_CYCLE_3) | instskip(NEXT) | instid1(SALU_CYCLE_3)
	s_trunc_f32 s7, s7
	s_fmamk_f32 s2, s7, 0xcf800000, s2
	s_cvt_u32_f32 s19, s7
	s_delay_alu instid0(SALU_CYCLE_2) | instskip(NEXT) | instid1(SALU_CYCLE_3)
	s_cvt_u32_f32 s18, s2
	s_mul_u64 s[26:27], s[20:21], s[18:19]
	s_delay_alu instid0(SALU_CYCLE_1)
	s_mul_hi_u32 s31, s18, s27
	s_mul_i32 s30, s18, s27
	s_mul_hi_u32 s24, s18, s26
	s_mul_i32 s7, s19, s26
	s_add_nc_u64 s[24:25], s[24:25], s[30:31]
	s_mul_hi_u32 s2, s19, s26
	s_mul_hi_u32 s22, s19, s27
	s_add_co_u32 s7, s24, s7
	s_add_co_ci_u32 s28, s25, s2
	s_mul_i32 s26, s19, s27
	s_add_co_ci_u32 s27, s22, 0
	s_delay_alu instid0(SALU_CYCLE_1) | instskip(SKIP_3) | instid1(SALU_CYCLE_1)
	s_add_nc_u64 s[24:25], s[28:29], s[26:27]
	s_mov_b32 s27, s9
	s_add_co_u32 s18, s18, s24
	s_cselect_b32 s2, -1, 0
	s_cmp_lg_u32 s2, 0
	s_add_co_ci_u32 s19, s19, s25
	s_mov_b32 s25, s9
	s_mul_u64 s[20:21], s[20:21], s[18:19]
	s_delay_alu instid0(SALU_CYCLE_1)
	s_mul_hi_u32 s29, s18, s21
	s_mul_i32 s28, s18, s21
	s_mul_hi_u32 s24, s18, s20
	s_mul_i32 s7, s19, s20
	s_add_nc_u64 s[24:25], s[24:25], s[28:29]
	s_mul_hi_u32 s2, s19, s20
	s_mul_hi_u32 s22, s19, s21
	s_add_co_u32 s7, s24, s7
	s_add_co_ci_u32 s26, s25, s2
	s_mul_i32 s20, s19, s21
	s_add_co_ci_u32 s21, s22, 0
	s_add_nc_u64 s[24:25], s[8:9], 0
	s_add_nc_u64 s[20:21], s[26:27], s[20:21]
	s_delay_alu instid0(SALU_CYCLE_1) | instskip(SKIP_1) | instid1(SALU_CYCLE_1)
	s_add_co_u32 s2, s18, s20
	s_cselect_b32 s7, -1, 0
	s_cmp_lg_u32 s7, 0
	s_add_co_ci_u32 s7, s19, s21
	s_xor_b64 s[18:19], s[24:25], 0
	s_mov_b32 s21, s9
	s_mul_hi_u32 s25, s18, s7
	s_mul_i32 s24, s18, s7
	s_mul_hi_u32 s26, s18, s2
	s_mul_hi_u32 s20, s19, s2
	s_mul_i32 s2, s19, s2
	s_add_nc_u64 s[24:25], s[26:27], s[24:25]
	s_mul_hi_u32 s22, s19, s7
	s_add_co_u32 s2, s24, s2
	s_add_co_ci_u32 s20, s25, s20
	s_mul_i32 s26, s19, s7
	s_add_co_ci_u32 s27, s22, 0
	s_delay_alu instid0(SALU_CYCLE_1) | instskip(NEXT) | instid1(SALU_CYCLE_1)
	s_add_nc_u64 s[20:21], s[20:21], s[26:27]
	s_and_b64 s[24:25], s[20:21], 0xffffffff00000000
	s_delay_alu instid0(SALU_CYCLE_1) | instskip(NEXT) | instid1(SALU_CYCLE_1)
	s_or_b32 s24, s24, s20
	s_mul_u64 s[20:21], s[16:17], s[24:25]
	s_add_nc_u64 s[26:27], s[24:25], 1
	s_sub_co_u32 s2, s18, s20
	s_cselect_b32 s7, -1, 0
	s_sub_co_i32 s18, s19, s21
	s_cmp_lg_u32 s7, 0
	s_add_nc_u64 s[28:29], s[24:25], 2
	s_sub_co_ci_u32 s18, s18, s17
	s_sub_co_u32 s20, s2, s16
	s_cselect_b32 s22, -1, 0
	s_delay_alu instid0(SALU_CYCLE_1) | instskip(SKIP_1) | instid1(SALU_CYCLE_1)
	s_cmp_lg_u32 s22, 0
	s_sub_co_ci_u32 s18, s18, 0
	s_cmp_ge_u32 s18, s17
	s_cselect_b32 s22, -1, 0
	s_cmp_ge_u32 s20, s16
	s_cselect_b32 s20, -1, 0
	s_cmp_eq_u32 s18, s17
	s_cselect_b32 s18, s20, s22
	s_delay_alu instid0(SALU_CYCLE_1) | instskip(SKIP_4) | instid1(SALU_CYCLE_1)
	s_cmp_lg_u32 s18, 0
	s_cselect_b32 s18, s28, s26
	s_cselect_b32 s20, s29, s27
	s_cmp_lg_u32 s7, 0
	s_sub_co_ci_u32 s7, s19, s21
	s_cmp_ge_u32 s7, s17
	s_cselect_b32 s19, -1, 0
	s_cmp_ge_u32 s2, s16
	s_cselect_b32 s2, -1, 0
	s_cmp_eq_u32 s7, s17
	s_cselect_b32 s2, s2, s19
	s_delay_alu instid0(SALU_CYCLE_1) | instskip(SKIP_4) | instid1(SALU_CYCLE_1)
	s_cmp_lg_u32 s2, 0
	s_mov_b32 s2, s9
	s_cselect_b32 s17, s20, s25
	s_cselect_b32 s16, s18, s24
	s_xor_b64 s[10:11], 0, s[10:11]
	s_xor_b64 s[16:17], s[16:17], s[10:11]
	s_delay_alu instid0(SALU_CYCLE_1)
	s_sub_nc_u64 s[18:19], s[16:17], s[10:11]
	s_clause 0x1
	s_load_b64 s[10:11], s[0:1], 0x50
	s_load_b64 s[16:17], s[0:1], 0x20
	s_and_not1_b32 vcc_lo, exec_lo, s2
	s_cbranch_vccnz .LBB112_7
.LBB112_6:
	v_cvt_f32_u32_e32 v1, s12
	s_sub_co_i32 s7, 0, s12
	s_delay_alu instid0(VALU_DEP_1) | instskip(SKIP_1) | instid1(TRANS32_DEP_1)
	v_rcp_iflag_f32_e32 v1, v1
	v_nop
	v_mul_f32_e32 v1, 0x4f7ffffe, v1
	s_delay_alu instid0(VALU_DEP_1) | instskip(NEXT) | instid1(VALU_DEP_1)
	v_cvt_u32_f32_e32 v1, v1
	v_readfirstlane_b32 s2, v1
	s_mul_i32 s7, s7, s2
	s_delay_alu instid0(SALU_CYCLE_1) | instskip(NEXT) | instid1(SALU_CYCLE_1)
	s_mul_hi_u32 s7, s2, s7
	s_add_co_i32 s2, s2, s7
	s_delay_alu instid0(SALU_CYCLE_1) | instskip(NEXT) | instid1(SALU_CYCLE_1)
	s_mul_hi_u32 s2, s8, s2
	s_mul_i32 s7, s2, s12
	s_add_co_i32 s18, s2, 1
	s_sub_co_i32 s7, s8, s7
	s_delay_alu instid0(SALU_CYCLE_1)
	s_sub_co_i32 s19, s7, s12
	s_cmp_ge_u32 s7, s12
	s_cselect_b32 s2, s18, s2
	s_cselect_b32 s7, s19, s7
	s_add_co_i32 s18, s2, 1
	s_cmp_ge_u32 s7, s12
	s_mov_b32 s19, 0
	s_cselect_b32 s18, s18, s2
.LBB112_7:
	s_delay_alu instid0(SALU_CYCLE_1)
	s_mul_u64 s[12:13], s[18:19], s[12:13]
	s_lshl_b64 s[18:19], s[18:19], 10
	s_sub_nc_u64 s[8:9], s[8:9], s[12:13]
	v_dual_mov_b32 v9, s19 :: v_dual_bitop2_b32 v8, s18, v0 bitop3:0x54
	s_lshl_b64 s[8:9], s[8:9], 3
	v_mov_b32_e32 v1, 0
	s_wait_kmcnt 0x0
	s_add_nc_u64 s[24:25], s[10:11], s[8:9]
	s_load_b64 s[20:21], s[24:25], 0x0
	s_clause 0x1
	s_load_b128 s[8:11], s[0:1], 0x38
	s_load_b32 s7, s[0:1], 0x0
	v_cmp_gt_i64_e64 s2, s[14:15], v[8:9]
	s_wait_kmcnt 0x0
	s_lshl_b64 s[24:25], s[20:21], 3
	v_mad_nc_u64_u32 v[2:3], s20, s10, v[8:9]
	s_add_nc_u64 s[24:25], s[16:17], s[24:25]
	s_mul_i32 s22, s21, s10
	s_load_b128 s[16:19], s[24:25], 0x0
	s_wait_xcnt 0x0
	s_mul_i32 s24, s20, s11
	s_cmp_lg_u32 s7, 0x71
	s_delay_alu instid0(VALU_DEP_1)
	v_add3_u32 v3, s24, s22, v3
	s_cbranch_scc0 .LBB112_11
; %bb.8:
	v_mov_b64_e32 v[4:5], 0
	s_and_saveexec_b32 s7, s2
	s_cbranch_execz .LBB112_10
; %bb.9:
	v_lshl_add_u64 v[4:5], v[2:3], 3, s[8:9]
	s_xor_b32 s14, s3, 0x80000000
	s_delay_alu instid0(SALU_CYCLE_1) | instskip(SKIP_4) | instid1(VALU_DEP_1)
	v_dual_mov_b32 v7, s23 :: v_dual_mov_b32 v11, s14
	v_dual_mov_b32 v10, s23 :: v_dual_mov_b32 v6, s3
	global_load_b64 v[4:5], v[4:5], off
	s_wait_loadcnt 0x0
	v_pk_mul_f32 v[10:11], v[4:5], v[10:11] op_sel:[1,0]
	v_pk_fma_f32 v[4:5], v[6:7], v[4:5], v[10:11] op_sel_hi:[1,0,1]
.LBB112_10:
	s_or_b32 exec_lo, exec_lo, s7
	s_cbranch_execz .LBB112_12
	s_branch .LBB112_15
.LBB112_11:
                                        ; implicit-def: $vgpr4_vgpr5
.LBB112_12:
	v_mov_b64_e32 v[4:5], 0
	s_and_saveexec_b32 s7, s2
	s_cbranch_execz .LBB112_14
; %bb.13:
	v_lshl_add_u64 v[4:5], v[2:3], 3, s[8:9]
	s_mov_b32 s22, s3
	s_delay_alu instid0(SALU_CYCLE_1) | instskip(SKIP_3) | instid1(VALU_DEP_1)
	v_mov_b64_e32 v[6:7], s[22:23]
	global_load_b64 v[4:5], v[4:5], off
	s_wait_loadcnt 0x0
	v_pk_mul_f32 v[10:11], v[4:5], v[6:7] op_sel:[1,0] neg_hi:[1,0]
	v_pk_fma_f32 v[4:5], v[6:7], v[4:5], v[10:11] op_sel:[0,0,1] op_sel_hi:[1,0,0]
.LBB112_14:
	s_or_b32 exec_lo, exec_lo, s7
.LBB112_15:
	s_load_b64 s[14:15], s[0:1], 0x48
	s_wait_kmcnt 0x0
	v_cmp_ge_i64_e64 s3, s[16:17], s[18:19]
	v_dual_mov_b32 v13, 1.0 :: v_dual_mov_b32 v12, v4
	v_dual_mov_b32 v22, 0 :: v_dual_mov_b32 v17, v5
	s_delay_alu instid0(VALU_DEP_2)
	v_mov_b32_e32 v16, v13
	s_and_b32 vcc_lo, exec_lo, s3
	v_cmp_eq_u32_e64 s3, 0, v0
	s_cbranch_vccnz .LBB112_58
; %bb.16:
	s_clause 0x1
	s_load_b128 s[28:31], s[0:1], 0x28
	s_load_b64 s[22:23], s[0:1], 0x58
	v_dual_mov_b32 v4, 0 :: v_dual_lshlrev_b32 v6, 3, v0
	s_wait_xcnt 0x0
	s_mov_b32 s1, 0
	s_mov_b32 s0, s4
	s_lshl_b64 s[24:25], s[12:13], 2
	v_mov_b32_e32 v7, v4
	v_lshl_add_u64 v[8:9], v[8:9], 3, s[8:9]
	v_or_b32_e32 v23, 0x2000, v6
	s_cmp_eq_u32 s6, 0
	s_sub_nc_u64 s[16:17], s[16:17], s[0:1]
	s_add_nc_u64 s[24:25], s[14:15], s[24:25]
	s_cselect_b32 s4, -1, 0
	s_sub_nc_u64 s[18:19], s[18:19], s[0:1]
	s_add_nc_u64 s[26:27], s[20:21], s[0:1]
	s_wait_kmcnt 0x0
	v_add_nc_u64_e32 v[10:11], s[28:29], v[6:7]
	v_add_nc_u64_e32 v[14:15], s[30:31], v[6:7]
	v_mov_b32_e32 v7, 0
	s_mov_b64 s[28:29], s[16:17]
	s_delay_alu instid0(SALU_CYCLE_1) | instskip(NEXT) | instid1(SALU_CYCLE_1)
	s_sub_co_i32 s7, s28, s16
	s_and_b32 s7, s7, 0x3ff
	s_delay_alu instid0(SALU_CYCLE_1)
	s_cmp_lg_u32 s7, 0
	s_cbranch_scc1 .LBB112_20
.LBB112_17:
	v_mov_b64_e32 v[20:21], -1
	v_dual_mov_b32 v19, 0 :: v_dual_mov_b32 v18, -1.0
	s_sub_nc_u64 s[30:31], s[18:19], s[28:29]
	s_mov_b32 s17, exec_lo
	v_cmpx_gt_i64_e64 s[30:31], v[0:1]
	s_cbranch_execz .LBB112_19
; %bb.18:
	s_lshl_b64 s[30:31], s[28:29], 3
	s_delay_alu instid0(SALU_CYCLE_1)
	v_add_nc_u64_e32 v[18:19], s[30:31], v[10:11]
	global_load_b64 v[20:21], v[18:19], off
	s_wait_xcnt 0x0
	v_add_nc_u64_e32 v[18:19], s[30:31], v[14:15]
	global_load_b64 v[18:19], v[18:19], off
	s_wait_loadcnt 0x1
	v_sub_nc_u64_e64 v[20:21], v[20:21], s[0:1]
.LBB112_19:
	s_wait_xcnt 0x0
	s_or_b32 exec_lo, exec_lo, s17
	ds_store_b64 v6, v[20:21]
	s_wait_loadcnt 0x0
	ds_store_b64 v23, v[18:19]
.LBB112_20:                             ; =>This Loop Header: Depth=1
                                        ;     Child Loop BB112_56 Depth 2
                                        ;       Child Loop BB112_57 Depth 3
	s_lshl_b32 s7, s7, 3
	s_wait_dscnt 0x0
	v_mov_b32_e32 v5, s7
	s_barrier_signal -1
	s_barrier_wait -1
	ds_load_2addr_stride64_b64 v[18:21], v5 offset1:16
	s_wait_dscnt 0x0
	v_readfirstlane_b32 s7, v20
	v_readfirstlane_b32 s33, v21
	;; [unrolled: 1-line block ×4, first 2 shown]
	s_cmp_eq_f32 s7, 0
	s_cselect_b32 s17, -1, 0
	s_cmp_eq_f32 s33, 0
	s_cselect_b32 s34, -1, 0
	s_delay_alu instid0(SALU_CYCLE_1)
	s_and_b32 s35, s17, s34
	s_cmp_eq_u64 s[30:31], s[20:21]
	s_cselect_b32 s34, -1, 0
	s_cmp_lg_u64 s[30:31], s[20:21]
	s_cselect_b32 s17, -1, 0
	s_and_b32 s35, s35, s34
	s_delay_alu instid0(SALU_CYCLE_1) | instskip(NEXT) | instid1(SALU_CYCLE_1)
	s_and_b32 s35, s4, s35
	s_and_b32 s36, s3, s35
	s_and_b32 s35, s35, exec_lo
	s_cselect_b32 s33, 0, s33
	s_cselect_b32 s7, 1.0, s7
	s_delay_alu instid0(SALU_CYCLE_1)
	v_dual_mov_b32 v24, s33 :: v_dual_mov_b32 v25, s7
	s_and_saveexec_b32 s7, s36
	s_cbranch_execz .LBB112_24
; %bb.21:                               ;   in Loop: Header=BB112_20 Depth=1
	v_mbcnt_lo_u32_b32 v5, exec_lo, 0
	s_mov_b32 s33, exec_lo
	s_delay_alu instid0(VALU_DEP_1)
	v_cmpx_eq_u32_e32 0, v5
	s_cbranch_execz .LBB112_23
; %bb.22:                               ;   in Loop: Header=BB112_20 Depth=1
	v_mov_b64_e32 v[18:19], s[26:27]
	global_atomic_min_u64 v4, v[18:19], s[22:23] scope:SCOPE_DEV
.LBB112_23:                             ;   in Loop: Header=BB112_20 Depth=1
	s_wait_xcnt 0x0
	s_or_b32 exec_lo, exec_lo, s33
	v_dual_mov_b32 v25, 1.0 :: v_dual_mov_b32 v24, 0
.LBB112_24:                             ;   in Loop: Header=BB112_20 Depth=1
	s_or_b32 exec_lo, exec_lo, s7
	s_mov_b32 s35, -1
	s_mov_b32 s7, 0
	s_cmp_lt_i32 s5, 1
	s_mov_b32 s33, 0
                                        ; implicit-def: $vgpr18_vgpr19
                                        ; implicit-def: $vgpr20_vgpr21
                                        ; implicit-def: $vgpr22
	s_cbranch_scc0 .LBB112_31
; %bb.25:                               ;   in Loop: Header=BB112_20 Depth=1
	s_and_b32 vcc_lo, exec_lo, s35
	s_mov_b32 s34, 4
	s_cbranch_vccnz .LBB112_38
.LBB112_26:                             ;   in Loop: Header=BB112_20 Depth=1
	s_and_b32 vcc_lo, exec_lo, s33
	s_cbranch_vccnz .LBB112_43
.LBB112_27:                             ;   in Loop: Header=BB112_20 Depth=1
	s_and_b32 vcc_lo, exec_lo, s7
	s_cbranch_vccnz .LBB112_48
.LBB112_28:                             ;   in Loop: Header=BB112_20 Depth=1
	s_mov_b32 s7, -1
	s_cmp_gt_i32 s34, 3
	s_mov_b32 s17, -1
	s_cbranch_scc0 .LBB112_51
.LBB112_29:                             ;   in Loop: Header=BB112_20 Depth=1
	s_and_not1_b32 vcc_lo, exec_lo, s17
	s_cbranch_vccz .LBB112_52
.LBB112_30:                             ;   in Loop: Header=BB112_20 Depth=1
	s_and_not1_b32 vcc_lo, exec_lo, s7
	s_cbranch_vccnz .LBB112_53
	s_branch .LBB112_59
.LBB112_31:                             ;   in Loop: Header=BB112_20 Depth=1
	s_cmp_eq_u32 s5, 1
	s_mov_b32 s33, -1
                                        ; implicit-def: $vgpr18_vgpr19
                                        ; implicit-def: $vgpr20_vgpr21
                                        ; implicit-def: $vgpr22
	s_cbranch_scc0 .LBB112_37
; %bb.32:                               ;   in Loop: Header=BB112_20 Depth=1
	v_cmp_ge_i64_e64 s33, s[30:31], s[20:21]
	v_mov_b64_e32 v[18:19], v[16:17]
	v_mov_b64_e32 v[20:21], v[12:13]
	v_mov_b32_e32 v22, v7
	s_and_b32 vcc_lo, exec_lo, s33
	s_mov_b32 s33, 0
	s_cbranch_vccz .LBB112_37
; %bb.33:                               ;   in Loop: Header=BB112_20 Depth=1
	s_and_b32 vcc_lo, exec_lo, s34
	s_mov_b32 s33, -1
                                        ; implicit-def: $vgpr18_vgpr19
                                        ; implicit-def: $vgpr20_vgpr21
                                        ; implicit-def: $vgpr22
	s_cbranch_vccz .LBB112_37
; %bb.34:                               ;   in Loop: Header=BB112_20 Depth=1
	v_mov_b64_e32 v[18:19], v[16:17]
	v_mov_b64_e32 v[20:21], v[12:13]
	v_mov_b32_e32 v22, v7
	s_and_not1_b32 vcc_lo, exec_lo, s4
	s_cbranch_vccnz .LBB112_36
; %bb.35:                               ;   in Loop: Header=BB112_20 Depth=1
	v_mul_f32_e32 v5, v24, v24
	s_delay_alu instid0(VALU_DEP_1) | instskip(NEXT) | instid1(VALU_DEP_1)
	v_fmac_f32_e32 v5, v25, v25
	v_div_scale_f32 v18, null, v5, v5, 1.0
	s_delay_alu instid0(VALU_DEP_1) | instskip(SKIP_1) | instid1(TRANS32_DEP_1)
	v_rcp_f32_e32 v19, v18
	v_nop
	v_fma_f32 v20, -v18, v19, 1.0
	s_delay_alu instid0(VALU_DEP_1) | instskip(SKIP_1) | instid1(VALU_DEP_1)
	v_fmac_f32_e32 v19, v20, v19
	v_div_scale_f32 v21, vcc_lo, 1.0, v5, 1.0
	v_mul_f32_e32 v20, v21, v19
	s_delay_alu instid0(VALU_DEP_1) | instskip(NEXT) | instid1(VALU_DEP_1)
	v_fma_f32 v22, -v18, v20, v21
	v_fmac_f32_e32 v20, v22, v19
	s_delay_alu instid0(VALU_DEP_1) | instskip(NEXT) | instid1(VALU_DEP_1)
	v_fma_f32 v18, -v18, v20, v21
	v_div_fmas_f32 v18, v18, v19, v20
	v_dual_fma_f32 v19, 0, v24, v25 :: v_dual_mov_b32 v20, v12
	s_delay_alu instid0(VALU_DEP_2) | instskip(SKIP_1) | instid1(VALU_DEP_1)
	v_div_fixup_f32 v5, v18, v5, 1.0
	v_fma_f32 v18, v25, 0, -v24
	v_dual_mul_f32 v21, v19, v5 :: v_dual_mul_f32 v22, v18, v5
	s_delay_alu instid0(VALU_DEP_1)
	v_dual_mov_b32 v19, v17 :: v_dual_mov_b32 v18, v21
.LBB112_36:                             ;   in Loop: Header=BB112_20 Depth=1
	s_mov_b32 s33, 0
.LBB112_37:                             ;   in Loop: Header=BB112_20 Depth=1
	s_mov_b32 s34, 4
	s_branch .LBB112_26
.LBB112_38:                             ;   in Loop: Header=BB112_20 Depth=1
	s_cmp_eq_u32 s5, 0
	s_cbranch_scc1 .LBB112_40
; %bb.39:                               ;   in Loop: Header=BB112_20 Depth=1
	s_mov_b32 s33, -1
	s_branch .LBB112_42
.LBB112_40:                             ;   in Loop: Header=BB112_20 Depth=1
	v_cmp_le_i64_e64 s33, s[30:31], s[20:21]
	s_and_b32 vcc_lo, exec_lo, s33
	s_mov_b32 s33, 0
	s_cbranch_vccz .LBB112_42
; %bb.41:                               ;   in Loop: Header=BB112_20 Depth=1
	s_mov_b32 s7, -1
	s_mov_b32 s33, s17
.LBB112_42:                             ;   in Loop: Header=BB112_20 Depth=1
	v_mov_b64_e32 v[18:19], v[16:17]
	v_mov_b64_e32 v[20:21], v[12:13]
	v_mov_b32_e32 v22, v7
	s_mov_b32 s34, 2
	s_and_b32 vcc_lo, exec_lo, s33
	s_cbranch_vccz .LBB112_27
.LBB112_43:                             ;   in Loop: Header=BB112_20 Depth=1
	s_and_saveexec_b32 s7, s3
	s_cbranch_execz .LBB112_45
; %bb.44:                               ;   in Loop: Header=BB112_20 Depth=1
	s_lshl_b64 s[34:35], s[30:31], 2
	s_delay_alu instid0(SALU_CYCLE_1)
	s_add_nc_u64 s[34:35], s[24:25], s[34:35]
	global_load_b32 v5, v4, s[34:35] scope:SCOPE_DEV
	s_wait_loadcnt 0x0
	v_cmp_ne_u32_e32 vcc_lo, 0, v5
	s_cbranch_vccz .LBB112_54
.LBB112_45:                             ;   in Loop: Header=BB112_20 Depth=1
	s_wait_xcnt 0x0
	s_or_b32 exec_lo, exec_lo, s7
	v_dual_mov_b32 v5, v13 :: v_dual_mov_b32 v18, v13
	v_mov_b32_e32 v19, v4
	s_wait_storecnt 0x0
	s_barrier_signal -1
	s_delay_alu instid0(VALU_DEP_2)
	v_mov_b64_e32 v[20:21], v[4:5]
	s_barrier_wait -1
	global_inv scope:SCOPE_DEV
	s_and_saveexec_b32 s7, s2
	s_cbranch_execz .LBB112_47
; %bb.46:                               ;   in Loop: Header=BB112_20 Depth=1
	s_mul_u64 s[30:31], s[30:31], s[10:11]
	s_delay_alu instid0(SALU_CYCLE_1)
	v_lshl_add_u64 v[18:19], s[30:31], 3, v[8:9]
	global_load_b64 v[26:27], v[18:19], off
	s_wait_xcnt 0x0
	v_mov_b32_e32 v18, v13
	s_wait_loadcnt 0x0
	v_dual_fma_f32 v19, -v25, v26, v17 :: v_dual_fma_f32 v5, -v24, v26, v12
	s_delay_alu instid0(VALU_DEP_1) | instskip(NEXT) | instid1(VALU_DEP_2)
	v_dual_mov_b32 v21, v13 :: v_dual_fmac_f32 v19, v24, v27
	v_fma_f32 v20, -v25, v27, v5
.LBB112_47:                             ;   in Loop: Header=BB112_20 Depth=1
	s_or_b32 exec_lo, exec_lo, s7
	v_mov_b32_e32 v22, v7
	s_mov_b32 s34, 0
	s_branch .LBB112_28
.LBB112_48:                             ;   in Loop: Header=BB112_20 Depth=1
	s_and_not1_b32 vcc_lo, exec_lo, s4
	s_cbranch_vccnz .LBB112_50
; %bb.49:                               ;   in Loop: Header=BB112_20 Depth=1
	v_mul_f32_e32 v5, v24, v24
	s_delay_alu instid0(VALU_DEP_1) | instskip(NEXT) | instid1(VALU_DEP_1)
	v_fmac_f32_e32 v5, v25, v25
	v_div_scale_f32 v7, null, v5, v5, 1.0
	v_div_scale_f32 v18, vcc_lo, 1.0, v5, 1.0
	s_delay_alu instid0(VALU_DEP_2) | instskip(SKIP_1) | instid1(TRANS32_DEP_1)
	v_rcp_f32_e32 v13, v7
	v_nop
	v_fma_f32 v16, -v7, v13, 1.0
	s_delay_alu instid0(VALU_DEP_1) | instskip(NEXT) | instid1(VALU_DEP_1)
	v_fmac_f32_e32 v13, v16, v13
	v_mul_f32_e32 v16, v18, v13
	s_delay_alu instid0(VALU_DEP_1) | instskip(NEXT) | instid1(VALU_DEP_1)
	v_fma_f32 v19, -v7, v16, v18
	v_fmac_f32_e32 v16, v19, v13
	s_delay_alu instid0(VALU_DEP_1) | instskip(NEXT) | instid1(VALU_DEP_1)
	v_fma_f32 v7, -v7, v16, v18
	v_div_fmas_f32 v7, v7, v13, v16
	v_fma_f32 v16, v25, 0, -v24
	s_delay_alu instid0(VALU_DEP_2) | instskip(SKIP_1) | instid1(VALU_DEP_1)
	v_div_fixup_f32 v5, v7, v5, 1.0
	v_fma_f32 v7, 0, v24, v25
	v_dual_mul_f32 v13, v7, v5 :: v_dual_mul_f32 v7, v16, v5
	s_delay_alu instid0(VALU_DEP_1)
	v_mov_b32_e32 v16, v13
.LBB112_50:                             ;   in Loop: Header=BB112_20 Depth=1
	v_mov_b64_e32 v[20:21], v[12:13]
	s_delay_alu instid0(VALU_DEP_2) | instskip(NEXT) | instid1(VALU_DEP_4)
	v_mov_b64_e32 v[18:19], v[16:17]
	v_mov_b32_e32 v22, v7
	s_mov_b32 s34, 2
	s_mov_b32 s7, -1
	s_cmp_gt_i32 s34, 3
	s_mov_b32 s17, -1
	s_cbranch_scc1 .LBB112_29
.LBB112_51:                             ;   in Loop: Header=BB112_20 Depth=1
	s_cmp_eq_u32 s34, 0
	s_cselect_b32 s17, -1, 0
	s_delay_alu instid0(SALU_CYCLE_1)
	s_and_not1_b32 vcc_lo, exec_lo, s17
	s_cbranch_vccnz .LBB112_30
.LBB112_52:                             ;   in Loop: Header=BB112_20 Depth=1
	s_add_nc_u64 s[28:29], s[28:29], 1
	s_delay_alu instid0(SALU_CYCLE_1)
	v_cmp_ge_i64_e64 s7, s[28:29], s[18:19]
	s_and_not1_b32 vcc_lo, exec_lo, s7
	s_cbranch_vccz .LBB112_59
.LBB112_53:                             ;   in Loop: Header=BB112_20 Depth=1
	v_mov_b32_e32 v7, v22
	v_mov_b64_e32 v[12:13], v[20:21]
	v_mov_b64_e32 v[16:17], v[18:19]
	s_sub_co_i32 s7, s28, s16
	s_delay_alu instid0(SALU_CYCLE_1) | instskip(NEXT) | instid1(SALU_CYCLE_1)
	s_and_b32 s7, s7, 0x3ff
	s_cmp_lg_u32 s7, 0
	s_cbranch_scc1 .LBB112_20
	s_branch .LBB112_17
.LBB112_54:                             ;   in Loop: Header=BB112_20 Depth=1
	s_mov_b32 s17, 0
	s_branch .LBB112_56
.LBB112_55:                             ;   in Loop: Header=BB112_56 Depth=2
	global_load_b32 v5, v4, s[34:35] scope:SCOPE_DEV
	s_cmp_lt_u32 s17, 0xf43
	s_cselect_b32 s33, -1, 0
	s_delay_alu instid0(SALU_CYCLE_1)
	s_cmp_lg_u32 s33, 0
	s_add_co_ci_u32 s17, s17, 0
	s_wait_loadcnt 0x0
	v_cmp_ne_u32_e32 vcc_lo, 0, v5
	s_cbranch_vccnz .LBB112_45
.LBB112_56:                             ;   Parent Loop BB112_20 Depth=1
                                        ; =>  This Loop Header: Depth=2
                                        ;       Child Loop BB112_57 Depth 3
	s_cmp_eq_u32 s17, 0
	s_mov_b32 s33, s17
	s_cbranch_scc1 .LBB112_55
.LBB112_57:                             ;   Parent Loop BB112_20 Depth=1
                                        ;     Parent Loop BB112_56 Depth=2
                                        ; =>    This Inner Loop Header: Depth=3
	s_add_co_i32 s33, s33, -1
	s_sleep 1
	s_cmp_eq_u32 s33, 0
	s_cbranch_scc0 .LBB112_57
	s_branch .LBB112_55
.LBB112_58:
	v_mov_b64_e32 v[18:19], v[16:17]
	v_mov_b64_e32 v[20:21], v[12:13]
	s_and_saveexec_b32 s0, s2
	s_cbranch_execnz .LBB112_60
	s_branch .LBB112_61
.LBB112_59:
	v_dual_mov_b32 v4, v20 :: v_dual_mov_b32 v5, v19
	s_and_saveexec_b32 s0, s2
	s_cbranch_execz .LBB112_61
.LBB112_60:
	s_cmp_eq_u32 s6, 0
	s_delay_alu instid0(VALU_DEP_1) | instskip(SKIP_3) | instid1(VALU_DEP_2)
	v_xor_b32_e32 v7, 0x80000000, v20
	s_cselect_b32 vcc_lo, -1, 0
	v_mov_b32_e32 v6, v19
	v_lshl_add_u64 v[2:3], v[2:3], 3, s[8:9]
	v_pk_mul_f32 v[6:7], v[22:23], v[6:7] op_sel_hi:[0,1]
	s_delay_alu instid0(VALU_DEP_1) | instskip(NEXT) | instid1(VALU_DEP_1)
	v_pk_fma_f32 v[6:7], v[20:21], v[18:19], v[6:7]
	v_dual_cndmask_b32 v9, v4, v6 :: v_dual_cndmask_b32 v8, v5, v7
	global_store_b64 v[2:3], v[8:9], off
.LBB112_61:
	s_wait_xcnt 0x0
	s_or_b32 exec_lo, exec_lo, s0
	global_wb scope:SCOPE_DEV
	s_wait_loadcnt 0x0
	s_wait_storecnt 0x0
	global_inv scope:SCOPE_DEV
	s_wait_loadcnt 0x0
	s_barrier_signal -1
	s_barrier_wait -1
	s_mov_b32 s0, exec_lo
	v_cmpx_eq_u32_e32 0, v0
	s_cbranch_execz .LBB112_63
; %bb.62:
	s_lshl_b64 s[0:1], s[20:21], 2
	v_dual_mov_b32 v0, 0 :: v_dual_mov_b32 v1, 1
	s_add_nc_u64 s[0:1], s[14:15], s[0:1]
	s_lshl_b64 s[2:3], s[12:13], 2
	s_delay_alu instid0(SALU_CYCLE_1)
	s_add_nc_u64 s[0:1], s[0:1], s[2:3]
	global_store_b32 v0, v1, s[0:1] scope:SCOPE_DEV
.LBB112_63:
	s_endpgm
.LBB112_64:
                                        ; implicit-def: $sgpr18_sgpr19
	s_clause 0x1
	s_load_b64 s[10:11], s[0:1], 0x50
	s_load_b64 s[16:17], s[0:1], 0x20
	s_branch .LBB112_6
	.section	.rodata,"a",@progbits
	.p2align	6, 0x0
	.amdhsa_kernel _ZN9rocsparseL5csrsmILj1024ELj64ELb1Ell21rocsparse_complex_numIfEEEv20rocsparse_operation_T3_S4_NS_24const_host_device_scalarIT4_EEPKT2_PKS4_PKS6_PS6_lPiSC_PS4_21rocsparse_index_base_20rocsparse_fill_mode_20rocsparse_diag_type_b
		.amdhsa_group_segment_fixed_size 16384
		.amdhsa_private_segment_fixed_size 0
		.amdhsa_kernarg_size 112
		.amdhsa_user_sgpr_count 2
		.amdhsa_user_sgpr_dispatch_ptr 0
		.amdhsa_user_sgpr_queue_ptr 0
		.amdhsa_user_sgpr_kernarg_segment_ptr 1
		.amdhsa_user_sgpr_dispatch_id 0
		.amdhsa_user_sgpr_kernarg_preload_length 0
		.amdhsa_user_sgpr_kernarg_preload_offset 0
		.amdhsa_user_sgpr_private_segment_size 0
		.amdhsa_wavefront_size32 1
		.amdhsa_uses_dynamic_stack 0
		.amdhsa_enable_private_segment 0
		.amdhsa_system_sgpr_workgroup_id_x 1
		.amdhsa_system_sgpr_workgroup_id_y 0
		.amdhsa_system_sgpr_workgroup_id_z 0
		.amdhsa_system_sgpr_workgroup_info 0
		.amdhsa_system_vgpr_workitem_id 0
		.amdhsa_next_free_vgpr 28
		.amdhsa_next_free_sgpr 37
		.amdhsa_named_barrier_count 0
		.amdhsa_reserve_vcc 1
		.amdhsa_float_round_mode_32 0
		.amdhsa_float_round_mode_16_64 0
		.amdhsa_float_denorm_mode_32 3
		.amdhsa_float_denorm_mode_16_64 3
		.amdhsa_fp16_overflow 0
		.amdhsa_memory_ordered 1
		.amdhsa_forward_progress 1
		.amdhsa_inst_pref_size 22
		.amdhsa_round_robin_scheduling 0
		.amdhsa_exception_fp_ieee_invalid_op 0
		.amdhsa_exception_fp_denorm_src 0
		.amdhsa_exception_fp_ieee_div_zero 0
		.amdhsa_exception_fp_ieee_overflow 0
		.amdhsa_exception_fp_ieee_underflow 0
		.amdhsa_exception_fp_ieee_inexact 0
		.amdhsa_exception_int_div_zero 0
	.end_amdhsa_kernel
	.section	.text._ZN9rocsparseL5csrsmILj1024ELj64ELb1Ell21rocsparse_complex_numIfEEEv20rocsparse_operation_T3_S4_NS_24const_host_device_scalarIT4_EEPKT2_PKS4_PKS6_PS6_lPiSC_PS4_21rocsparse_index_base_20rocsparse_fill_mode_20rocsparse_diag_type_b,"axG",@progbits,_ZN9rocsparseL5csrsmILj1024ELj64ELb1Ell21rocsparse_complex_numIfEEEv20rocsparse_operation_T3_S4_NS_24const_host_device_scalarIT4_EEPKT2_PKS4_PKS6_PS6_lPiSC_PS4_21rocsparse_index_base_20rocsparse_fill_mode_20rocsparse_diag_type_b,comdat
.Lfunc_end112:
	.size	_ZN9rocsparseL5csrsmILj1024ELj64ELb1Ell21rocsparse_complex_numIfEEEv20rocsparse_operation_T3_S4_NS_24const_host_device_scalarIT4_EEPKT2_PKS4_PKS6_PS6_lPiSC_PS4_21rocsparse_index_base_20rocsparse_fill_mode_20rocsparse_diag_type_b, .Lfunc_end112-_ZN9rocsparseL5csrsmILj1024ELj64ELb1Ell21rocsparse_complex_numIfEEEv20rocsparse_operation_T3_S4_NS_24const_host_device_scalarIT4_EEPKT2_PKS4_PKS6_PS6_lPiSC_PS4_21rocsparse_index_base_20rocsparse_fill_mode_20rocsparse_diag_type_b
                                        ; -- End function
	.set _ZN9rocsparseL5csrsmILj1024ELj64ELb1Ell21rocsparse_complex_numIfEEEv20rocsparse_operation_T3_S4_NS_24const_host_device_scalarIT4_EEPKT2_PKS4_PKS6_PS6_lPiSC_PS4_21rocsparse_index_base_20rocsparse_fill_mode_20rocsparse_diag_type_b.num_vgpr, 28
	.set _ZN9rocsparseL5csrsmILj1024ELj64ELb1Ell21rocsparse_complex_numIfEEEv20rocsparse_operation_T3_S4_NS_24const_host_device_scalarIT4_EEPKT2_PKS4_PKS6_PS6_lPiSC_PS4_21rocsparse_index_base_20rocsparse_fill_mode_20rocsparse_diag_type_b.num_agpr, 0
	.set _ZN9rocsparseL5csrsmILj1024ELj64ELb1Ell21rocsparse_complex_numIfEEEv20rocsparse_operation_T3_S4_NS_24const_host_device_scalarIT4_EEPKT2_PKS4_PKS6_PS6_lPiSC_PS4_21rocsparse_index_base_20rocsparse_fill_mode_20rocsparse_diag_type_b.numbered_sgpr, 37
	.set _ZN9rocsparseL5csrsmILj1024ELj64ELb1Ell21rocsparse_complex_numIfEEEv20rocsparse_operation_T3_S4_NS_24const_host_device_scalarIT4_EEPKT2_PKS4_PKS6_PS6_lPiSC_PS4_21rocsparse_index_base_20rocsparse_fill_mode_20rocsparse_diag_type_b.num_named_barrier, 0
	.set _ZN9rocsparseL5csrsmILj1024ELj64ELb1Ell21rocsparse_complex_numIfEEEv20rocsparse_operation_T3_S4_NS_24const_host_device_scalarIT4_EEPKT2_PKS4_PKS6_PS6_lPiSC_PS4_21rocsparse_index_base_20rocsparse_fill_mode_20rocsparse_diag_type_b.private_seg_size, 0
	.set _ZN9rocsparseL5csrsmILj1024ELj64ELb1Ell21rocsparse_complex_numIfEEEv20rocsparse_operation_T3_S4_NS_24const_host_device_scalarIT4_EEPKT2_PKS4_PKS6_PS6_lPiSC_PS4_21rocsparse_index_base_20rocsparse_fill_mode_20rocsparse_diag_type_b.uses_vcc, 1
	.set _ZN9rocsparseL5csrsmILj1024ELj64ELb1Ell21rocsparse_complex_numIfEEEv20rocsparse_operation_T3_S4_NS_24const_host_device_scalarIT4_EEPKT2_PKS4_PKS6_PS6_lPiSC_PS4_21rocsparse_index_base_20rocsparse_fill_mode_20rocsparse_diag_type_b.uses_flat_scratch, 0
	.set _ZN9rocsparseL5csrsmILj1024ELj64ELb1Ell21rocsparse_complex_numIfEEEv20rocsparse_operation_T3_S4_NS_24const_host_device_scalarIT4_EEPKT2_PKS4_PKS6_PS6_lPiSC_PS4_21rocsparse_index_base_20rocsparse_fill_mode_20rocsparse_diag_type_b.has_dyn_sized_stack, 0
	.set _ZN9rocsparseL5csrsmILj1024ELj64ELb1Ell21rocsparse_complex_numIfEEEv20rocsparse_operation_T3_S4_NS_24const_host_device_scalarIT4_EEPKT2_PKS4_PKS6_PS6_lPiSC_PS4_21rocsparse_index_base_20rocsparse_fill_mode_20rocsparse_diag_type_b.has_recursion, 0
	.set _ZN9rocsparseL5csrsmILj1024ELj64ELb1Ell21rocsparse_complex_numIfEEEv20rocsparse_operation_T3_S4_NS_24const_host_device_scalarIT4_EEPKT2_PKS4_PKS6_PS6_lPiSC_PS4_21rocsparse_index_base_20rocsparse_fill_mode_20rocsparse_diag_type_b.has_indirect_call, 0
	.section	.AMDGPU.csdata,"",@progbits
; Kernel info:
; codeLenInByte = 2816
; TotalNumSgprs: 39
; NumVgprs: 28
; ScratchSize: 0
; MemoryBound: 0
; FloatMode: 240
; IeeeMode: 1
; LDSByteSize: 16384 bytes/workgroup (compile time only)
; SGPRBlocks: 0
; VGPRBlocks: 1
; NumSGPRsForWavesPerEU: 39
; NumVGPRsForWavesPerEU: 28
; NamedBarCnt: 0
; Occupancy: 16
; WaveLimiterHint : 1
; COMPUTE_PGM_RSRC2:SCRATCH_EN: 0
; COMPUTE_PGM_RSRC2:USER_SGPR: 2
; COMPUTE_PGM_RSRC2:TRAP_HANDLER: 0
; COMPUTE_PGM_RSRC2:TGID_X_EN: 1
; COMPUTE_PGM_RSRC2:TGID_Y_EN: 0
; COMPUTE_PGM_RSRC2:TGID_Z_EN: 0
; COMPUTE_PGM_RSRC2:TIDIG_COMP_CNT: 0
	.section	.text._ZN9rocsparseL5csrsmILj1024ELj64ELb0Ell21rocsparse_complex_numIfEEEv20rocsparse_operation_T3_S4_NS_24const_host_device_scalarIT4_EEPKT2_PKS4_PKS6_PS6_lPiSC_PS4_21rocsparse_index_base_20rocsparse_fill_mode_20rocsparse_diag_type_b,"axG",@progbits,_ZN9rocsparseL5csrsmILj1024ELj64ELb0Ell21rocsparse_complex_numIfEEEv20rocsparse_operation_T3_S4_NS_24const_host_device_scalarIT4_EEPKT2_PKS4_PKS6_PS6_lPiSC_PS4_21rocsparse_index_base_20rocsparse_fill_mode_20rocsparse_diag_type_b,comdat
	.globl	_ZN9rocsparseL5csrsmILj1024ELj64ELb0Ell21rocsparse_complex_numIfEEEv20rocsparse_operation_T3_S4_NS_24const_host_device_scalarIT4_EEPKT2_PKS4_PKS6_PS6_lPiSC_PS4_21rocsparse_index_base_20rocsparse_fill_mode_20rocsparse_diag_type_b ; -- Begin function _ZN9rocsparseL5csrsmILj1024ELj64ELb0Ell21rocsparse_complex_numIfEEEv20rocsparse_operation_T3_S4_NS_24const_host_device_scalarIT4_EEPKT2_PKS4_PKS6_PS6_lPiSC_PS4_21rocsparse_index_base_20rocsparse_fill_mode_20rocsparse_diag_type_b
	.p2align	8
	.type	_ZN9rocsparseL5csrsmILj1024ELj64ELb0Ell21rocsparse_complex_numIfEEEv20rocsparse_operation_T3_S4_NS_24const_host_device_scalarIT4_EEPKT2_PKS4_PKS6_PS6_lPiSC_PS4_21rocsparse_index_base_20rocsparse_fill_mode_20rocsparse_diag_type_b,@function
_ZN9rocsparseL5csrsmILj1024ELj64ELb0Ell21rocsparse_complex_numIfEEEv20rocsparse_operation_T3_S4_NS_24const_host_device_scalarIT4_EEPKT2_PKS4_PKS6_PS6_lPiSC_PS4_21rocsparse_index_base_20rocsparse_fill_mode_20rocsparse_diag_type_b: ; @_ZN9rocsparseL5csrsmILj1024ELj64ELb0Ell21rocsparse_complex_numIfEEEv20rocsparse_operation_T3_S4_NS_24const_host_device_scalarIT4_EEPKT2_PKS4_PKS6_PS6_lPiSC_PS4_21rocsparse_index_base_20rocsparse_fill_mode_20rocsparse_diag_type_b
; %bb.0:
	s_clause 0x2
	s_load_b128 s[4:7], s[0:1], 0x60
	s_load_b64 s[2:3], s[0:1], 0x18
	s_load_b128 s[12:15], s[0:1], 0x8
	s_wait_kmcnt 0x0
	s_bitcmp1_b32 s7, 0
	s_mov_b32 s23, s2
	s_cselect_b32 s8, -1, 0
	s_delay_alu instid0(SALU_CYCLE_1)
	s_xor_b32 s7, s8, -1
	s_and_b32 vcc_lo, exec_lo, s8
	s_cbranch_vccnz .LBB113_2
; %bb.1:
	s_load_b32 s23, s[2:3], 0x0
.LBB113_2:
	s_and_not1_b32 vcc_lo, exec_lo, s7
	s_cbranch_vccnz .LBB113_4
; %bb.3:
	s_wait_xcnt 0x0
	s_load_b32 s3, s[2:3], 0x4
.LBB113_4:
	s_wait_xcnt 0x0
	s_bfe_u32 s2, ttmp6, 0x4000c
	s_and_b32 s7, ttmp6, 15
	s_add_co_i32 s2, s2, 1
	s_getreg_b32 s8, hwreg(HW_REG_IB_STS2, 6, 4)
	s_mul_i32 s2, ttmp9, s2
	s_mov_b32 s9, 0
	s_add_co_i32 s7, s7, s2
	s_cmp_eq_u32 s8, 0
	s_cselect_b32 s8, ttmp9, s7
	s_and_b64 s[10:11], s[12:13], 0xffffffff00000000
	s_delay_alu instid0(SALU_CYCLE_1)
	s_cmp_lg_u64 s[10:11], 0
	s_cbranch_scc0 .LBB113_61
; %bb.5:
	s_ashr_i32 s10, s13, 31
	s_mov_b32 s25, s9
	s_mov_b32 s11, s10
	;; [unrolled: 1-line block ×3, first 2 shown]
	s_add_nc_u64 s[16:17], s[12:13], s[10:11]
	s_delay_alu instid0(SALU_CYCLE_1) | instskip(NEXT) | instid1(SALU_CYCLE_1)
	s_xor_b64 s[16:17], s[16:17], s[10:11]
	s_cvt_f32_u32 s2, s16
	s_cvt_f32_u32 s7, s17
	s_sub_nc_u64 s[20:21], 0, s[16:17]
	s_delay_alu instid0(SALU_CYCLE_2) | instskip(NEXT) | instid1(SALU_CYCLE_3)
	s_fmamk_f32 s2, s7, 0x4f800000, s2
	v_s_rcp_f32 s2, s2
	s_delay_alu instid0(TRANS32_DEP_1) | instskip(NEXT) | instid1(SALU_CYCLE_3)
	s_mul_f32 s2, s2, 0x5f7ffffc
	s_mul_f32 s7, s2, 0x2f800000
	s_delay_alu instid0(SALU_CYCLE_3) | instskip(NEXT) | instid1(SALU_CYCLE_3)
	s_trunc_f32 s7, s7
	s_fmamk_f32 s2, s7, 0xcf800000, s2
	s_cvt_u32_f32 s19, s7
	s_delay_alu instid0(SALU_CYCLE_2) | instskip(NEXT) | instid1(SALU_CYCLE_3)
	s_cvt_u32_f32 s18, s2
	s_mul_u64 s[26:27], s[20:21], s[18:19]
	s_delay_alu instid0(SALU_CYCLE_1)
	s_mul_hi_u32 s31, s18, s27
	s_mul_i32 s30, s18, s27
	s_mul_hi_u32 s24, s18, s26
	s_mul_i32 s7, s19, s26
	s_add_nc_u64 s[24:25], s[24:25], s[30:31]
	s_mul_hi_u32 s2, s19, s26
	s_mul_hi_u32 s22, s19, s27
	s_add_co_u32 s7, s24, s7
	s_add_co_ci_u32 s28, s25, s2
	s_mul_i32 s26, s19, s27
	s_add_co_ci_u32 s27, s22, 0
	s_delay_alu instid0(SALU_CYCLE_1) | instskip(SKIP_3) | instid1(SALU_CYCLE_1)
	s_add_nc_u64 s[24:25], s[28:29], s[26:27]
	s_mov_b32 s27, s9
	s_add_co_u32 s18, s18, s24
	s_cselect_b32 s2, -1, 0
	s_cmp_lg_u32 s2, 0
	s_add_co_ci_u32 s19, s19, s25
	s_mov_b32 s25, s9
	s_mul_u64 s[20:21], s[20:21], s[18:19]
	s_delay_alu instid0(SALU_CYCLE_1)
	s_mul_hi_u32 s29, s18, s21
	s_mul_i32 s28, s18, s21
	s_mul_hi_u32 s24, s18, s20
	s_mul_i32 s7, s19, s20
	s_add_nc_u64 s[24:25], s[24:25], s[28:29]
	s_mul_hi_u32 s2, s19, s20
	s_mul_hi_u32 s22, s19, s21
	s_add_co_u32 s7, s24, s7
	s_add_co_ci_u32 s26, s25, s2
	s_mul_i32 s20, s19, s21
	s_add_co_ci_u32 s21, s22, 0
	s_add_nc_u64 s[24:25], s[8:9], 0
	s_add_nc_u64 s[20:21], s[26:27], s[20:21]
	s_delay_alu instid0(SALU_CYCLE_1) | instskip(SKIP_1) | instid1(SALU_CYCLE_1)
	s_add_co_u32 s2, s18, s20
	s_cselect_b32 s7, -1, 0
	s_cmp_lg_u32 s7, 0
	s_add_co_ci_u32 s7, s19, s21
	s_xor_b64 s[18:19], s[24:25], 0
	s_mov_b32 s21, s9
	s_mul_hi_u32 s25, s18, s7
	s_mul_i32 s24, s18, s7
	s_mul_hi_u32 s26, s18, s2
	s_mul_hi_u32 s20, s19, s2
	s_mul_i32 s2, s19, s2
	s_add_nc_u64 s[24:25], s[26:27], s[24:25]
	s_mul_hi_u32 s22, s19, s7
	s_add_co_u32 s2, s24, s2
	s_add_co_ci_u32 s20, s25, s20
	s_mul_i32 s26, s19, s7
	s_add_co_ci_u32 s27, s22, 0
	s_delay_alu instid0(SALU_CYCLE_1) | instskip(NEXT) | instid1(SALU_CYCLE_1)
	s_add_nc_u64 s[20:21], s[20:21], s[26:27]
	s_and_b64 s[24:25], s[20:21], 0xffffffff00000000
	s_delay_alu instid0(SALU_CYCLE_1) | instskip(NEXT) | instid1(SALU_CYCLE_1)
	s_or_b32 s24, s24, s20
	s_mul_u64 s[20:21], s[16:17], s[24:25]
	s_add_nc_u64 s[26:27], s[24:25], 1
	s_sub_co_u32 s2, s18, s20
	s_cselect_b32 s7, -1, 0
	s_sub_co_i32 s18, s19, s21
	s_cmp_lg_u32 s7, 0
	s_add_nc_u64 s[28:29], s[24:25], 2
	s_sub_co_ci_u32 s18, s18, s17
	s_sub_co_u32 s20, s2, s16
	s_cselect_b32 s22, -1, 0
	s_delay_alu instid0(SALU_CYCLE_1) | instskip(SKIP_1) | instid1(SALU_CYCLE_1)
	s_cmp_lg_u32 s22, 0
	s_sub_co_ci_u32 s18, s18, 0
	s_cmp_ge_u32 s18, s17
	s_cselect_b32 s22, -1, 0
	s_cmp_ge_u32 s20, s16
	s_cselect_b32 s20, -1, 0
	s_cmp_eq_u32 s18, s17
	s_cselect_b32 s18, s20, s22
	s_delay_alu instid0(SALU_CYCLE_1) | instskip(SKIP_4) | instid1(SALU_CYCLE_1)
	s_cmp_lg_u32 s18, 0
	s_cselect_b32 s18, s28, s26
	s_cselect_b32 s20, s29, s27
	s_cmp_lg_u32 s7, 0
	s_sub_co_ci_u32 s7, s19, s21
	s_cmp_ge_u32 s7, s17
	s_cselect_b32 s19, -1, 0
	s_cmp_ge_u32 s2, s16
	s_cselect_b32 s2, -1, 0
	s_cmp_eq_u32 s7, s17
	s_cselect_b32 s2, s2, s19
	s_delay_alu instid0(SALU_CYCLE_1) | instskip(SKIP_4) | instid1(SALU_CYCLE_1)
	s_cmp_lg_u32 s2, 0
	s_mov_b32 s2, s9
	s_cselect_b32 s17, s20, s25
	s_cselect_b32 s16, s18, s24
	s_xor_b64 s[10:11], 0, s[10:11]
	s_xor_b64 s[16:17], s[16:17], s[10:11]
	s_delay_alu instid0(SALU_CYCLE_1)
	s_sub_nc_u64 s[18:19], s[16:17], s[10:11]
	s_clause 0x1
	s_load_b64 s[10:11], s[0:1], 0x50
	s_load_b64 s[16:17], s[0:1], 0x20
	s_and_not1_b32 vcc_lo, exec_lo, s2
	s_cbranch_vccnz .LBB113_7
.LBB113_6:
	v_cvt_f32_u32_e32 v1, s12
	s_sub_co_i32 s7, 0, s12
	s_delay_alu instid0(VALU_DEP_1) | instskip(SKIP_1) | instid1(TRANS32_DEP_1)
	v_rcp_iflag_f32_e32 v1, v1
	v_nop
	v_mul_f32_e32 v1, 0x4f7ffffe, v1
	s_delay_alu instid0(VALU_DEP_1) | instskip(NEXT) | instid1(VALU_DEP_1)
	v_cvt_u32_f32_e32 v1, v1
	v_readfirstlane_b32 s2, v1
	s_mul_i32 s7, s7, s2
	s_delay_alu instid0(SALU_CYCLE_1) | instskip(NEXT) | instid1(SALU_CYCLE_1)
	s_mul_hi_u32 s7, s2, s7
	s_add_co_i32 s2, s2, s7
	s_delay_alu instid0(SALU_CYCLE_1) | instskip(NEXT) | instid1(SALU_CYCLE_1)
	s_mul_hi_u32 s2, s8, s2
	s_mul_i32 s7, s2, s12
	s_add_co_i32 s18, s2, 1
	s_sub_co_i32 s7, s8, s7
	s_delay_alu instid0(SALU_CYCLE_1)
	s_sub_co_i32 s19, s7, s12
	s_cmp_ge_u32 s7, s12
	s_cselect_b32 s2, s18, s2
	s_cselect_b32 s7, s19, s7
	s_add_co_i32 s18, s2, 1
	s_cmp_ge_u32 s7, s12
	s_mov_b32 s19, 0
	s_cselect_b32 s18, s18, s2
.LBB113_7:
	s_delay_alu instid0(SALU_CYCLE_1)
	s_mul_u64 s[12:13], s[18:19], s[12:13]
	s_lshl_b64 s[18:19], s[18:19], 10
	s_sub_nc_u64 s[8:9], s[8:9], s[12:13]
	v_dual_mov_b32 v9, s19 :: v_dual_bitop2_b32 v8, s18, v0 bitop3:0x54
	s_lshl_b64 s[8:9], s[8:9], 3
	v_mov_b32_e32 v1, 0
	s_wait_kmcnt 0x0
	s_add_nc_u64 s[24:25], s[10:11], s[8:9]
	s_load_b64 s[20:21], s[24:25], 0x0
	s_clause 0x1
	s_load_b128 s[8:11], s[0:1], 0x38
	s_load_b32 s7, s[0:1], 0x0
	v_cmp_gt_i64_e64 s2, s[14:15], v[8:9]
	s_wait_kmcnt 0x0
	s_lshl_b64 s[24:25], s[20:21], 3
	v_mad_nc_u64_u32 v[2:3], s20, s10, v[8:9]
	s_add_nc_u64 s[24:25], s[16:17], s[24:25]
	s_mul_i32 s22, s21, s10
	s_load_b128 s[16:19], s[24:25], 0x0
	s_wait_xcnt 0x0
	s_mul_i32 s24, s20, s11
	s_cmp_lg_u32 s7, 0x71
	s_delay_alu instid0(VALU_DEP_1)
	v_add3_u32 v3, s24, s22, v3
	s_cbranch_scc0 .LBB113_11
; %bb.8:
	v_mov_b64_e32 v[4:5], 0
	s_and_saveexec_b32 s7, s2
	s_cbranch_execz .LBB113_10
; %bb.9:
	v_lshl_add_u64 v[4:5], v[2:3], 3, s[8:9]
	s_xor_b32 s14, s3, 0x80000000
	s_delay_alu instid0(SALU_CYCLE_1) | instskip(SKIP_4) | instid1(VALU_DEP_1)
	v_dual_mov_b32 v7, s23 :: v_dual_mov_b32 v11, s14
	v_dual_mov_b32 v10, s23 :: v_dual_mov_b32 v6, s3
	global_load_b64 v[4:5], v[4:5], off
	s_wait_loadcnt 0x0
	v_pk_mul_f32 v[10:11], v[4:5], v[10:11] op_sel:[1,0]
	v_pk_fma_f32 v[4:5], v[6:7], v[4:5], v[10:11] op_sel_hi:[1,0,1]
.LBB113_10:
	s_or_b32 exec_lo, exec_lo, s7
	s_cbranch_execz .LBB113_12
	s_branch .LBB113_15
.LBB113_11:
                                        ; implicit-def: $vgpr4_vgpr5
.LBB113_12:
	v_mov_b64_e32 v[4:5], 0
	s_and_saveexec_b32 s7, s2
	s_cbranch_execz .LBB113_14
; %bb.13:
	v_lshl_add_u64 v[4:5], v[2:3], 3, s[8:9]
	s_mov_b32 s22, s3
	s_delay_alu instid0(SALU_CYCLE_1) | instskip(SKIP_3) | instid1(VALU_DEP_1)
	v_mov_b64_e32 v[6:7], s[22:23]
	global_load_b64 v[4:5], v[4:5], off
	s_wait_loadcnt 0x0
	v_pk_mul_f32 v[10:11], v[4:5], v[6:7] op_sel:[1,0] neg_hi:[1,0]
	v_pk_fma_f32 v[4:5], v[6:7], v[4:5], v[10:11] op_sel:[0,0,1] op_sel_hi:[1,0,0]
.LBB113_14:
	s_or_b32 exec_lo, exec_lo, s7
.LBB113_15:
	s_load_b64 s[14:15], s[0:1], 0x48
	s_wait_kmcnt 0x0
	v_cmp_ge_i64_e64 s3, s[16:17], s[18:19]
	v_dual_mov_b32 v13, 1.0 :: v_dual_mov_b32 v12, v4
	v_dual_mov_b32 v22, 0 :: v_dual_mov_b32 v17, v5
	s_delay_alu instid0(VALU_DEP_2)
	v_mov_b32_e32 v16, v13
	s_and_b32 vcc_lo, exec_lo, s3
	v_cmp_eq_u32_e64 s3, 0, v0
	s_cbranch_vccnz .LBB113_55
; %bb.16:
	s_clause 0x1
	s_load_b128 s[28:31], s[0:1], 0x28
	s_load_b64 s[22:23], s[0:1], 0x58
	v_dual_mov_b32 v4, 0 :: v_dual_lshlrev_b32 v6, 3, v0
	s_wait_xcnt 0x0
	s_mov_b32 s1, 0
	s_mov_b32 s0, s4
	s_lshl_b64 s[24:25], s[12:13], 2
	v_mov_b32_e32 v7, v4
	v_lshl_add_u64 v[8:9], v[8:9], 3, s[8:9]
	v_or_b32_e32 v23, 0x2000, v6
	s_cmp_eq_u32 s6, 0
	s_sub_nc_u64 s[16:17], s[16:17], s[0:1]
	s_add_nc_u64 s[24:25], s[14:15], s[24:25]
	s_cselect_b32 s4, -1, 0
	s_sub_nc_u64 s[18:19], s[18:19], s[0:1]
	s_add_nc_u64 s[26:27], s[20:21], s[0:1]
	s_wait_kmcnt 0x0
	v_add_nc_u64_e32 v[10:11], s[28:29], v[6:7]
	v_add_nc_u64_e32 v[14:15], s[30:31], v[6:7]
	v_mov_b32_e32 v7, 0
	s_mov_b64 s[28:29], s[16:17]
	s_delay_alu instid0(SALU_CYCLE_1) | instskip(NEXT) | instid1(SALU_CYCLE_1)
	s_sub_co_i32 s7, s28, s16
	s_and_b32 s7, s7, 0x3ff
	s_delay_alu instid0(SALU_CYCLE_1)
	s_cmp_lg_u32 s7, 0
	s_cbranch_scc1 .LBB113_20
.LBB113_17:
	v_mov_b64_e32 v[20:21], -1
	v_dual_mov_b32 v19, 0 :: v_dual_mov_b32 v18, -1.0
	s_sub_nc_u64 s[30:31], s[18:19], s[28:29]
	s_mov_b32 s17, exec_lo
	v_cmpx_gt_i64_e64 s[30:31], v[0:1]
	s_cbranch_execz .LBB113_19
; %bb.18:
	s_lshl_b64 s[30:31], s[28:29], 3
	s_delay_alu instid0(SALU_CYCLE_1)
	v_add_nc_u64_e32 v[18:19], s[30:31], v[10:11]
	global_load_b64 v[20:21], v[18:19], off
	s_wait_xcnt 0x0
	v_add_nc_u64_e32 v[18:19], s[30:31], v[14:15]
	global_load_b64 v[18:19], v[18:19], off
	s_wait_loadcnt 0x1
	v_sub_nc_u64_e64 v[20:21], v[20:21], s[0:1]
.LBB113_19:
	s_wait_xcnt 0x0
	s_or_b32 exec_lo, exec_lo, s17
	ds_store_b64 v6, v[20:21]
	s_wait_loadcnt 0x0
	ds_store_b64 v23, v[18:19]
.LBB113_20:                             ; =>This Loop Header: Depth=1
                                        ;     Child Loop BB113_45 Depth 2
	s_lshl_b32 s7, s7, 3
	s_wait_dscnt 0x0
	v_mov_b32_e32 v5, s7
	s_barrier_signal -1
	s_barrier_wait -1
	ds_load_2addr_stride64_b64 v[18:21], v5 offset1:16
	s_wait_dscnt 0x0
	v_readfirstlane_b32 s7, v20
	v_readfirstlane_b32 s33, v21
	;; [unrolled: 1-line block ×4, first 2 shown]
	s_cmp_eq_f32 s7, 0
	s_cselect_b32 s17, -1, 0
	s_cmp_eq_f32 s33, 0
	s_cselect_b32 s34, -1, 0
	s_delay_alu instid0(SALU_CYCLE_1)
	s_and_b32 s35, s17, s34
	s_cmp_eq_u64 s[30:31], s[20:21]
	s_cselect_b32 s34, -1, 0
	s_cmp_lg_u64 s[30:31], s[20:21]
	s_cselect_b32 s17, -1, 0
	s_and_b32 s35, s35, s34
	s_delay_alu instid0(SALU_CYCLE_1) | instskip(NEXT) | instid1(SALU_CYCLE_1)
	s_and_b32 s35, s4, s35
	s_and_b32 s36, s3, s35
	s_and_b32 s35, s35, exec_lo
	s_cselect_b32 s33, 0, s33
	s_cselect_b32 s7, 1.0, s7
	s_delay_alu instid0(SALU_CYCLE_1)
	v_dual_mov_b32 v24, s33 :: v_dual_mov_b32 v25, s7
	s_and_saveexec_b32 s7, s36
	s_cbranch_execz .LBB113_24
; %bb.21:                               ;   in Loop: Header=BB113_20 Depth=1
	v_mbcnt_lo_u32_b32 v5, exec_lo, 0
	s_mov_b32 s33, exec_lo
	s_delay_alu instid0(VALU_DEP_1)
	v_cmpx_eq_u32_e32 0, v5
	s_cbranch_execz .LBB113_23
; %bb.22:                               ;   in Loop: Header=BB113_20 Depth=1
	v_mov_b64_e32 v[18:19], s[26:27]
	global_atomic_min_u64 v4, v[18:19], s[22:23] scope:SCOPE_DEV
.LBB113_23:                             ;   in Loop: Header=BB113_20 Depth=1
	s_wait_xcnt 0x0
	s_or_b32 exec_lo, exec_lo, s33
	v_dual_mov_b32 v25, 1.0 :: v_dual_mov_b32 v24, 0
.LBB113_24:                             ;   in Loop: Header=BB113_20 Depth=1
	s_or_b32 exec_lo, exec_lo, s7
	s_mov_b32 s35, -1
	s_mov_b32 s7, 0
	s_cmp_lt_i32 s5, 1
	s_mov_b32 s33, 0
                                        ; implicit-def: $vgpr18_vgpr19
                                        ; implicit-def: $vgpr20_vgpr21
                                        ; implicit-def: $vgpr22
	s_cbranch_scc0 .LBB113_31
; %bb.25:                               ;   in Loop: Header=BB113_20 Depth=1
	s_and_b32 vcc_lo, exec_lo, s35
	s_mov_b32 s34, 4
	s_cbranch_vccnz .LBB113_38
.LBB113_26:                             ;   in Loop: Header=BB113_20 Depth=1
	s_and_b32 vcc_lo, exec_lo, s33
	s_cbranch_vccnz .LBB113_43
.LBB113_27:                             ;   in Loop: Header=BB113_20 Depth=1
	s_and_b32 vcc_lo, exec_lo, s7
	s_cbranch_vccnz .LBB113_49
.LBB113_28:                             ;   in Loop: Header=BB113_20 Depth=1
	s_mov_b32 s7, -1
	s_cmp_gt_i32 s34, 3
	s_mov_b32 s17, -1
	s_cbranch_scc0 .LBB113_52
.LBB113_29:                             ;   in Loop: Header=BB113_20 Depth=1
	s_and_not1_b32 vcc_lo, exec_lo, s17
	s_cbranch_vccz .LBB113_53
.LBB113_30:                             ;   in Loop: Header=BB113_20 Depth=1
	s_and_not1_b32 vcc_lo, exec_lo, s7
	s_cbranch_vccnz .LBB113_54
	s_branch .LBB113_56
.LBB113_31:                             ;   in Loop: Header=BB113_20 Depth=1
	s_cmp_eq_u32 s5, 1
	s_mov_b32 s33, -1
                                        ; implicit-def: $vgpr18_vgpr19
                                        ; implicit-def: $vgpr20_vgpr21
                                        ; implicit-def: $vgpr22
	s_cbranch_scc0 .LBB113_37
; %bb.32:                               ;   in Loop: Header=BB113_20 Depth=1
	v_cmp_ge_i64_e64 s33, s[30:31], s[20:21]
	v_mov_b64_e32 v[18:19], v[16:17]
	v_mov_b64_e32 v[20:21], v[12:13]
	v_mov_b32_e32 v22, v7
	s_and_b32 vcc_lo, exec_lo, s33
	s_mov_b32 s33, 0
	s_cbranch_vccz .LBB113_37
; %bb.33:                               ;   in Loop: Header=BB113_20 Depth=1
	s_and_b32 vcc_lo, exec_lo, s34
	s_mov_b32 s33, -1
                                        ; implicit-def: $vgpr18_vgpr19
                                        ; implicit-def: $vgpr20_vgpr21
                                        ; implicit-def: $vgpr22
	s_cbranch_vccz .LBB113_37
; %bb.34:                               ;   in Loop: Header=BB113_20 Depth=1
	v_mov_b64_e32 v[18:19], v[16:17]
	v_mov_b64_e32 v[20:21], v[12:13]
	v_mov_b32_e32 v22, v7
	s_and_not1_b32 vcc_lo, exec_lo, s4
	s_cbranch_vccnz .LBB113_36
; %bb.35:                               ;   in Loop: Header=BB113_20 Depth=1
	v_mul_f32_e32 v5, v24, v24
	s_delay_alu instid0(VALU_DEP_1) | instskip(NEXT) | instid1(VALU_DEP_1)
	v_fmac_f32_e32 v5, v25, v25
	v_div_scale_f32 v18, null, v5, v5, 1.0
	s_delay_alu instid0(VALU_DEP_1) | instskip(SKIP_1) | instid1(TRANS32_DEP_1)
	v_rcp_f32_e32 v19, v18
	v_nop
	v_fma_f32 v20, -v18, v19, 1.0
	s_delay_alu instid0(VALU_DEP_1) | instskip(SKIP_1) | instid1(VALU_DEP_1)
	v_fmac_f32_e32 v19, v20, v19
	v_div_scale_f32 v21, vcc_lo, 1.0, v5, 1.0
	v_mul_f32_e32 v20, v21, v19
	s_delay_alu instid0(VALU_DEP_1) | instskip(NEXT) | instid1(VALU_DEP_1)
	v_fma_f32 v22, -v18, v20, v21
	v_fmac_f32_e32 v20, v22, v19
	s_delay_alu instid0(VALU_DEP_1) | instskip(NEXT) | instid1(VALU_DEP_1)
	v_fma_f32 v18, -v18, v20, v21
	v_div_fmas_f32 v18, v18, v19, v20
	v_dual_fma_f32 v19, 0, v24, v25 :: v_dual_mov_b32 v20, v12
	s_delay_alu instid0(VALU_DEP_2) | instskip(SKIP_1) | instid1(VALU_DEP_1)
	v_div_fixup_f32 v5, v18, v5, 1.0
	v_fma_f32 v18, v25, 0, -v24
	v_dual_mul_f32 v21, v19, v5 :: v_dual_mul_f32 v22, v18, v5
	s_delay_alu instid0(VALU_DEP_1)
	v_dual_mov_b32 v19, v17 :: v_dual_mov_b32 v18, v21
.LBB113_36:                             ;   in Loop: Header=BB113_20 Depth=1
	s_mov_b32 s33, 0
.LBB113_37:                             ;   in Loop: Header=BB113_20 Depth=1
	s_mov_b32 s34, 4
	s_branch .LBB113_26
.LBB113_38:                             ;   in Loop: Header=BB113_20 Depth=1
	s_cmp_eq_u32 s5, 0
	s_cbranch_scc1 .LBB113_40
; %bb.39:                               ;   in Loop: Header=BB113_20 Depth=1
	s_mov_b32 s33, -1
	s_branch .LBB113_42
.LBB113_40:                             ;   in Loop: Header=BB113_20 Depth=1
	v_cmp_le_i64_e64 s33, s[30:31], s[20:21]
	s_and_b32 vcc_lo, exec_lo, s33
	s_mov_b32 s33, 0
	s_cbranch_vccz .LBB113_42
; %bb.41:                               ;   in Loop: Header=BB113_20 Depth=1
	s_mov_b32 s7, -1
	s_mov_b32 s33, s17
.LBB113_42:                             ;   in Loop: Header=BB113_20 Depth=1
	v_mov_b64_e32 v[18:19], v[16:17]
	v_mov_b64_e32 v[20:21], v[12:13]
	v_mov_b32_e32 v22, v7
	s_mov_b32 s34, 2
	s_and_b32 vcc_lo, exec_lo, s33
	s_cbranch_vccz .LBB113_27
.LBB113_43:                             ;   in Loop: Header=BB113_20 Depth=1
	s_and_saveexec_b32 s7, s3
	s_cbranch_execz .LBB113_46
; %bb.44:                               ;   in Loop: Header=BB113_20 Depth=1
	s_lshl_b64 s[34:35], s[30:31], 2
	s_delay_alu instid0(SALU_CYCLE_1)
	s_add_nc_u64 s[34:35], s[24:25], s[34:35]
	global_load_b32 v5, v4, s[34:35] scope:SCOPE_DEV
	s_wait_loadcnt 0x0
	v_cmp_ne_u32_e32 vcc_lo, 0, v5
	s_cbranch_vccnz .LBB113_46
.LBB113_45:                             ;   Parent Loop BB113_20 Depth=1
                                        ; =>  This Inner Loop Header: Depth=2
	global_load_b32 v5, v4, s[34:35] scope:SCOPE_DEV
	s_wait_loadcnt 0x0
	v_cmp_eq_u32_e32 vcc_lo, 0, v5
	s_cbranch_vccnz .LBB113_45
.LBB113_46:                             ;   in Loop: Header=BB113_20 Depth=1
	s_wait_xcnt 0x0
	s_or_b32 exec_lo, exec_lo, s7
	v_dual_mov_b32 v5, v13 :: v_dual_mov_b32 v18, v13
	v_mov_b32_e32 v19, v4
	s_wait_storecnt 0x0
	s_barrier_signal -1
	s_delay_alu instid0(VALU_DEP_2)
	v_mov_b64_e32 v[20:21], v[4:5]
	s_barrier_wait -1
	global_inv scope:SCOPE_DEV
	s_and_saveexec_b32 s7, s2
	s_cbranch_execz .LBB113_48
; %bb.47:                               ;   in Loop: Header=BB113_20 Depth=1
	s_mul_u64 s[30:31], s[30:31], s[10:11]
	s_delay_alu instid0(SALU_CYCLE_1)
	v_lshl_add_u64 v[18:19], s[30:31], 3, v[8:9]
	global_load_b64 v[26:27], v[18:19], off
	s_wait_xcnt 0x0
	v_mov_b32_e32 v18, v13
	s_wait_loadcnt 0x0
	v_dual_fma_f32 v19, -v25, v26, v17 :: v_dual_fma_f32 v5, -v24, v26, v12
	s_delay_alu instid0(VALU_DEP_1) | instskip(NEXT) | instid1(VALU_DEP_2)
	v_dual_mov_b32 v21, v13 :: v_dual_fmac_f32 v19, v24, v27
	v_fma_f32 v20, -v25, v27, v5
.LBB113_48:                             ;   in Loop: Header=BB113_20 Depth=1
	s_or_b32 exec_lo, exec_lo, s7
	v_mov_b32_e32 v22, v7
	s_mov_b32 s34, 0
	s_branch .LBB113_28
.LBB113_49:                             ;   in Loop: Header=BB113_20 Depth=1
	s_and_not1_b32 vcc_lo, exec_lo, s4
	s_cbranch_vccnz .LBB113_51
; %bb.50:                               ;   in Loop: Header=BB113_20 Depth=1
	v_mul_f32_e32 v5, v24, v24
	s_delay_alu instid0(VALU_DEP_1) | instskip(NEXT) | instid1(VALU_DEP_1)
	v_fmac_f32_e32 v5, v25, v25
	v_div_scale_f32 v7, null, v5, v5, 1.0
	v_div_scale_f32 v18, vcc_lo, 1.0, v5, 1.0
	s_delay_alu instid0(VALU_DEP_2) | instskip(SKIP_1) | instid1(TRANS32_DEP_1)
	v_rcp_f32_e32 v13, v7
	v_nop
	v_fma_f32 v16, -v7, v13, 1.0
	s_delay_alu instid0(VALU_DEP_1) | instskip(NEXT) | instid1(VALU_DEP_1)
	v_fmac_f32_e32 v13, v16, v13
	v_mul_f32_e32 v16, v18, v13
	s_delay_alu instid0(VALU_DEP_1) | instskip(NEXT) | instid1(VALU_DEP_1)
	v_fma_f32 v19, -v7, v16, v18
	v_fmac_f32_e32 v16, v19, v13
	s_delay_alu instid0(VALU_DEP_1) | instskip(NEXT) | instid1(VALU_DEP_1)
	v_fma_f32 v7, -v7, v16, v18
	v_div_fmas_f32 v7, v7, v13, v16
	v_fma_f32 v16, v25, 0, -v24
	s_delay_alu instid0(VALU_DEP_2) | instskip(SKIP_1) | instid1(VALU_DEP_1)
	v_div_fixup_f32 v5, v7, v5, 1.0
	v_fma_f32 v7, 0, v24, v25
	v_dual_mul_f32 v13, v7, v5 :: v_dual_mul_f32 v7, v16, v5
	s_delay_alu instid0(VALU_DEP_1)
	v_mov_b32_e32 v16, v13
.LBB113_51:                             ;   in Loop: Header=BB113_20 Depth=1
	v_mov_b64_e32 v[20:21], v[12:13]
	s_delay_alu instid0(VALU_DEP_2) | instskip(NEXT) | instid1(VALU_DEP_4)
	v_mov_b64_e32 v[18:19], v[16:17]
	v_mov_b32_e32 v22, v7
	s_mov_b32 s34, 2
	s_mov_b32 s7, -1
	s_cmp_gt_i32 s34, 3
	s_mov_b32 s17, -1
	s_cbranch_scc1 .LBB113_29
.LBB113_52:                             ;   in Loop: Header=BB113_20 Depth=1
	s_cmp_eq_u32 s34, 0
	s_cselect_b32 s17, -1, 0
	s_delay_alu instid0(SALU_CYCLE_1)
	s_and_not1_b32 vcc_lo, exec_lo, s17
	s_cbranch_vccnz .LBB113_30
.LBB113_53:                             ;   in Loop: Header=BB113_20 Depth=1
	s_add_nc_u64 s[28:29], s[28:29], 1
	s_delay_alu instid0(SALU_CYCLE_1)
	v_cmp_ge_i64_e64 s7, s[28:29], s[18:19]
	s_and_not1_b32 vcc_lo, exec_lo, s7
	s_cbranch_vccz .LBB113_56
.LBB113_54:                             ;   in Loop: Header=BB113_20 Depth=1
	v_mov_b32_e32 v7, v22
	v_mov_b64_e32 v[12:13], v[20:21]
	v_mov_b64_e32 v[16:17], v[18:19]
	s_sub_co_i32 s7, s28, s16
	s_delay_alu instid0(SALU_CYCLE_1) | instskip(NEXT) | instid1(SALU_CYCLE_1)
	s_and_b32 s7, s7, 0x3ff
	s_cmp_lg_u32 s7, 0
	s_cbranch_scc1 .LBB113_20
	s_branch .LBB113_17
.LBB113_55:
	v_mov_b64_e32 v[18:19], v[16:17]
	v_mov_b64_e32 v[20:21], v[12:13]
	s_and_saveexec_b32 s0, s2
	s_cbranch_execnz .LBB113_57
	s_branch .LBB113_58
.LBB113_56:
	v_dual_mov_b32 v4, v20 :: v_dual_mov_b32 v5, v19
	s_and_saveexec_b32 s0, s2
	s_cbranch_execz .LBB113_58
.LBB113_57:
	s_cmp_eq_u32 s6, 0
	s_delay_alu instid0(VALU_DEP_1) | instskip(SKIP_3) | instid1(VALU_DEP_2)
	v_xor_b32_e32 v7, 0x80000000, v20
	s_cselect_b32 vcc_lo, -1, 0
	v_mov_b32_e32 v6, v19
	v_lshl_add_u64 v[2:3], v[2:3], 3, s[8:9]
	v_pk_mul_f32 v[6:7], v[22:23], v[6:7] op_sel_hi:[0,1]
	s_delay_alu instid0(VALU_DEP_1) | instskip(NEXT) | instid1(VALU_DEP_1)
	v_pk_fma_f32 v[6:7], v[20:21], v[18:19], v[6:7]
	v_dual_cndmask_b32 v9, v4, v6 :: v_dual_cndmask_b32 v8, v5, v7
	global_store_b64 v[2:3], v[8:9], off
.LBB113_58:
	s_wait_xcnt 0x0
	s_or_b32 exec_lo, exec_lo, s0
	global_wb scope:SCOPE_DEV
	s_wait_loadcnt 0x0
	s_wait_storecnt 0x0
	global_inv scope:SCOPE_DEV
	s_wait_loadcnt 0x0
	s_barrier_signal -1
	s_barrier_wait -1
	s_mov_b32 s0, exec_lo
	v_cmpx_eq_u32_e32 0, v0
	s_cbranch_execz .LBB113_60
; %bb.59:
	s_lshl_b64 s[0:1], s[20:21], 2
	v_dual_mov_b32 v0, 0 :: v_dual_mov_b32 v1, 1
	s_add_nc_u64 s[0:1], s[14:15], s[0:1]
	s_lshl_b64 s[2:3], s[12:13], 2
	s_delay_alu instid0(SALU_CYCLE_1)
	s_add_nc_u64 s[0:1], s[0:1], s[2:3]
	global_store_b32 v0, v1, s[0:1] scope:SCOPE_DEV
.LBB113_60:
	s_endpgm
.LBB113_61:
                                        ; implicit-def: $sgpr18_sgpr19
	s_clause 0x1
	s_load_b64 s[10:11], s[0:1], 0x50
	s_load_b64 s[16:17], s[0:1], 0x20
	s_branch .LBB113_6
	.section	.rodata,"a",@progbits
	.p2align	6, 0x0
	.amdhsa_kernel _ZN9rocsparseL5csrsmILj1024ELj64ELb0Ell21rocsparse_complex_numIfEEEv20rocsparse_operation_T3_S4_NS_24const_host_device_scalarIT4_EEPKT2_PKS4_PKS6_PS6_lPiSC_PS4_21rocsparse_index_base_20rocsparse_fill_mode_20rocsparse_diag_type_b
		.amdhsa_group_segment_fixed_size 16384
		.amdhsa_private_segment_fixed_size 0
		.amdhsa_kernarg_size 112
		.amdhsa_user_sgpr_count 2
		.amdhsa_user_sgpr_dispatch_ptr 0
		.amdhsa_user_sgpr_queue_ptr 0
		.amdhsa_user_sgpr_kernarg_segment_ptr 1
		.amdhsa_user_sgpr_dispatch_id 0
		.amdhsa_user_sgpr_kernarg_preload_length 0
		.amdhsa_user_sgpr_kernarg_preload_offset 0
		.amdhsa_user_sgpr_private_segment_size 0
		.amdhsa_wavefront_size32 1
		.amdhsa_uses_dynamic_stack 0
		.amdhsa_enable_private_segment 0
		.amdhsa_system_sgpr_workgroup_id_x 1
		.amdhsa_system_sgpr_workgroup_id_y 0
		.amdhsa_system_sgpr_workgroup_id_z 0
		.amdhsa_system_sgpr_workgroup_info 0
		.amdhsa_system_vgpr_workitem_id 0
		.amdhsa_next_free_vgpr 28
		.amdhsa_next_free_sgpr 37
		.amdhsa_named_barrier_count 0
		.amdhsa_reserve_vcc 1
		.amdhsa_float_round_mode_32 0
		.amdhsa_float_round_mode_16_64 0
		.amdhsa_float_denorm_mode_32 3
		.amdhsa_float_denorm_mode_16_64 3
		.amdhsa_fp16_overflow 0
		.amdhsa_memory_ordered 1
		.amdhsa_forward_progress 1
		.amdhsa_inst_pref_size 22
		.amdhsa_round_robin_scheduling 0
		.amdhsa_exception_fp_ieee_invalid_op 0
		.amdhsa_exception_fp_denorm_src 0
		.amdhsa_exception_fp_ieee_div_zero 0
		.amdhsa_exception_fp_ieee_overflow 0
		.amdhsa_exception_fp_ieee_underflow 0
		.amdhsa_exception_fp_ieee_inexact 0
		.amdhsa_exception_int_div_zero 0
	.end_amdhsa_kernel
	.section	.text._ZN9rocsparseL5csrsmILj1024ELj64ELb0Ell21rocsparse_complex_numIfEEEv20rocsparse_operation_T3_S4_NS_24const_host_device_scalarIT4_EEPKT2_PKS4_PKS6_PS6_lPiSC_PS4_21rocsparse_index_base_20rocsparse_fill_mode_20rocsparse_diag_type_b,"axG",@progbits,_ZN9rocsparseL5csrsmILj1024ELj64ELb0Ell21rocsparse_complex_numIfEEEv20rocsparse_operation_T3_S4_NS_24const_host_device_scalarIT4_EEPKT2_PKS4_PKS6_PS6_lPiSC_PS4_21rocsparse_index_base_20rocsparse_fill_mode_20rocsparse_diag_type_b,comdat
.Lfunc_end113:
	.size	_ZN9rocsparseL5csrsmILj1024ELj64ELb0Ell21rocsparse_complex_numIfEEEv20rocsparse_operation_T3_S4_NS_24const_host_device_scalarIT4_EEPKT2_PKS4_PKS6_PS6_lPiSC_PS4_21rocsparse_index_base_20rocsparse_fill_mode_20rocsparse_diag_type_b, .Lfunc_end113-_ZN9rocsparseL5csrsmILj1024ELj64ELb0Ell21rocsparse_complex_numIfEEEv20rocsparse_operation_T3_S4_NS_24const_host_device_scalarIT4_EEPKT2_PKS4_PKS6_PS6_lPiSC_PS4_21rocsparse_index_base_20rocsparse_fill_mode_20rocsparse_diag_type_b
                                        ; -- End function
	.set _ZN9rocsparseL5csrsmILj1024ELj64ELb0Ell21rocsparse_complex_numIfEEEv20rocsparse_operation_T3_S4_NS_24const_host_device_scalarIT4_EEPKT2_PKS4_PKS6_PS6_lPiSC_PS4_21rocsparse_index_base_20rocsparse_fill_mode_20rocsparse_diag_type_b.num_vgpr, 28
	.set _ZN9rocsparseL5csrsmILj1024ELj64ELb0Ell21rocsparse_complex_numIfEEEv20rocsparse_operation_T3_S4_NS_24const_host_device_scalarIT4_EEPKT2_PKS4_PKS6_PS6_lPiSC_PS4_21rocsparse_index_base_20rocsparse_fill_mode_20rocsparse_diag_type_b.num_agpr, 0
	.set _ZN9rocsparseL5csrsmILj1024ELj64ELb0Ell21rocsparse_complex_numIfEEEv20rocsparse_operation_T3_S4_NS_24const_host_device_scalarIT4_EEPKT2_PKS4_PKS6_PS6_lPiSC_PS4_21rocsparse_index_base_20rocsparse_fill_mode_20rocsparse_diag_type_b.numbered_sgpr, 37
	.set _ZN9rocsparseL5csrsmILj1024ELj64ELb0Ell21rocsparse_complex_numIfEEEv20rocsparse_operation_T3_S4_NS_24const_host_device_scalarIT4_EEPKT2_PKS4_PKS6_PS6_lPiSC_PS4_21rocsparse_index_base_20rocsparse_fill_mode_20rocsparse_diag_type_b.num_named_barrier, 0
	.set _ZN9rocsparseL5csrsmILj1024ELj64ELb0Ell21rocsparse_complex_numIfEEEv20rocsparse_operation_T3_S4_NS_24const_host_device_scalarIT4_EEPKT2_PKS4_PKS6_PS6_lPiSC_PS4_21rocsparse_index_base_20rocsparse_fill_mode_20rocsparse_diag_type_b.private_seg_size, 0
	.set _ZN9rocsparseL5csrsmILj1024ELj64ELb0Ell21rocsparse_complex_numIfEEEv20rocsparse_operation_T3_S4_NS_24const_host_device_scalarIT4_EEPKT2_PKS4_PKS6_PS6_lPiSC_PS4_21rocsparse_index_base_20rocsparse_fill_mode_20rocsparse_diag_type_b.uses_vcc, 1
	.set _ZN9rocsparseL5csrsmILj1024ELj64ELb0Ell21rocsparse_complex_numIfEEEv20rocsparse_operation_T3_S4_NS_24const_host_device_scalarIT4_EEPKT2_PKS4_PKS6_PS6_lPiSC_PS4_21rocsparse_index_base_20rocsparse_fill_mode_20rocsparse_diag_type_b.uses_flat_scratch, 0
	.set _ZN9rocsparseL5csrsmILj1024ELj64ELb0Ell21rocsparse_complex_numIfEEEv20rocsparse_operation_T3_S4_NS_24const_host_device_scalarIT4_EEPKT2_PKS4_PKS6_PS6_lPiSC_PS4_21rocsparse_index_base_20rocsparse_fill_mode_20rocsparse_diag_type_b.has_dyn_sized_stack, 0
	.set _ZN9rocsparseL5csrsmILj1024ELj64ELb0Ell21rocsparse_complex_numIfEEEv20rocsparse_operation_T3_S4_NS_24const_host_device_scalarIT4_EEPKT2_PKS4_PKS6_PS6_lPiSC_PS4_21rocsparse_index_base_20rocsparse_fill_mode_20rocsparse_diag_type_b.has_recursion, 0
	.set _ZN9rocsparseL5csrsmILj1024ELj64ELb0Ell21rocsparse_complex_numIfEEEv20rocsparse_operation_T3_S4_NS_24const_host_device_scalarIT4_EEPKT2_PKS4_PKS6_PS6_lPiSC_PS4_21rocsparse_index_base_20rocsparse_fill_mode_20rocsparse_diag_type_b.has_indirect_call, 0
	.section	.AMDGPU.csdata,"",@progbits
; Kernel info:
; codeLenInByte = 2752
; TotalNumSgprs: 39
; NumVgprs: 28
; ScratchSize: 0
; MemoryBound: 0
; FloatMode: 240
; IeeeMode: 1
; LDSByteSize: 16384 bytes/workgroup (compile time only)
; SGPRBlocks: 0
; VGPRBlocks: 1
; NumSGPRsForWavesPerEU: 39
; NumVGPRsForWavesPerEU: 28
; NamedBarCnt: 0
; Occupancy: 16
; WaveLimiterHint : 1
; COMPUTE_PGM_RSRC2:SCRATCH_EN: 0
; COMPUTE_PGM_RSRC2:USER_SGPR: 2
; COMPUTE_PGM_RSRC2:TRAP_HANDLER: 0
; COMPUTE_PGM_RSRC2:TGID_X_EN: 1
; COMPUTE_PGM_RSRC2:TGID_Y_EN: 0
; COMPUTE_PGM_RSRC2:TGID_Z_EN: 0
; COMPUTE_PGM_RSRC2:TIDIG_COMP_CNT: 0
	.section	.text._ZN9rocsparseL5csrsmILj64ELj64ELb1Ell21rocsparse_complex_numIdEEEv20rocsparse_operation_T3_S4_NS_24const_host_device_scalarIT4_EEPKT2_PKS4_PKS6_PS6_lPiSC_PS4_21rocsparse_index_base_20rocsparse_fill_mode_20rocsparse_diag_type_b,"axG",@progbits,_ZN9rocsparseL5csrsmILj64ELj64ELb1Ell21rocsparse_complex_numIdEEEv20rocsparse_operation_T3_S4_NS_24const_host_device_scalarIT4_EEPKT2_PKS4_PKS6_PS6_lPiSC_PS4_21rocsparse_index_base_20rocsparse_fill_mode_20rocsparse_diag_type_b,comdat
	.globl	_ZN9rocsparseL5csrsmILj64ELj64ELb1Ell21rocsparse_complex_numIdEEEv20rocsparse_operation_T3_S4_NS_24const_host_device_scalarIT4_EEPKT2_PKS4_PKS6_PS6_lPiSC_PS4_21rocsparse_index_base_20rocsparse_fill_mode_20rocsparse_diag_type_b ; -- Begin function _ZN9rocsparseL5csrsmILj64ELj64ELb1Ell21rocsparse_complex_numIdEEEv20rocsparse_operation_T3_S4_NS_24const_host_device_scalarIT4_EEPKT2_PKS4_PKS6_PS6_lPiSC_PS4_21rocsparse_index_base_20rocsparse_fill_mode_20rocsparse_diag_type_b
	.p2align	8
	.type	_ZN9rocsparseL5csrsmILj64ELj64ELb1Ell21rocsparse_complex_numIdEEEv20rocsparse_operation_T3_S4_NS_24const_host_device_scalarIT4_EEPKT2_PKS4_PKS6_PS6_lPiSC_PS4_21rocsparse_index_base_20rocsparse_fill_mode_20rocsparse_diag_type_b,@function
_ZN9rocsparseL5csrsmILj64ELj64ELb1Ell21rocsparse_complex_numIdEEEv20rocsparse_operation_T3_S4_NS_24const_host_device_scalarIT4_EEPKT2_PKS4_PKS6_PS6_lPiSC_PS4_21rocsparse_index_base_20rocsparse_fill_mode_20rocsparse_diag_type_b: ; @_ZN9rocsparseL5csrsmILj64ELj64ELb1Ell21rocsparse_complex_numIdEEEv20rocsparse_operation_T3_S4_NS_24const_host_device_scalarIT4_EEPKT2_PKS4_PKS6_PS6_lPiSC_PS4_21rocsparse_index_base_20rocsparse_fill_mode_20rocsparse_diag_type_b
; %bb.0:
	s_clause 0x1
	s_load_b128 s[12:15], s[0:1], 0x68
	s_load_b256 s[4:11], s[0:1], 0x8
	v_mbcnt_lo_u32_b32 v1, -1, 0
	s_mov_b32 s3, 0
	s_delay_alu instid0(VALU_DEP_1) | instskip(NEXT) | instid1(VALU_DEP_1)
	v_dual_mov_b32 v2, 0 :: v_dual_lshlrev_b32 v3, 20, v1
	v_add_nc_u64_e32 v[2:3], src_flat_scratch_base_lo, v[2:3]
	s_wait_kmcnt 0x0
	s_bitcmp1_b32 s15, 0
	v_mov_b64_e32 v[4:5], s[8:9]
	s_cselect_b32 vcc_lo, -1, 0
	v_mov_b64_e32 v[8:9], s[10:11]
	s_delay_alu instid0(VALU_DEP_3)
	v_cndmask_b32_e32 v3, s9, v3, vcc_lo
	v_cndmask_b32_e32 v2, s8, v2, vcc_lo
	s_and_b32 vcc_lo, exec_lo, vcc_lo
	scratch_store_b64 off, v[4:5], off
	flat_load_b64 v[6:7], v[2:3]
	s_cbranch_vccnz .LBB114_2
; %bb.1:
	v_mov_b32_e32 v1, 0
	flat_load_b64 v[8:9], v1, s[8:9] offset:8
.LBB114_2:
	s_bfe_u32 s2, ttmp6, 0x4000c
	s_wait_xcnt 0x0
	s_and_b32 s8, ttmp6, 15
	s_add_co_i32 s2, s2, 1
	s_getreg_b32 s9, hwreg(HW_REG_IB_STS2, 6, 4)
	s_mul_i32 s2, ttmp9, s2
	s_delay_alu instid0(SALU_CYCLE_1) | instskip(SKIP_3) | instid1(SALU_CYCLE_1)
	s_add_co_i32 s8, s8, s2
	s_cmp_eq_u32 s9, 0
	s_cselect_b32 s2, ttmp9, s8
	s_and_b64 s[8:9], s[4:5], 0xffffffff00000000
	s_cmp_lg_u64 s[8:9], 0
	s_cbranch_scc0 .LBB114_63
; %bb.3:
	s_ashr_i32 s8, s5, 31
	s_delay_alu instid0(SALU_CYCLE_1) | instskip(NEXT) | instid1(SALU_CYCLE_1)
	s_mov_b32 s9, s8
	s_add_nc_u64 s[10:11], s[4:5], s[8:9]
	s_delay_alu instid0(SALU_CYCLE_1) | instskip(NEXT) | instid1(SALU_CYCLE_1)
	s_xor_b64 s[16:17], s[10:11], s[8:9]
	s_cvt_f32_u32 s10, s16
	s_cvt_f32_u32 s11, s17
	s_sub_nc_u64 s[20:21], 0, s[16:17]
	s_delay_alu instid0(SALU_CYCLE_2) | instskip(NEXT) | instid1(SALU_CYCLE_3)
	s_fmamk_f32 s10, s11, 0x4f800000, s10
	v_s_rcp_f32 s10, s10
	s_delay_alu instid0(TRANS32_DEP_1) | instskip(NEXT) | instid1(SALU_CYCLE_3)
	s_mul_f32 s10, s10, 0x5f7ffffc
	s_mul_f32 s11, s10, 0x2f800000
	s_delay_alu instid0(SALU_CYCLE_3) | instskip(NEXT) | instid1(SALU_CYCLE_3)
	s_trunc_f32 s11, s11
	s_fmamk_f32 s10, s11, 0xcf800000, s10
	s_cvt_u32_f32 s19, s11
	s_mov_b32 s11, 0
	s_delay_alu instid0(SALU_CYCLE_1) | instskip(NEXT) | instid1(SALU_CYCLE_3)
	s_cvt_u32_f32 s18, s10
	s_mul_u64 s[22:23], s[20:21], s[18:19]
	s_delay_alu instid0(SALU_CYCLE_1)
	s_mul_hi_u32 s25, s18, s23
	s_mul_i32 s24, s18, s23
	s_mul_hi_u32 s10, s18, s22
	s_mul_i32 s26, s19, s22
	s_add_nc_u64 s[24:25], s[10:11], s[24:25]
	s_mul_hi_u32 s15, s19, s22
	s_mul_hi_u32 s27, s19, s23
	s_add_co_u32 s10, s24, s26
	s_add_co_ci_u32 s10, s25, s15
	s_mul_i32 s22, s19, s23
	s_add_co_ci_u32 s23, s27, 0
	s_delay_alu instid0(SALU_CYCLE_1) | instskip(NEXT) | instid1(SALU_CYCLE_1)
	s_add_nc_u64 s[22:23], s[10:11], s[22:23]
	s_add_co_u32 s18, s18, s22
	s_cselect_b32 s10, -1, 0
	s_delay_alu instid0(SALU_CYCLE_1) | instskip(SKIP_1) | instid1(SALU_CYCLE_1)
	s_cmp_lg_u32 s10, 0
	s_add_co_ci_u32 s19, s19, s23
	s_mul_u64 s[20:21], s[20:21], s[18:19]
	s_delay_alu instid0(SALU_CYCLE_1)
	s_mul_hi_u32 s23, s18, s21
	s_mul_i32 s22, s18, s21
	s_mul_hi_u32 s10, s18, s20
	s_mul_i32 s24, s19, s20
	s_add_nc_u64 s[22:23], s[10:11], s[22:23]
	s_mul_hi_u32 s15, s19, s20
	s_mul_hi_u32 s25, s19, s21
	s_add_co_u32 s10, s22, s24
	s_add_co_ci_u32 s10, s23, s15
	s_mul_i32 s20, s19, s21
	s_add_co_ci_u32 s21, s25, 0
	s_add_nc_u64 s[22:23], s[2:3], 0
	s_add_nc_u64 s[20:21], s[10:11], s[20:21]
	s_delay_alu instid0(SALU_CYCLE_1) | instskip(SKIP_1) | instid1(SALU_CYCLE_1)
	s_add_co_u32 s15, s18, s20
	s_cselect_b32 s10, -1, 0
	s_cmp_lg_u32 s10, 0
	s_add_co_ci_u32 s24, s19, s21
	s_xor_b64 s[18:19], s[22:23], 0
	s_delay_alu instid0(SALU_CYCLE_1)
	s_mul_hi_u32 s21, s18, s24
	s_mul_i32 s20, s18, s24
	s_mul_hi_u32 s10, s18, s15
	s_mul_hi_u32 s25, s19, s15
	s_mul_i32 s15, s19, s15
	s_add_nc_u64 s[20:21], s[10:11], s[20:21]
	s_mul_hi_u32 s23, s19, s24
	s_add_co_u32 s10, s20, s15
	s_add_co_ci_u32 s10, s21, s25
	s_mul_i32 s22, s19, s24
	s_add_co_ci_u32 s23, s23, 0
	s_delay_alu instid0(SALU_CYCLE_1) | instskip(NEXT) | instid1(SALU_CYCLE_1)
	s_add_nc_u64 s[20:21], s[10:11], s[22:23]
	s_and_b64 s[22:23], s[20:21], 0xffffffff00000000
	s_delay_alu instid0(SALU_CYCLE_1) | instskip(NEXT) | instid1(SALU_CYCLE_1)
	s_or_b32 s22, s22, s20
	s_mul_u64 s[20:21], s[16:17], s[22:23]
	s_delay_alu instid0(SALU_CYCLE_1)
	s_sub_co_u32 s10, s18, s20
	s_cselect_b32 s15, -1, 0
	s_sub_co_i32 s18, s19, s21
	s_cmp_lg_u32 s15, 0
	s_sub_co_ci_u32 s18, s18, s17
	s_sub_co_u32 s20, s10, s16
	s_cselect_b32 s24, -1, 0
	s_delay_alu instid0(SALU_CYCLE_1) | instskip(SKIP_2) | instid1(SALU_CYCLE_1)
	s_cmp_lg_u32 s24, 0
	s_add_nc_u64 s[24:25], s[22:23], 1
	s_sub_co_ci_u32 s18, s18, 0
	s_cmp_ge_u32 s18, s17
	s_cselect_b32 s26, -1, 0
	s_cmp_ge_u32 s20, s16
	s_cselect_b32 s20, -1, 0
	s_cmp_eq_u32 s18, s17
	s_cselect_b32 s18, s20, s26
	s_add_nc_u64 s[26:27], s[22:23], 2
	s_cmp_lg_u32 s18, 0
	s_cselect_b32 s18, s26, s24
	s_cselect_b32 s20, s27, s25
	s_cmp_lg_u32 s15, 0
	s_sub_co_ci_u32 s15, s19, s21
	s_delay_alu instid0(SALU_CYCLE_1)
	s_cmp_ge_u32 s15, s17
	s_cselect_b32 s19, -1, 0
	s_cmp_ge_u32 s10, s16
	s_cselect_b32 s10, -1, 0
	s_cmp_eq_u32 s15, s17
	s_cselect_b32 s10, s10, s19
	s_delay_alu instid0(SALU_CYCLE_1) | instskip(SKIP_3) | instid1(SALU_CYCLE_1)
	s_cmp_lg_u32 s10, 0
	s_cselect_b32 s17, s20, s23
	s_cselect_b32 s16, s18, s22
	s_xor_b64 s[8:9], 0, s[8:9]
	s_xor_b64 s[16:17], s[16:17], s[8:9]
	s_delay_alu instid0(SALU_CYCLE_1)
	s_sub_nc_u64 s[22:23], s[16:17], s[8:9]
	s_clause 0x1
	s_load_b64 s[8:9], s[0:1], 0x58
	s_load_b64 s[16:17], s[0:1], 0x28
	s_cbranch_execnz .LBB114_5
.LBB114_4:
	v_cvt_f32_u32_e32 v1, s4
	s_sub_co_i32 s11, 0, s4
	s_mov_b32 s23, 0
	s_delay_alu instid0(VALU_DEP_1) | instskip(SKIP_1) | instid1(TRANS32_DEP_1)
	v_rcp_iflag_f32_e32 v1, v1
	v_nop
	v_mul_f32_e32 v1, 0x4f7ffffe, v1
	s_delay_alu instid0(VALU_DEP_1) | instskip(NEXT) | instid1(VALU_DEP_1)
	v_cvt_u32_f32_e32 v1, v1
	v_readfirstlane_b32 s10, v1
	s_mul_i32 s11, s11, s10
	s_delay_alu instid0(SALU_CYCLE_1) | instskip(NEXT) | instid1(SALU_CYCLE_1)
	s_mul_hi_u32 s11, s10, s11
	s_add_co_i32 s10, s10, s11
	s_delay_alu instid0(SALU_CYCLE_1) | instskip(NEXT) | instid1(SALU_CYCLE_1)
	s_mul_hi_u32 s10, s2, s10
	s_mul_i32 s11, s10, s4
	s_add_co_i32 s15, s10, 1
	s_sub_co_i32 s11, s2, s11
	s_delay_alu instid0(SALU_CYCLE_1)
	s_sub_co_i32 s18, s11, s4
	s_cmp_ge_u32 s11, s4
	s_cselect_b32 s10, s15, s10
	s_cselect_b32 s11, s18, s11
	s_add_co_i32 s15, s10, 1
	s_cmp_ge_u32 s11, s4
	s_cselect_b32 s22, s15, s10
.LBB114_5:
	s_delay_alu instid0(SALU_CYCLE_1)
	s_mul_u64 s[4:5], s[22:23], s[4:5]
	s_load_b32 s15, s[0:1], 0x0
	s_sub_nc_u64 s[2:3], s[2:3], s[4:5]
	v_mov_b32_e32 v1, 0
	s_lshl_b64 s[2:3], s[2:3], 3
	s_wait_kmcnt 0x0
	s_add_nc_u64 s[2:3], s[8:9], s[2:3]
	s_load_b64 s[20:21], s[2:3], 0x0
	s_load_b128 s[8:11], s[0:1], 0x40
	s_wait_kmcnt 0x0
	s_lshl_b64 s[2:3], s[20:21], 3
	s_delay_alu instid0(SALU_CYCLE_1)
	s_add_nc_u64 s[2:3], s[16:17], s[2:3]
	s_load_b128 s[16:19], s[2:3], 0x0
	s_wait_xcnt 0x0
	s_lshl_b64 s[2:3], s[22:23], 6
	s_mul_u64 s[22:23], s[20:21], s[10:11]
	v_dual_mov_b32 v11, s3 :: v_dual_bitop2_b32 v10, s2, v0 bitop3:0x54
	s_cmp_lg_u32 s15, 0x71
	s_delay_alu instid0(VALU_DEP_1)
	v_add_nc_u64_e32 v[12:13], s[22:23], v[10:11]
	v_cmp_gt_i64_e64 s2, s[6:7], v[10:11]
	s_cbranch_scc0 .LBB114_9
; %bb.6:
	v_mov_b64_e32 v[4:5], 0
	v_mov_b64_e32 v[2:3], 0
	s_and_saveexec_b32 s3, s2
	s_cbranch_execz .LBB114_8
; %bb.7:
	v_lshl_add_u64 v[2:3], v[12:13], 4, s[8:9]
	global_load_b128 v[14:17], v[2:3], off
	s_wait_loadcnt_dscnt 0x0
	v_mul_f64_e64 v[2:3], v[16:17], -v[8:9]
	v_mul_f64_e32 v[4:5], v[6:7], v[16:17]
	s_delay_alu instid0(VALU_DEP_2) | instskip(NEXT) | instid1(VALU_DEP_2)
	v_fmac_f64_e32 v[2:3], v[6:7], v[14:15]
	v_fmac_f64_e32 v[4:5], v[8:9], v[14:15]
.LBB114_8:
	s_or_b32 exec_lo, exec_lo, s3
	s_cbranch_execz .LBB114_10
	s_branch .LBB114_13
.LBB114_9:
                                        ; implicit-def: $vgpr4_vgpr5
.LBB114_10:
	v_mov_b64_e32 v[4:5], 0
	v_mov_b64_e32 v[2:3], 0
	s_and_saveexec_b32 s3, s2
	s_cbranch_execz .LBB114_12
; %bb.11:
	v_lshl_add_u64 v[2:3], v[12:13], 4, s[8:9]
	global_load_b128 v[12:15], v[2:3], off
	s_wait_loadcnt_dscnt 0x0
	v_mul_f64_e32 v[2:3], v[8:9], v[14:15]
	v_mul_f64_e64 v[4:5], v[6:7], -v[14:15]
	s_delay_alu instid0(VALU_DEP_2) | instskip(NEXT) | instid1(VALU_DEP_2)
	v_fmac_f64_e32 v[2:3], v[6:7], v[12:13]
	v_fmac_f64_e32 v[4:5], v[8:9], v[12:13]
.LBB114_12:
	s_or_b32 exec_lo, exec_lo, s3
.LBB114_13:
	s_load_b64 s[6:7], s[0:1], 0x50
	s_wait_kmcnt 0x0
	v_cmp_ge_i64_e64 s3, s[16:17], s[18:19]
	v_lshl_add_u64 v[10:11], v[10:11], 4, s[8:9]
	s_and_b32 vcc_lo, exec_lo, s3
	v_cmp_eq_u32_e64 s3, 0, v0
	s_cbranch_vccnz .LBB114_56
; %bb.14:
	s_clause 0x1
	s_load_b128 s[28:31], s[0:1], 0x30
	s_load_b64 s[8:9], s[0:1], 0x60
	v_dual_mov_b32 v13, 0 :: v_dual_lshlrev_b32 v12, 3, v0
	v_lshlrev_b32_e32 v14, 4, v0
	v_mov_b64_e32 v[20:21], 1.0
	v_mov_b64_e32 v[22:23], 0
	s_mov_b32 s25, 0
	v_mov_b32_e32 v15, v13
	s_mov_b32 s24, s12
	s_wait_xcnt 0x0
	s_lshl_b64 s[0:1], s[4:5], 2
	v_or_b32_e32 v32, 0x400, v12
	s_cmp_eq_u32 s14, 0
	s_sub_nc_u64 s[16:17], s[16:17], s[24:25]
	s_add_nc_u64 s[26:27], s[6:7], s[0:1]
	s_cselect_b32 s12, -1, 0
	s_sub_nc_u64 s[18:19], s[18:19], s[24:25]
	s_wait_kmcnt 0x0
	v_add_nc_u64_e32 v[16:17], s[28:29], v[12:13]
	v_add_nc_u64_e32 v[18:19], s[30:31], v[14:15]
	s_add_nc_u64 s[28:29], s[20:21], s[24:25]
	s_mov_b64 s[30:31], s[16:17]
	s_delay_alu instid0(SALU_CYCLE_1) | instskip(NEXT) | instid1(SALU_CYCLE_1)
	s_sub_co_i32 s0, s30, s16
	s_and_b32 s0, s0, 63
	s_delay_alu instid0(SALU_CYCLE_1)
	s_cmp_lg_u32 s0, 0
	s_cbranch_scc1 .LBB114_18
.LBB114_15:
	s_wait_loadcnt_dscnt 0x0
	v_mov_b64_e32 v[6:7], -1.0
	v_mov_b64_e32 v[8:9], 0
	v_mov_b64_e32 v[24:25], -1
	s_sub_nc_u64 s[34:35], s[18:19], s[30:31]
	s_mov_b32 s1, exec_lo
	v_cmpx_gt_i64_e64 s[34:35], v[0:1]
	s_cbranch_execz .LBB114_17
; %bb.16:
	v_lshl_add_u64 v[6:7], s[30:31], 3, v[16:17]
	global_load_b64 v[24:25], v[6:7], off
	s_wait_xcnt 0x0
	v_lshl_add_u64 v[6:7], s[30:31], 4, v[18:19]
	global_load_b128 v[6:9], v[6:7], off
	s_wait_loadcnt 0x1
	v_sub_nc_u64_e64 v[24:25], v[24:25], s[24:25]
.LBB114_17:
	s_wait_xcnt 0x0
	s_or_b32 exec_lo, exec_lo, s1
	ds_store_b64 v32, v[24:25]
	s_wait_loadcnt 0x0
	ds_store_b128 v14, v[6:9]
.LBB114_18:                             ; =>This Loop Header: Depth=1
                                        ;     Child Loop BB114_54 Depth 2
                                        ;       Child Loop BB114_55 Depth 3
	s_lshl_b32 s1, s0, 4
	s_wait_storecnt 0x0
	s_wait_loadcnt_dscnt 0x0
	v_mov_b32_e32 v6, s1
	s_barrier_signal -1
	s_barrier_wait -1
	s_lshl_b32 s1, s0, 3
	ds_load_b128 v[24:27], v6
	v_mov_b32_e32 v6, s1
	ds_load_b64 v[6:7], v6 offset:1024
	s_wait_dscnt 0x1
	v_cmp_eq_f64_e32 vcc_lo, 0, v[24:25]
	v_cmp_eq_f64_e64 s0, 0, v[26:27]
	s_wait_dscnt 0x0
	v_readfirstlane_b32 s34, v6
	v_readfirstlane_b32 s35, v7
	s_and_b32 s1, vcc_lo, s0
	s_cmp_eq_u64 s[34:35], s[20:21]
	s_cselect_b32 s17, -1, 0
	s_cmp_lg_u64 s[34:35], s[20:21]
	s_cselect_b32 s0, -1, 0
	s_and_b32 s1, s1, s17
	s_delay_alu instid0(SALU_CYCLE_1) | instskip(NEXT) | instid1(SALU_CYCLE_1)
	s_and_b32 s1, s12, s1
	v_cndmask_b32_e64 v7, v27, 0, s1
	v_cndmask_b32_e64 v6, v26, 0, s1
	;; [unrolled: 1-line block ×4, first 2 shown]
	s_and_b32 s15, s3, s1
	s_delay_alu instid0(SALU_CYCLE_1)
	s_and_saveexec_b32 s1, s15
	s_cbranch_execz .LBB114_22
; %bb.19:                               ;   in Loop: Header=BB114_18 Depth=1
	v_mbcnt_lo_u32_b32 v6, exec_lo, 0
	s_mov_b32 s15, exec_lo
	s_delay_alu instid0(VALU_DEP_1)
	v_cmpx_eq_u32_e32 0, v6
	s_cbranch_execz .LBB114_21
; %bb.20:                               ;   in Loop: Header=BB114_18 Depth=1
	v_mov_b64_e32 v[6:7], s[28:29]
	global_atomic_min_u64 v13, v[6:7], s[8:9] scope:SCOPE_DEV
.LBB114_21:                             ;   in Loop: Header=BB114_18 Depth=1
	s_wait_xcnt 0x0
	s_or_b32 exec_lo, exec_lo, s15
	v_mov_b64_e32 v[8:9], 1.0
	v_mov_b64_e32 v[6:7], 0
.LBB114_22:                             ;   in Loop: Header=BB114_18 Depth=1
	s_or_b32 exec_lo, exec_lo, s1
	s_mov_b32 s33, -1
	s_mov_b32 s1, 0
	s_cmp_lt_i32 s13, 1
	s_mov_b32 s15, 0
                                        ; implicit-def: $vgpr24_vgpr25
                                        ; implicit-def: $vgpr26_vgpr27
	s_cbranch_scc0 .LBB114_29
; %bb.23:                               ;   in Loop: Header=BB114_18 Depth=1
	s_and_b32 vcc_lo, exec_lo, s33
	s_mov_b32 s17, 4
	s_cbranch_vccnz .LBB114_36
.LBB114_24:                             ;   in Loop: Header=BB114_18 Depth=1
	v_mov_b64_e32 v[30:31], v[4:5]
	v_mov_b64_e32 v[28:29], v[2:3]
	s_and_b32 vcc_lo, exec_lo, s15
	s_cbranch_vccnz .LBB114_41
.LBB114_25:                             ;   in Loop: Header=BB114_18 Depth=1
	s_and_b32 vcc_lo, exec_lo, s1
	s_cbranch_vccnz .LBB114_46
.LBB114_26:                             ;   in Loop: Header=BB114_18 Depth=1
	s_mov_b32 s0, -1
	s_cmp_gt_i32 s17, 3
	s_mov_b32 s1, -1
	s_cbranch_scc0 .LBB114_49
.LBB114_27:                             ;   in Loop: Header=BB114_18 Depth=1
	s_and_not1_b32 vcc_lo, exec_lo, s1
	s_cbranch_vccz .LBB114_50
.LBB114_28:                             ;   in Loop: Header=BB114_18 Depth=1
	s_delay_alu instid0(VALU_DEP_1) | instskip(NEXT) | instid1(VALU_DEP_2)
	v_mov_b64_e32 v[4:5], v[30:31]
	v_mov_b64_e32 v[2:3], v[28:29]
	s_and_not1_b32 vcc_lo, exec_lo, s0
	s_cbranch_vccnz .LBB114_51
	s_branch .LBB114_57
.LBB114_29:                             ;   in Loop: Header=BB114_18 Depth=1
	s_cmp_eq_u32 s13, 1
	s_mov_b32 s15, -1
                                        ; implicit-def: $vgpr24_vgpr25
                                        ; implicit-def: $vgpr26_vgpr27
	s_cbranch_scc0 .LBB114_35
; %bb.30:                               ;   in Loop: Header=BB114_18 Depth=1
	v_cmp_ge_i64_e64 s15, s[34:35], s[20:21]
	v_mov_b64_e32 v[24:25], v[22:23]
	v_mov_b64_e32 v[26:27], v[20:21]
	s_and_b32 vcc_lo, exec_lo, s15
	s_mov_b32 s15, 0
	s_cbranch_vccz .LBB114_35
; %bb.31:                               ;   in Loop: Header=BB114_18 Depth=1
	s_and_b32 vcc_lo, exec_lo, s17
	s_mov_b32 s15, -1
                                        ; implicit-def: $vgpr24_vgpr25
                                        ; implicit-def: $vgpr26_vgpr27
	s_cbranch_vccz .LBB114_35
; %bb.32:                               ;   in Loop: Header=BB114_18 Depth=1
	v_mov_b64_e32 v[24:25], v[22:23]
	v_mov_b64_e32 v[26:27], v[20:21]
	s_and_not1_b32 vcc_lo, exec_lo, s12
	s_cbranch_vccnz .LBB114_34
; %bb.33:                               ;   in Loop: Header=BB114_18 Depth=1
	v_mul_f64_e32 v[24:25], v[6:7], v[6:7]
	s_delay_alu instid0(VALU_DEP_1) | instskip(NEXT) | instid1(VALU_DEP_1)
	v_fmac_f64_e32 v[24:25], v[8:9], v[8:9]
	v_div_scale_f64 v[26:27], null, v[24:25], v[24:25], 1.0
	v_div_scale_f64 v[34:35], vcc_lo, 1.0, v[24:25], 1.0
	s_delay_alu instid0(VALU_DEP_2) | instskip(SKIP_1) | instid1(TRANS32_DEP_1)
	v_rcp_f64_e32 v[28:29], v[26:27]
	v_nop
	v_fma_f64 v[30:31], -v[26:27], v[28:29], 1.0
	s_delay_alu instid0(VALU_DEP_1) | instskip(NEXT) | instid1(VALU_DEP_1)
	v_fmac_f64_e32 v[28:29], v[28:29], v[30:31]
	v_fma_f64 v[30:31], -v[26:27], v[28:29], 1.0
	s_delay_alu instid0(VALU_DEP_1) | instskip(NEXT) | instid1(VALU_DEP_1)
	v_fmac_f64_e32 v[28:29], v[28:29], v[30:31]
	v_mul_f64_e32 v[30:31], v[34:35], v[28:29]
	s_delay_alu instid0(VALU_DEP_1) | instskip(NEXT) | instid1(VALU_DEP_1)
	v_fma_f64 v[26:27], -v[26:27], v[30:31], v[34:35]
	v_div_fmas_f64 v[26:27], v[26:27], v[28:29], v[30:31]
	v_fma_f64 v[28:29], 0, v[6:7], v[8:9]
	v_fma_f64 v[30:31], v[8:9], 0, -v[6:7]
	s_delay_alu instid0(VALU_DEP_3) | instskip(NEXT) | instid1(VALU_DEP_1)
	v_div_fixup_f64 v[24:25], v[26:27], v[24:25], 1.0
	v_mul_f64_e32 v[26:27], v[28:29], v[24:25]
	s_delay_alu instid0(VALU_DEP_3)
	v_mul_f64_e32 v[24:25], v[30:31], v[24:25]
.LBB114_34:                             ;   in Loop: Header=BB114_18 Depth=1
	s_mov_b32 s15, 0
.LBB114_35:                             ;   in Loop: Header=BB114_18 Depth=1
	s_mov_b32 s17, 4
	s_branch .LBB114_24
.LBB114_36:                             ;   in Loop: Header=BB114_18 Depth=1
	s_cmp_eq_u32 s13, 0
	s_cbranch_scc1 .LBB114_38
; %bb.37:                               ;   in Loop: Header=BB114_18 Depth=1
	s_mov_b32 s15, -1
	s_branch .LBB114_40
.LBB114_38:                             ;   in Loop: Header=BB114_18 Depth=1
	v_cmp_le_i64_e64 s15, s[34:35], s[20:21]
	s_and_b32 vcc_lo, exec_lo, s15
	s_mov_b32 s15, 0
	s_cbranch_vccz .LBB114_40
; %bb.39:                               ;   in Loop: Header=BB114_18 Depth=1
	s_mov_b32 s1, -1
	s_mov_b32 s15, s0
.LBB114_40:                             ;   in Loop: Header=BB114_18 Depth=1
	v_mov_b64_e32 v[24:25], v[22:23]
	v_mov_b64_e32 v[26:27], v[20:21]
	s_mov_b32 s17, 2
	v_mov_b64_e32 v[30:31], v[4:5]
	v_mov_b64_e32 v[28:29], v[2:3]
	s_and_b32 vcc_lo, exec_lo, s15
	s_cbranch_vccz .LBB114_25
.LBB114_41:                             ;   in Loop: Header=BB114_18 Depth=1
	s_and_saveexec_b32 s15, s3
	s_cbranch_execz .LBB114_43
; %bb.42:                               ;   in Loop: Header=BB114_18 Depth=1
	s_lshl_b64 s[0:1], s[34:35], 2
	s_delay_alu instid0(SALU_CYCLE_1)
	s_add_nc_u64 s[0:1], s[26:27], s[0:1]
	global_load_b32 v12, v13, s[0:1] scope:SCOPE_DEV
	s_wait_loadcnt 0x0
	v_cmp_ne_u32_e32 vcc_lo, 0, v12
	s_cbranch_vccz .LBB114_52
.LBB114_43:                             ;   in Loop: Header=BB114_18 Depth=1
	s_wait_xcnt 0x0
	s_or_b32 exec_lo, exec_lo, s15
	v_mov_b64_e32 v[30:31], 0
	v_mov_b64_e32 v[28:29], 0
	s_wait_storecnt 0x0
	s_barrier_signal -1
	s_barrier_wait -1
	global_inv scope:SCOPE_DEV
	s_and_saveexec_b32 s0, s2
	s_cbranch_execz .LBB114_45
; %bb.44:                               ;   in Loop: Header=BB114_18 Depth=1
	s_mul_u64 s[34:35], s[34:35], s[10:11]
	s_delay_alu instid0(SALU_CYCLE_1) | instskip(SKIP_4) | instid1(VALU_DEP_2)
	v_lshl_add_u64 v[24:25], s[34:35], 4, v[10:11]
	global_load_b128 v[24:27], v[24:25], off
	s_wait_loadcnt 0x0
	v_fma_f64 v[28:29], -v[8:9], v[24:25], v[2:3]
	v_fma_f64 v[24:25], -v[6:7], v[24:25], v[4:5]
	v_fmac_f64_e32 v[28:29], v[6:7], v[26:27]
	s_delay_alu instid0(VALU_DEP_2)
	v_fma_f64 v[30:31], -v[8:9], v[26:27], v[24:25]
.LBB114_45:                             ;   in Loop: Header=BB114_18 Depth=1
	s_or_b32 exec_lo, exec_lo, s0
	v_mov_b64_e32 v[24:25], v[22:23]
	v_mov_b64_e32 v[26:27], v[20:21]
	s_mov_b32 s17, 0
	s_branch .LBB114_26
.LBB114_46:                             ;   in Loop: Header=BB114_18 Depth=1
	s_and_not1_b32 vcc_lo, exec_lo, s12
	s_cbranch_vccnz .LBB114_48
; %bb.47:                               ;   in Loop: Header=BB114_18 Depth=1
	v_mul_f64_e32 v[20:21], v[6:7], v[6:7]
	s_delay_alu instid0(VALU_DEP_1) | instskip(NEXT) | instid1(VALU_DEP_1)
	v_fmac_f64_e32 v[20:21], v[8:9], v[8:9]
	v_div_scale_f64 v[22:23], null, v[20:21], v[20:21], 1.0
	v_div_scale_f64 v[28:29], vcc_lo, 1.0, v[20:21], 1.0
	s_delay_alu instid0(VALU_DEP_2) | instskip(SKIP_1) | instid1(TRANS32_DEP_1)
	v_rcp_f64_e32 v[24:25], v[22:23]
	v_nop
	v_fma_f64 v[26:27], -v[22:23], v[24:25], 1.0
	s_delay_alu instid0(VALU_DEP_1) | instskip(NEXT) | instid1(VALU_DEP_1)
	v_fmac_f64_e32 v[24:25], v[24:25], v[26:27]
	v_fma_f64 v[26:27], -v[22:23], v[24:25], 1.0
	s_delay_alu instid0(VALU_DEP_1) | instskip(NEXT) | instid1(VALU_DEP_1)
	v_fmac_f64_e32 v[24:25], v[24:25], v[26:27]
	v_mul_f64_e32 v[26:27], v[28:29], v[24:25]
	s_delay_alu instid0(VALU_DEP_1) | instskip(NEXT) | instid1(VALU_DEP_1)
	v_fma_f64 v[22:23], -v[22:23], v[26:27], v[28:29]
	v_div_fmas_f64 v[22:23], v[22:23], v[24:25], v[26:27]
	v_fma_f64 v[24:25], 0, v[6:7], v[8:9]
	v_fma_f64 v[6:7], v[8:9], 0, -v[6:7]
	s_delay_alu instid0(VALU_DEP_3) | instskip(NEXT) | instid1(VALU_DEP_1)
	v_div_fixup_f64 v[22:23], v[22:23], v[20:21], 1.0
	v_mul_f64_e32 v[20:21], v[24:25], v[22:23]
	s_delay_alu instid0(VALU_DEP_3)
	v_mul_f64_e32 v[22:23], v[6:7], v[22:23]
.LBB114_48:                             ;   in Loop: Header=BB114_18 Depth=1
	s_delay_alu instid0(VALU_DEP_2) | instskip(NEXT) | instid1(VALU_DEP_2)
	v_mov_b64_e32 v[26:27], v[20:21]
	v_mov_b64_e32 v[24:25], v[22:23]
	;; [unrolled: 1-line block ×4, first 2 shown]
	s_mov_b32 s17, 2
	s_mov_b32 s0, -1
	s_cmp_gt_i32 s17, 3
	s_mov_b32 s1, -1
	s_cbranch_scc1 .LBB114_27
.LBB114_49:                             ;   in Loop: Header=BB114_18 Depth=1
	s_cmp_eq_u32 s17, 0
	s_cselect_b32 s1, -1, 0
	s_delay_alu instid0(SALU_CYCLE_1)
	s_and_not1_b32 vcc_lo, exec_lo, s1
	s_cbranch_vccnz .LBB114_28
.LBB114_50:                             ;   in Loop: Header=BB114_18 Depth=1
	s_add_nc_u64 s[30:31], s[30:31], 1
	s_delay_alu instid0(SALU_CYCLE_1) | instskip(NEXT) | instid1(VALU_DEP_2)
	v_cmp_ge_i64_e64 s0, s[30:31], s[18:19]
	v_mov_b64_e32 v[4:5], v[30:31]
	s_delay_alu instid0(VALU_DEP_3)
	v_mov_b64_e32 v[2:3], v[28:29]
	s_and_not1_b32 vcc_lo, exec_lo, s0
	s_cbranch_vccz .LBB114_57
.LBB114_51:                             ;   in Loop: Header=BB114_18 Depth=1
	s_delay_alu instid0(VALU_DEP_4) | instskip(NEXT) | instid1(VALU_DEP_4)
	v_mov_b64_e32 v[22:23], v[24:25]
	v_mov_b64_e32 v[20:21], v[26:27]
	s_sub_co_i32 s0, s30, s16
	s_delay_alu instid0(SALU_CYCLE_1) | instskip(NEXT) | instid1(SALU_CYCLE_1)
	s_and_b32 s0, s0, 63
	s_cmp_lg_u32 s0, 0
	s_cbranch_scc1 .LBB114_18
	s_branch .LBB114_15
.LBB114_52:                             ;   in Loop: Header=BB114_18 Depth=1
	s_mov_b32 s17, 0
	s_branch .LBB114_54
.LBB114_53:                             ;   in Loop: Header=BB114_54 Depth=2
	global_load_b32 v12, v13, s[0:1] scope:SCOPE_DEV
	s_cmp_lt_u32 s17, 0xf43
	s_cselect_b32 s33, -1, 0
	s_delay_alu instid0(SALU_CYCLE_1)
	s_cmp_lg_u32 s33, 0
	s_add_co_ci_u32 s17, s17, 0
	s_wait_loadcnt 0x0
	v_cmp_ne_u32_e32 vcc_lo, 0, v12
	s_cbranch_vccnz .LBB114_43
.LBB114_54:                             ;   Parent Loop BB114_18 Depth=1
                                        ; =>  This Loop Header: Depth=2
                                        ;       Child Loop BB114_55 Depth 3
	s_cmp_eq_u32 s17, 0
	s_mov_b32 s33, s17
	s_cbranch_scc1 .LBB114_53
.LBB114_55:                             ;   Parent Loop BB114_18 Depth=1
                                        ;     Parent Loop BB114_54 Depth=2
                                        ; =>    This Inner Loop Header: Depth=3
	s_add_co_i32 s33, s33, -1
	s_sleep 1
	s_cmp_eq_u32 s33, 0
	s_cbranch_scc0 .LBB114_55
	s_branch .LBB114_53
.LBB114_56:
	v_mov_b64_e32 v[26:27], 1.0
	v_mov_b64_e32 v[24:25], 0
.LBB114_57:
	s_cmp_lg_u32 s14, 0
	s_cbranch_scc0 .LBB114_64
; %bb.58:
	s_and_saveexec_b32 s0, s2
	s_cbranch_execz .LBB114_60
.LBB114_59:
	s_wait_loadcnt_dscnt 0x0
	v_lshl_add_u64 v[6:7], s[22:23], 4, v[10:11]
	global_store_b128 v[6:7], v[2:5], off
.LBB114_60:
	s_wait_xcnt 0x0
	s_or_b32 exec_lo, exec_lo, s0
	global_wb scope:SCOPE_DEV
	s_wait_storecnt 0x0
	s_wait_loadcnt_dscnt 0x0
	global_inv scope:SCOPE_DEV
	s_wait_loadcnt 0x0
	s_barrier_signal -1
	s_barrier_wait -1
	s_mov_b32 s0, exec_lo
	v_cmpx_eq_u32_e32 0, v0
	s_cbranch_execz .LBB114_62
; %bb.61:
	s_lshl_b64 s[0:1], s[20:21], 2
	v_dual_mov_b32 v0, 0 :: v_dual_mov_b32 v1, 1
	s_add_nc_u64 s[0:1], s[6:7], s[0:1]
	s_lshl_b64 s[2:3], s[4:5], 2
	s_delay_alu instid0(SALU_CYCLE_1)
	s_add_nc_u64 s[0:1], s[0:1], s[2:3]
	global_store_b32 v0, v1, s[0:1] scope:SCOPE_DEV
.LBB114_62:
	s_endpgm
.LBB114_63:
                                        ; implicit-def: $sgpr22_sgpr23
	s_clause 0x1
	s_load_b64 s[8:9], s[0:1], 0x58
	s_load_b64 s[16:17], s[0:1], 0x28
	s_branch .LBB114_4
.LBB114_64:
	s_wait_loadcnt_dscnt 0x0
	s_delay_alu instid0(VALU_DEP_1) | instskip(SKIP_1) | instid1(VALU_DEP_2)
	v_mul_f64_e64 v[6:7], v[24:25], -v[4:5]
	v_mul_f64_e32 v[8:9], v[24:25], v[2:3]
	v_fmac_f64_e32 v[6:7], v[2:3], v[26:27]
	s_delay_alu instid0(VALU_DEP_2) | instskip(NEXT) | instid1(VALU_DEP_2)
	v_fmac_f64_e32 v[8:9], v[4:5], v[26:27]
	v_mov_b64_e32 v[2:3], v[6:7]
	s_delay_alu instid0(VALU_DEP_2)
	v_mov_b64_e32 v[4:5], v[8:9]
	s_and_saveexec_b32 s0, s2
	s_cbranch_execnz .LBB114_59
	s_branch .LBB114_60
	.section	.rodata,"a",@progbits
	.p2align	6, 0x0
	.amdhsa_kernel _ZN9rocsparseL5csrsmILj64ELj64ELb1Ell21rocsparse_complex_numIdEEEv20rocsparse_operation_T3_S4_NS_24const_host_device_scalarIT4_EEPKT2_PKS4_PKS6_PS6_lPiSC_PS4_21rocsparse_index_base_20rocsparse_fill_mode_20rocsparse_diag_type_b
		.amdhsa_group_segment_fixed_size 1536
		.amdhsa_private_segment_fixed_size 16
		.amdhsa_kernarg_size 120
		.amdhsa_user_sgpr_count 2
		.amdhsa_user_sgpr_dispatch_ptr 0
		.amdhsa_user_sgpr_queue_ptr 0
		.amdhsa_user_sgpr_kernarg_segment_ptr 1
		.amdhsa_user_sgpr_dispatch_id 0
		.amdhsa_user_sgpr_kernarg_preload_length 0
		.amdhsa_user_sgpr_kernarg_preload_offset 0
		.amdhsa_user_sgpr_private_segment_size 0
		.amdhsa_wavefront_size32 1
		.amdhsa_uses_dynamic_stack 0
		.amdhsa_enable_private_segment 1
		.amdhsa_system_sgpr_workgroup_id_x 1
		.amdhsa_system_sgpr_workgroup_id_y 0
		.amdhsa_system_sgpr_workgroup_id_z 0
		.amdhsa_system_sgpr_workgroup_info 0
		.amdhsa_system_vgpr_workitem_id 0
		.amdhsa_next_free_vgpr 36
		.amdhsa_next_free_sgpr 36
		.amdhsa_named_barrier_count 0
		.amdhsa_reserve_vcc 1
		.amdhsa_float_round_mode_32 0
		.amdhsa_float_round_mode_16_64 0
		.amdhsa_float_denorm_mode_32 3
		.amdhsa_float_denorm_mode_16_64 3
		.amdhsa_fp16_overflow 0
		.amdhsa_memory_ordered 1
		.amdhsa_forward_progress 1
		.amdhsa_inst_pref_size 22
		.amdhsa_round_robin_scheduling 0
		.amdhsa_exception_fp_ieee_invalid_op 0
		.amdhsa_exception_fp_denorm_src 0
		.amdhsa_exception_fp_ieee_div_zero 0
		.amdhsa_exception_fp_ieee_overflow 0
		.amdhsa_exception_fp_ieee_underflow 0
		.amdhsa_exception_fp_ieee_inexact 0
		.amdhsa_exception_int_div_zero 0
	.end_amdhsa_kernel
	.section	.text._ZN9rocsparseL5csrsmILj64ELj64ELb1Ell21rocsparse_complex_numIdEEEv20rocsparse_operation_T3_S4_NS_24const_host_device_scalarIT4_EEPKT2_PKS4_PKS6_PS6_lPiSC_PS4_21rocsparse_index_base_20rocsparse_fill_mode_20rocsparse_diag_type_b,"axG",@progbits,_ZN9rocsparseL5csrsmILj64ELj64ELb1Ell21rocsparse_complex_numIdEEEv20rocsparse_operation_T3_S4_NS_24const_host_device_scalarIT4_EEPKT2_PKS4_PKS6_PS6_lPiSC_PS4_21rocsparse_index_base_20rocsparse_fill_mode_20rocsparse_diag_type_b,comdat
.Lfunc_end114:
	.size	_ZN9rocsparseL5csrsmILj64ELj64ELb1Ell21rocsparse_complex_numIdEEEv20rocsparse_operation_T3_S4_NS_24const_host_device_scalarIT4_EEPKT2_PKS4_PKS6_PS6_lPiSC_PS4_21rocsparse_index_base_20rocsparse_fill_mode_20rocsparse_diag_type_b, .Lfunc_end114-_ZN9rocsparseL5csrsmILj64ELj64ELb1Ell21rocsparse_complex_numIdEEEv20rocsparse_operation_T3_S4_NS_24const_host_device_scalarIT4_EEPKT2_PKS4_PKS6_PS6_lPiSC_PS4_21rocsparse_index_base_20rocsparse_fill_mode_20rocsparse_diag_type_b
                                        ; -- End function
	.set _ZN9rocsparseL5csrsmILj64ELj64ELb1Ell21rocsparse_complex_numIdEEEv20rocsparse_operation_T3_S4_NS_24const_host_device_scalarIT4_EEPKT2_PKS4_PKS6_PS6_lPiSC_PS4_21rocsparse_index_base_20rocsparse_fill_mode_20rocsparse_diag_type_b.num_vgpr, 36
	.set _ZN9rocsparseL5csrsmILj64ELj64ELb1Ell21rocsparse_complex_numIdEEEv20rocsparse_operation_T3_S4_NS_24const_host_device_scalarIT4_EEPKT2_PKS4_PKS6_PS6_lPiSC_PS4_21rocsparse_index_base_20rocsparse_fill_mode_20rocsparse_diag_type_b.num_agpr, 0
	.set _ZN9rocsparseL5csrsmILj64ELj64ELb1Ell21rocsparse_complex_numIdEEEv20rocsparse_operation_T3_S4_NS_24const_host_device_scalarIT4_EEPKT2_PKS4_PKS6_PS6_lPiSC_PS4_21rocsparse_index_base_20rocsparse_fill_mode_20rocsparse_diag_type_b.numbered_sgpr, 36
	.set _ZN9rocsparseL5csrsmILj64ELj64ELb1Ell21rocsparse_complex_numIdEEEv20rocsparse_operation_T3_S4_NS_24const_host_device_scalarIT4_EEPKT2_PKS4_PKS6_PS6_lPiSC_PS4_21rocsparse_index_base_20rocsparse_fill_mode_20rocsparse_diag_type_b.num_named_barrier, 0
	.set _ZN9rocsparseL5csrsmILj64ELj64ELb1Ell21rocsparse_complex_numIdEEEv20rocsparse_operation_T3_S4_NS_24const_host_device_scalarIT4_EEPKT2_PKS4_PKS6_PS6_lPiSC_PS4_21rocsparse_index_base_20rocsparse_fill_mode_20rocsparse_diag_type_b.private_seg_size, 16
	.set _ZN9rocsparseL5csrsmILj64ELj64ELb1Ell21rocsparse_complex_numIdEEEv20rocsparse_operation_T3_S4_NS_24const_host_device_scalarIT4_EEPKT2_PKS4_PKS6_PS6_lPiSC_PS4_21rocsparse_index_base_20rocsparse_fill_mode_20rocsparse_diag_type_b.uses_vcc, 1
	.set _ZN9rocsparseL5csrsmILj64ELj64ELb1Ell21rocsparse_complex_numIdEEEv20rocsparse_operation_T3_S4_NS_24const_host_device_scalarIT4_EEPKT2_PKS4_PKS6_PS6_lPiSC_PS4_21rocsparse_index_base_20rocsparse_fill_mode_20rocsparse_diag_type_b.uses_flat_scratch, 0
	.set _ZN9rocsparseL5csrsmILj64ELj64ELb1Ell21rocsparse_complex_numIdEEEv20rocsparse_operation_T3_S4_NS_24const_host_device_scalarIT4_EEPKT2_PKS4_PKS6_PS6_lPiSC_PS4_21rocsparse_index_base_20rocsparse_fill_mode_20rocsparse_diag_type_b.has_dyn_sized_stack, 0
	.set _ZN9rocsparseL5csrsmILj64ELj64ELb1Ell21rocsparse_complex_numIdEEEv20rocsparse_operation_T3_S4_NS_24const_host_device_scalarIT4_EEPKT2_PKS4_PKS6_PS6_lPiSC_PS4_21rocsparse_index_base_20rocsparse_fill_mode_20rocsparse_diag_type_b.has_recursion, 0
	.set _ZN9rocsparseL5csrsmILj64ELj64ELb1Ell21rocsparse_complex_numIdEEEv20rocsparse_operation_T3_S4_NS_24const_host_device_scalarIT4_EEPKT2_PKS4_PKS6_PS6_lPiSC_PS4_21rocsparse_index_base_20rocsparse_fill_mode_20rocsparse_diag_type_b.has_indirect_call, 0
	.section	.AMDGPU.csdata,"",@progbits
; Kernel info:
; codeLenInByte = 2792
; TotalNumSgprs: 38
; NumVgprs: 36
; ScratchSize: 16
; MemoryBound: 1
; FloatMode: 240
; IeeeMode: 1
; LDSByteSize: 1536 bytes/workgroup (compile time only)
; SGPRBlocks: 0
; VGPRBlocks: 2
; NumSGPRsForWavesPerEU: 38
; NumVGPRsForWavesPerEU: 36
; NamedBarCnt: 0
; Occupancy: 16
; WaveLimiterHint : 1
; COMPUTE_PGM_RSRC2:SCRATCH_EN: 1
; COMPUTE_PGM_RSRC2:USER_SGPR: 2
; COMPUTE_PGM_RSRC2:TRAP_HANDLER: 0
; COMPUTE_PGM_RSRC2:TGID_X_EN: 1
; COMPUTE_PGM_RSRC2:TGID_Y_EN: 0
; COMPUTE_PGM_RSRC2:TGID_Z_EN: 0
; COMPUTE_PGM_RSRC2:TIDIG_COMP_CNT: 0
	.section	.text._ZN9rocsparseL5csrsmILj64ELj64ELb0Ell21rocsparse_complex_numIdEEEv20rocsparse_operation_T3_S4_NS_24const_host_device_scalarIT4_EEPKT2_PKS4_PKS6_PS6_lPiSC_PS4_21rocsparse_index_base_20rocsparse_fill_mode_20rocsparse_diag_type_b,"axG",@progbits,_ZN9rocsparseL5csrsmILj64ELj64ELb0Ell21rocsparse_complex_numIdEEEv20rocsparse_operation_T3_S4_NS_24const_host_device_scalarIT4_EEPKT2_PKS4_PKS6_PS6_lPiSC_PS4_21rocsparse_index_base_20rocsparse_fill_mode_20rocsparse_diag_type_b,comdat
	.globl	_ZN9rocsparseL5csrsmILj64ELj64ELb0Ell21rocsparse_complex_numIdEEEv20rocsparse_operation_T3_S4_NS_24const_host_device_scalarIT4_EEPKT2_PKS4_PKS6_PS6_lPiSC_PS4_21rocsparse_index_base_20rocsparse_fill_mode_20rocsparse_diag_type_b ; -- Begin function _ZN9rocsparseL5csrsmILj64ELj64ELb0Ell21rocsparse_complex_numIdEEEv20rocsparse_operation_T3_S4_NS_24const_host_device_scalarIT4_EEPKT2_PKS4_PKS6_PS6_lPiSC_PS4_21rocsparse_index_base_20rocsparse_fill_mode_20rocsparse_diag_type_b
	.p2align	8
	.type	_ZN9rocsparseL5csrsmILj64ELj64ELb0Ell21rocsparse_complex_numIdEEEv20rocsparse_operation_T3_S4_NS_24const_host_device_scalarIT4_EEPKT2_PKS4_PKS6_PS6_lPiSC_PS4_21rocsparse_index_base_20rocsparse_fill_mode_20rocsparse_diag_type_b,@function
_ZN9rocsparseL5csrsmILj64ELj64ELb0Ell21rocsparse_complex_numIdEEEv20rocsparse_operation_T3_S4_NS_24const_host_device_scalarIT4_EEPKT2_PKS4_PKS6_PS6_lPiSC_PS4_21rocsparse_index_base_20rocsparse_fill_mode_20rocsparse_diag_type_b: ; @_ZN9rocsparseL5csrsmILj64ELj64ELb0Ell21rocsparse_complex_numIdEEEv20rocsparse_operation_T3_S4_NS_24const_host_device_scalarIT4_EEPKT2_PKS4_PKS6_PS6_lPiSC_PS4_21rocsparse_index_base_20rocsparse_fill_mode_20rocsparse_diag_type_b
; %bb.0:
	s_clause 0x1
	s_load_b128 s[12:15], s[0:1], 0x68
	s_load_b256 s[4:11], s[0:1], 0x8
	v_mbcnt_lo_u32_b32 v1, -1, 0
	s_mov_b32 s3, 0
	s_delay_alu instid0(VALU_DEP_1) | instskip(NEXT) | instid1(VALU_DEP_1)
	v_dual_mov_b32 v2, 0 :: v_dual_lshlrev_b32 v3, 20, v1
	v_add_nc_u64_e32 v[2:3], src_flat_scratch_base_lo, v[2:3]
	s_wait_kmcnt 0x0
	s_bitcmp1_b32 s15, 0
	v_mov_b64_e32 v[4:5], s[8:9]
	s_cselect_b32 vcc_lo, -1, 0
	v_mov_b64_e32 v[8:9], s[10:11]
	s_delay_alu instid0(VALU_DEP_3)
	v_cndmask_b32_e32 v3, s9, v3, vcc_lo
	v_cndmask_b32_e32 v2, s8, v2, vcc_lo
	s_and_b32 vcc_lo, exec_lo, vcc_lo
	scratch_store_b64 off, v[4:5], off
	flat_load_b64 v[6:7], v[2:3]
	s_cbranch_vccnz .LBB115_2
; %bb.1:
	v_mov_b32_e32 v1, 0
	flat_load_b64 v[8:9], v1, s[8:9] offset:8
.LBB115_2:
	s_bfe_u32 s2, ttmp6, 0x4000c
	s_wait_xcnt 0x0
	s_and_b32 s8, ttmp6, 15
	s_add_co_i32 s2, s2, 1
	s_getreg_b32 s9, hwreg(HW_REG_IB_STS2, 6, 4)
	s_mul_i32 s2, ttmp9, s2
	s_delay_alu instid0(SALU_CYCLE_1) | instskip(SKIP_3) | instid1(SALU_CYCLE_1)
	s_add_co_i32 s8, s8, s2
	s_cmp_eq_u32 s9, 0
	s_cselect_b32 s2, ttmp9, s8
	s_and_b64 s[8:9], s[4:5], 0xffffffff00000000
	s_cmp_lg_u64 s[8:9], 0
	s_cbranch_scc0 .LBB115_60
; %bb.3:
	s_ashr_i32 s8, s5, 31
	s_delay_alu instid0(SALU_CYCLE_1) | instskip(NEXT) | instid1(SALU_CYCLE_1)
	s_mov_b32 s9, s8
	s_add_nc_u64 s[10:11], s[4:5], s[8:9]
	s_delay_alu instid0(SALU_CYCLE_1) | instskip(NEXT) | instid1(SALU_CYCLE_1)
	s_xor_b64 s[16:17], s[10:11], s[8:9]
	s_cvt_f32_u32 s10, s16
	s_cvt_f32_u32 s11, s17
	s_sub_nc_u64 s[20:21], 0, s[16:17]
	s_delay_alu instid0(SALU_CYCLE_2) | instskip(NEXT) | instid1(SALU_CYCLE_3)
	s_fmamk_f32 s10, s11, 0x4f800000, s10
	v_s_rcp_f32 s10, s10
	s_delay_alu instid0(TRANS32_DEP_1) | instskip(NEXT) | instid1(SALU_CYCLE_3)
	s_mul_f32 s10, s10, 0x5f7ffffc
	s_mul_f32 s11, s10, 0x2f800000
	s_delay_alu instid0(SALU_CYCLE_3) | instskip(NEXT) | instid1(SALU_CYCLE_3)
	s_trunc_f32 s11, s11
	s_fmamk_f32 s10, s11, 0xcf800000, s10
	s_cvt_u32_f32 s19, s11
	s_mov_b32 s11, 0
	s_delay_alu instid0(SALU_CYCLE_1) | instskip(NEXT) | instid1(SALU_CYCLE_3)
	s_cvt_u32_f32 s18, s10
	s_mul_u64 s[22:23], s[20:21], s[18:19]
	s_delay_alu instid0(SALU_CYCLE_1)
	s_mul_hi_u32 s25, s18, s23
	s_mul_i32 s24, s18, s23
	s_mul_hi_u32 s10, s18, s22
	s_mul_i32 s26, s19, s22
	s_add_nc_u64 s[24:25], s[10:11], s[24:25]
	s_mul_hi_u32 s15, s19, s22
	s_mul_hi_u32 s27, s19, s23
	s_add_co_u32 s10, s24, s26
	s_add_co_ci_u32 s10, s25, s15
	s_mul_i32 s22, s19, s23
	s_add_co_ci_u32 s23, s27, 0
	s_delay_alu instid0(SALU_CYCLE_1) | instskip(NEXT) | instid1(SALU_CYCLE_1)
	s_add_nc_u64 s[22:23], s[10:11], s[22:23]
	s_add_co_u32 s18, s18, s22
	s_cselect_b32 s10, -1, 0
	s_delay_alu instid0(SALU_CYCLE_1) | instskip(SKIP_1) | instid1(SALU_CYCLE_1)
	s_cmp_lg_u32 s10, 0
	s_add_co_ci_u32 s19, s19, s23
	s_mul_u64 s[20:21], s[20:21], s[18:19]
	s_delay_alu instid0(SALU_CYCLE_1)
	s_mul_hi_u32 s23, s18, s21
	s_mul_i32 s22, s18, s21
	s_mul_hi_u32 s10, s18, s20
	s_mul_i32 s24, s19, s20
	s_add_nc_u64 s[22:23], s[10:11], s[22:23]
	s_mul_hi_u32 s15, s19, s20
	s_mul_hi_u32 s25, s19, s21
	s_add_co_u32 s10, s22, s24
	s_add_co_ci_u32 s10, s23, s15
	s_mul_i32 s20, s19, s21
	s_add_co_ci_u32 s21, s25, 0
	s_add_nc_u64 s[22:23], s[2:3], 0
	s_add_nc_u64 s[20:21], s[10:11], s[20:21]
	s_delay_alu instid0(SALU_CYCLE_1) | instskip(SKIP_1) | instid1(SALU_CYCLE_1)
	s_add_co_u32 s15, s18, s20
	s_cselect_b32 s10, -1, 0
	s_cmp_lg_u32 s10, 0
	s_add_co_ci_u32 s24, s19, s21
	s_xor_b64 s[18:19], s[22:23], 0
	s_delay_alu instid0(SALU_CYCLE_1)
	s_mul_hi_u32 s21, s18, s24
	s_mul_i32 s20, s18, s24
	s_mul_hi_u32 s10, s18, s15
	s_mul_hi_u32 s25, s19, s15
	s_mul_i32 s15, s19, s15
	s_add_nc_u64 s[20:21], s[10:11], s[20:21]
	s_mul_hi_u32 s23, s19, s24
	s_add_co_u32 s10, s20, s15
	s_add_co_ci_u32 s10, s21, s25
	s_mul_i32 s22, s19, s24
	s_add_co_ci_u32 s23, s23, 0
	s_delay_alu instid0(SALU_CYCLE_1) | instskip(NEXT) | instid1(SALU_CYCLE_1)
	s_add_nc_u64 s[20:21], s[10:11], s[22:23]
	s_and_b64 s[22:23], s[20:21], 0xffffffff00000000
	s_delay_alu instid0(SALU_CYCLE_1) | instskip(NEXT) | instid1(SALU_CYCLE_1)
	s_or_b32 s22, s22, s20
	s_mul_u64 s[20:21], s[16:17], s[22:23]
	s_delay_alu instid0(SALU_CYCLE_1)
	s_sub_co_u32 s10, s18, s20
	s_cselect_b32 s15, -1, 0
	s_sub_co_i32 s18, s19, s21
	s_cmp_lg_u32 s15, 0
	s_sub_co_ci_u32 s18, s18, s17
	s_sub_co_u32 s20, s10, s16
	s_cselect_b32 s24, -1, 0
	s_delay_alu instid0(SALU_CYCLE_1) | instskip(SKIP_2) | instid1(SALU_CYCLE_1)
	s_cmp_lg_u32 s24, 0
	s_add_nc_u64 s[24:25], s[22:23], 1
	s_sub_co_ci_u32 s18, s18, 0
	s_cmp_ge_u32 s18, s17
	s_cselect_b32 s26, -1, 0
	s_cmp_ge_u32 s20, s16
	s_cselect_b32 s20, -1, 0
	s_cmp_eq_u32 s18, s17
	s_cselect_b32 s18, s20, s26
	s_add_nc_u64 s[26:27], s[22:23], 2
	s_cmp_lg_u32 s18, 0
	s_cselect_b32 s18, s26, s24
	s_cselect_b32 s20, s27, s25
	s_cmp_lg_u32 s15, 0
	s_sub_co_ci_u32 s15, s19, s21
	s_delay_alu instid0(SALU_CYCLE_1)
	s_cmp_ge_u32 s15, s17
	s_cselect_b32 s19, -1, 0
	s_cmp_ge_u32 s10, s16
	s_cselect_b32 s10, -1, 0
	s_cmp_eq_u32 s15, s17
	s_cselect_b32 s10, s10, s19
	s_delay_alu instid0(SALU_CYCLE_1) | instskip(SKIP_3) | instid1(SALU_CYCLE_1)
	s_cmp_lg_u32 s10, 0
	s_cselect_b32 s17, s20, s23
	s_cselect_b32 s16, s18, s22
	s_xor_b64 s[8:9], 0, s[8:9]
	s_xor_b64 s[16:17], s[16:17], s[8:9]
	s_delay_alu instid0(SALU_CYCLE_1)
	s_sub_nc_u64 s[22:23], s[16:17], s[8:9]
	s_clause 0x1
	s_load_b64 s[8:9], s[0:1], 0x58
	s_load_b64 s[16:17], s[0:1], 0x28
	s_cbranch_execnz .LBB115_5
.LBB115_4:
	v_cvt_f32_u32_e32 v1, s4
	s_sub_co_i32 s11, 0, s4
	s_mov_b32 s23, 0
	s_delay_alu instid0(VALU_DEP_1) | instskip(SKIP_1) | instid1(TRANS32_DEP_1)
	v_rcp_iflag_f32_e32 v1, v1
	v_nop
	v_mul_f32_e32 v1, 0x4f7ffffe, v1
	s_delay_alu instid0(VALU_DEP_1) | instskip(NEXT) | instid1(VALU_DEP_1)
	v_cvt_u32_f32_e32 v1, v1
	v_readfirstlane_b32 s10, v1
	s_mul_i32 s11, s11, s10
	s_delay_alu instid0(SALU_CYCLE_1) | instskip(NEXT) | instid1(SALU_CYCLE_1)
	s_mul_hi_u32 s11, s10, s11
	s_add_co_i32 s10, s10, s11
	s_delay_alu instid0(SALU_CYCLE_1) | instskip(NEXT) | instid1(SALU_CYCLE_1)
	s_mul_hi_u32 s10, s2, s10
	s_mul_i32 s11, s10, s4
	s_add_co_i32 s15, s10, 1
	s_sub_co_i32 s11, s2, s11
	s_delay_alu instid0(SALU_CYCLE_1)
	s_sub_co_i32 s18, s11, s4
	s_cmp_ge_u32 s11, s4
	s_cselect_b32 s10, s15, s10
	s_cselect_b32 s11, s18, s11
	s_add_co_i32 s15, s10, 1
	s_cmp_ge_u32 s11, s4
	s_cselect_b32 s22, s15, s10
.LBB115_5:
	s_delay_alu instid0(SALU_CYCLE_1)
	s_mul_u64 s[4:5], s[22:23], s[4:5]
	s_load_b32 s15, s[0:1], 0x0
	s_sub_nc_u64 s[2:3], s[2:3], s[4:5]
	v_mov_b32_e32 v1, 0
	s_lshl_b64 s[2:3], s[2:3], 3
	s_wait_kmcnt 0x0
	s_add_nc_u64 s[2:3], s[8:9], s[2:3]
	s_load_b64 s[20:21], s[2:3], 0x0
	s_load_b128 s[8:11], s[0:1], 0x40
	s_wait_kmcnt 0x0
	s_lshl_b64 s[2:3], s[20:21], 3
	s_delay_alu instid0(SALU_CYCLE_1)
	s_add_nc_u64 s[2:3], s[16:17], s[2:3]
	s_load_b128 s[16:19], s[2:3], 0x0
	s_wait_xcnt 0x0
	s_lshl_b64 s[2:3], s[22:23], 6
	s_mul_u64 s[22:23], s[20:21], s[10:11]
	v_dual_mov_b32 v11, s3 :: v_dual_bitop2_b32 v10, s2, v0 bitop3:0x54
	s_cmp_lg_u32 s15, 0x71
	s_delay_alu instid0(VALU_DEP_1)
	v_add_nc_u64_e32 v[12:13], s[22:23], v[10:11]
	v_cmp_gt_i64_e64 s2, s[6:7], v[10:11]
	s_cbranch_scc0 .LBB115_9
; %bb.6:
	v_mov_b64_e32 v[4:5], 0
	v_mov_b64_e32 v[2:3], 0
	s_and_saveexec_b32 s3, s2
	s_cbranch_execz .LBB115_8
; %bb.7:
	v_lshl_add_u64 v[2:3], v[12:13], 4, s[8:9]
	global_load_b128 v[14:17], v[2:3], off
	s_wait_loadcnt_dscnt 0x0
	v_mul_f64_e64 v[2:3], v[16:17], -v[8:9]
	v_mul_f64_e32 v[4:5], v[6:7], v[16:17]
	s_delay_alu instid0(VALU_DEP_2) | instskip(NEXT) | instid1(VALU_DEP_2)
	v_fmac_f64_e32 v[2:3], v[6:7], v[14:15]
	v_fmac_f64_e32 v[4:5], v[8:9], v[14:15]
.LBB115_8:
	s_or_b32 exec_lo, exec_lo, s3
	s_cbranch_execz .LBB115_10
	s_branch .LBB115_13
.LBB115_9:
                                        ; implicit-def: $vgpr4_vgpr5
.LBB115_10:
	v_mov_b64_e32 v[4:5], 0
	v_mov_b64_e32 v[2:3], 0
	s_and_saveexec_b32 s3, s2
	s_cbranch_execz .LBB115_12
; %bb.11:
	v_lshl_add_u64 v[2:3], v[12:13], 4, s[8:9]
	global_load_b128 v[12:15], v[2:3], off
	s_wait_loadcnt_dscnt 0x0
	v_mul_f64_e32 v[2:3], v[8:9], v[14:15]
	v_mul_f64_e64 v[4:5], v[6:7], -v[14:15]
	s_delay_alu instid0(VALU_DEP_2) | instskip(NEXT) | instid1(VALU_DEP_2)
	v_fmac_f64_e32 v[2:3], v[6:7], v[12:13]
	v_fmac_f64_e32 v[4:5], v[8:9], v[12:13]
.LBB115_12:
	s_or_b32 exec_lo, exec_lo, s3
.LBB115_13:
	s_load_b64 s[6:7], s[0:1], 0x50
	s_wait_kmcnt 0x0
	v_cmp_ge_i64_e64 s3, s[16:17], s[18:19]
	v_lshl_add_u64 v[10:11], v[10:11], 4, s[8:9]
	s_and_b32 vcc_lo, exec_lo, s3
	v_cmp_eq_u32_e64 s3, 0, v0
	s_cbranch_vccnz .LBB115_53
; %bb.14:
	s_clause 0x1
	s_load_b128 s[28:31], s[0:1], 0x30
	s_load_b64 s[8:9], s[0:1], 0x60
	v_dual_mov_b32 v13, 0 :: v_dual_lshlrev_b32 v12, 3, v0
	v_lshlrev_b32_e32 v14, 4, v0
	v_mov_b64_e32 v[20:21], 1.0
	v_mov_b64_e32 v[22:23], 0
	s_mov_b32 s25, 0
	v_mov_b32_e32 v15, v13
	s_mov_b32 s24, s12
	s_wait_xcnt 0x0
	s_lshl_b64 s[0:1], s[4:5], 2
	v_or_b32_e32 v32, 0x400, v12
	s_cmp_eq_u32 s14, 0
	s_sub_nc_u64 s[16:17], s[16:17], s[24:25]
	s_add_nc_u64 s[26:27], s[6:7], s[0:1]
	s_cselect_b32 s12, -1, 0
	s_sub_nc_u64 s[18:19], s[18:19], s[24:25]
	s_wait_kmcnt 0x0
	v_add_nc_u64_e32 v[16:17], s[28:29], v[12:13]
	v_add_nc_u64_e32 v[18:19], s[30:31], v[14:15]
	s_add_nc_u64 s[28:29], s[20:21], s[24:25]
	s_mov_b64 s[30:31], s[16:17]
	s_delay_alu instid0(SALU_CYCLE_1) | instskip(NEXT) | instid1(SALU_CYCLE_1)
	s_sub_co_i32 s0, s30, s16
	s_and_b32 s0, s0, 63
	s_delay_alu instid0(SALU_CYCLE_1)
	s_cmp_lg_u32 s0, 0
	s_cbranch_scc1 .LBB115_18
.LBB115_15:
	s_wait_loadcnt_dscnt 0x0
	v_mov_b64_e32 v[6:7], -1.0
	v_mov_b64_e32 v[8:9], 0
	v_mov_b64_e32 v[24:25], -1
	s_sub_nc_u64 s[34:35], s[18:19], s[30:31]
	s_mov_b32 s1, exec_lo
	v_cmpx_gt_i64_e64 s[34:35], v[0:1]
	s_cbranch_execz .LBB115_17
; %bb.16:
	v_lshl_add_u64 v[6:7], s[30:31], 3, v[16:17]
	global_load_b64 v[24:25], v[6:7], off
	s_wait_xcnt 0x0
	v_lshl_add_u64 v[6:7], s[30:31], 4, v[18:19]
	global_load_b128 v[6:9], v[6:7], off
	s_wait_loadcnt 0x1
	v_sub_nc_u64_e64 v[24:25], v[24:25], s[24:25]
.LBB115_17:
	s_wait_xcnt 0x0
	s_or_b32 exec_lo, exec_lo, s1
	ds_store_b64 v32, v[24:25]
	s_wait_loadcnt 0x0
	ds_store_b128 v14, v[6:9]
.LBB115_18:                             ; =>This Loop Header: Depth=1
                                        ;     Child Loop BB115_43 Depth 2
	s_lshl_b32 s1, s0, 4
	s_wait_storecnt 0x0
	s_wait_loadcnt_dscnt 0x0
	v_mov_b32_e32 v6, s1
	s_barrier_signal -1
	s_barrier_wait -1
	s_lshl_b32 s1, s0, 3
	ds_load_b128 v[24:27], v6
	v_mov_b32_e32 v6, s1
	ds_load_b64 v[6:7], v6 offset:1024
	s_wait_dscnt 0x1
	v_cmp_eq_f64_e32 vcc_lo, 0, v[24:25]
	v_cmp_eq_f64_e64 s0, 0, v[26:27]
	s_wait_dscnt 0x0
	v_readfirstlane_b32 s34, v6
	v_readfirstlane_b32 s35, v7
	s_and_b32 s1, vcc_lo, s0
	s_cmp_eq_u64 s[34:35], s[20:21]
	s_cselect_b32 s17, -1, 0
	s_cmp_lg_u64 s[34:35], s[20:21]
	s_cselect_b32 s0, -1, 0
	s_and_b32 s1, s1, s17
	s_delay_alu instid0(SALU_CYCLE_1) | instskip(NEXT) | instid1(SALU_CYCLE_1)
	s_and_b32 s1, s12, s1
	v_cndmask_b32_e64 v7, v27, 0, s1
	v_cndmask_b32_e64 v6, v26, 0, s1
	v_cndmask_b32_e64 v9, v25, 0x3ff00000, s1
	v_cndmask_b32_e64 v8, v24, 0, s1
	s_and_b32 s15, s3, s1
	s_delay_alu instid0(SALU_CYCLE_1)
	s_and_saveexec_b32 s1, s15
	s_cbranch_execz .LBB115_22
; %bb.19:                               ;   in Loop: Header=BB115_18 Depth=1
	v_mbcnt_lo_u32_b32 v6, exec_lo, 0
	s_mov_b32 s15, exec_lo
	s_delay_alu instid0(VALU_DEP_1)
	v_cmpx_eq_u32_e32 0, v6
	s_cbranch_execz .LBB115_21
; %bb.20:                               ;   in Loop: Header=BB115_18 Depth=1
	v_mov_b64_e32 v[6:7], s[28:29]
	global_atomic_min_u64 v13, v[6:7], s[8:9] scope:SCOPE_DEV
.LBB115_21:                             ;   in Loop: Header=BB115_18 Depth=1
	s_wait_xcnt 0x0
	s_or_b32 exec_lo, exec_lo, s15
	v_mov_b64_e32 v[8:9], 1.0
	v_mov_b64_e32 v[6:7], 0
.LBB115_22:                             ;   in Loop: Header=BB115_18 Depth=1
	s_or_b32 exec_lo, exec_lo, s1
	s_mov_b32 s33, -1
	s_mov_b32 s1, 0
	s_cmp_lt_i32 s13, 1
	s_mov_b32 s15, 0
                                        ; implicit-def: $vgpr24_vgpr25
                                        ; implicit-def: $vgpr26_vgpr27
	s_cbranch_scc0 .LBB115_29
; %bb.23:                               ;   in Loop: Header=BB115_18 Depth=1
	s_and_b32 vcc_lo, exec_lo, s33
	s_mov_b32 s17, 4
	s_cbranch_vccnz .LBB115_36
.LBB115_24:                             ;   in Loop: Header=BB115_18 Depth=1
	v_mov_b64_e32 v[30:31], v[4:5]
	v_mov_b64_e32 v[28:29], v[2:3]
	s_and_b32 vcc_lo, exec_lo, s15
	s_cbranch_vccnz .LBB115_41
.LBB115_25:                             ;   in Loop: Header=BB115_18 Depth=1
	s_and_b32 vcc_lo, exec_lo, s1
	s_cbranch_vccnz .LBB115_47
.LBB115_26:                             ;   in Loop: Header=BB115_18 Depth=1
	s_mov_b32 s0, -1
	s_cmp_gt_i32 s17, 3
	s_mov_b32 s1, -1
	s_cbranch_scc0 .LBB115_50
.LBB115_27:                             ;   in Loop: Header=BB115_18 Depth=1
	s_and_not1_b32 vcc_lo, exec_lo, s1
	s_cbranch_vccz .LBB115_51
.LBB115_28:                             ;   in Loop: Header=BB115_18 Depth=1
	s_delay_alu instid0(VALU_DEP_1) | instskip(NEXT) | instid1(VALU_DEP_2)
	v_mov_b64_e32 v[4:5], v[30:31]
	v_mov_b64_e32 v[2:3], v[28:29]
	s_and_not1_b32 vcc_lo, exec_lo, s0
	s_cbranch_vccnz .LBB115_52
	s_branch .LBB115_54
.LBB115_29:                             ;   in Loop: Header=BB115_18 Depth=1
	s_cmp_eq_u32 s13, 1
	s_mov_b32 s15, -1
                                        ; implicit-def: $vgpr24_vgpr25
                                        ; implicit-def: $vgpr26_vgpr27
	s_cbranch_scc0 .LBB115_35
; %bb.30:                               ;   in Loop: Header=BB115_18 Depth=1
	v_cmp_ge_i64_e64 s15, s[34:35], s[20:21]
	v_mov_b64_e32 v[24:25], v[22:23]
	v_mov_b64_e32 v[26:27], v[20:21]
	s_and_b32 vcc_lo, exec_lo, s15
	s_mov_b32 s15, 0
	s_cbranch_vccz .LBB115_35
; %bb.31:                               ;   in Loop: Header=BB115_18 Depth=1
	s_and_b32 vcc_lo, exec_lo, s17
	s_mov_b32 s15, -1
                                        ; implicit-def: $vgpr24_vgpr25
                                        ; implicit-def: $vgpr26_vgpr27
	s_cbranch_vccz .LBB115_35
; %bb.32:                               ;   in Loop: Header=BB115_18 Depth=1
	v_mov_b64_e32 v[24:25], v[22:23]
	v_mov_b64_e32 v[26:27], v[20:21]
	s_and_not1_b32 vcc_lo, exec_lo, s12
	s_cbranch_vccnz .LBB115_34
; %bb.33:                               ;   in Loop: Header=BB115_18 Depth=1
	v_mul_f64_e32 v[24:25], v[6:7], v[6:7]
	s_delay_alu instid0(VALU_DEP_1) | instskip(NEXT) | instid1(VALU_DEP_1)
	v_fmac_f64_e32 v[24:25], v[8:9], v[8:9]
	v_div_scale_f64 v[26:27], null, v[24:25], v[24:25], 1.0
	v_div_scale_f64 v[34:35], vcc_lo, 1.0, v[24:25], 1.0
	s_delay_alu instid0(VALU_DEP_2) | instskip(SKIP_1) | instid1(TRANS32_DEP_1)
	v_rcp_f64_e32 v[28:29], v[26:27]
	v_nop
	v_fma_f64 v[30:31], -v[26:27], v[28:29], 1.0
	s_delay_alu instid0(VALU_DEP_1) | instskip(NEXT) | instid1(VALU_DEP_1)
	v_fmac_f64_e32 v[28:29], v[28:29], v[30:31]
	v_fma_f64 v[30:31], -v[26:27], v[28:29], 1.0
	s_delay_alu instid0(VALU_DEP_1) | instskip(NEXT) | instid1(VALU_DEP_1)
	v_fmac_f64_e32 v[28:29], v[28:29], v[30:31]
	v_mul_f64_e32 v[30:31], v[34:35], v[28:29]
	s_delay_alu instid0(VALU_DEP_1) | instskip(NEXT) | instid1(VALU_DEP_1)
	v_fma_f64 v[26:27], -v[26:27], v[30:31], v[34:35]
	v_div_fmas_f64 v[26:27], v[26:27], v[28:29], v[30:31]
	v_fma_f64 v[28:29], 0, v[6:7], v[8:9]
	v_fma_f64 v[30:31], v[8:9], 0, -v[6:7]
	s_delay_alu instid0(VALU_DEP_3) | instskip(NEXT) | instid1(VALU_DEP_1)
	v_div_fixup_f64 v[24:25], v[26:27], v[24:25], 1.0
	v_mul_f64_e32 v[26:27], v[28:29], v[24:25]
	s_delay_alu instid0(VALU_DEP_3)
	v_mul_f64_e32 v[24:25], v[30:31], v[24:25]
.LBB115_34:                             ;   in Loop: Header=BB115_18 Depth=1
	s_mov_b32 s15, 0
.LBB115_35:                             ;   in Loop: Header=BB115_18 Depth=1
	s_mov_b32 s17, 4
	s_branch .LBB115_24
.LBB115_36:                             ;   in Loop: Header=BB115_18 Depth=1
	s_cmp_eq_u32 s13, 0
	s_cbranch_scc1 .LBB115_38
; %bb.37:                               ;   in Loop: Header=BB115_18 Depth=1
	s_mov_b32 s15, -1
	s_branch .LBB115_40
.LBB115_38:                             ;   in Loop: Header=BB115_18 Depth=1
	v_cmp_le_i64_e64 s15, s[34:35], s[20:21]
	s_and_b32 vcc_lo, exec_lo, s15
	s_mov_b32 s15, 0
	s_cbranch_vccz .LBB115_40
; %bb.39:                               ;   in Loop: Header=BB115_18 Depth=1
	s_mov_b32 s1, -1
	s_mov_b32 s15, s0
.LBB115_40:                             ;   in Loop: Header=BB115_18 Depth=1
	v_mov_b64_e32 v[24:25], v[22:23]
	v_mov_b64_e32 v[26:27], v[20:21]
	s_mov_b32 s17, 2
	v_mov_b64_e32 v[30:31], v[4:5]
	v_mov_b64_e32 v[28:29], v[2:3]
	s_and_b32 vcc_lo, exec_lo, s15
	s_cbranch_vccz .LBB115_25
.LBB115_41:                             ;   in Loop: Header=BB115_18 Depth=1
	s_and_saveexec_b32 s15, s3
	s_cbranch_execz .LBB115_44
; %bb.42:                               ;   in Loop: Header=BB115_18 Depth=1
	s_lshl_b64 s[0:1], s[34:35], 2
	s_delay_alu instid0(SALU_CYCLE_1)
	s_add_nc_u64 s[0:1], s[26:27], s[0:1]
	global_load_b32 v12, v13, s[0:1] scope:SCOPE_DEV
	s_wait_loadcnt 0x0
	v_cmp_ne_u32_e32 vcc_lo, 0, v12
	s_cbranch_vccnz .LBB115_44
.LBB115_43:                             ;   Parent Loop BB115_18 Depth=1
                                        ; =>  This Inner Loop Header: Depth=2
	global_load_b32 v12, v13, s[0:1] scope:SCOPE_DEV
	s_wait_loadcnt 0x0
	v_cmp_eq_u32_e32 vcc_lo, 0, v12
	s_cbranch_vccnz .LBB115_43
.LBB115_44:                             ;   in Loop: Header=BB115_18 Depth=1
	s_wait_xcnt 0x0
	s_or_b32 exec_lo, exec_lo, s15
	v_mov_b64_e32 v[30:31], 0
	v_mov_b64_e32 v[28:29], 0
	s_wait_storecnt 0x0
	s_barrier_signal -1
	s_barrier_wait -1
	global_inv scope:SCOPE_DEV
	s_and_saveexec_b32 s0, s2
	s_cbranch_execz .LBB115_46
; %bb.45:                               ;   in Loop: Header=BB115_18 Depth=1
	s_mul_u64 s[34:35], s[34:35], s[10:11]
	s_delay_alu instid0(SALU_CYCLE_1) | instskip(SKIP_4) | instid1(VALU_DEP_2)
	v_lshl_add_u64 v[24:25], s[34:35], 4, v[10:11]
	global_load_b128 v[24:27], v[24:25], off
	s_wait_loadcnt 0x0
	v_fma_f64 v[28:29], -v[8:9], v[24:25], v[2:3]
	v_fma_f64 v[24:25], -v[6:7], v[24:25], v[4:5]
	v_fmac_f64_e32 v[28:29], v[6:7], v[26:27]
	s_delay_alu instid0(VALU_DEP_2)
	v_fma_f64 v[30:31], -v[8:9], v[26:27], v[24:25]
.LBB115_46:                             ;   in Loop: Header=BB115_18 Depth=1
	s_or_b32 exec_lo, exec_lo, s0
	v_mov_b64_e32 v[24:25], v[22:23]
	v_mov_b64_e32 v[26:27], v[20:21]
	s_mov_b32 s17, 0
	s_branch .LBB115_26
.LBB115_47:                             ;   in Loop: Header=BB115_18 Depth=1
	s_and_not1_b32 vcc_lo, exec_lo, s12
	s_cbranch_vccnz .LBB115_49
; %bb.48:                               ;   in Loop: Header=BB115_18 Depth=1
	v_mul_f64_e32 v[20:21], v[6:7], v[6:7]
	s_delay_alu instid0(VALU_DEP_1) | instskip(NEXT) | instid1(VALU_DEP_1)
	v_fmac_f64_e32 v[20:21], v[8:9], v[8:9]
	v_div_scale_f64 v[22:23], null, v[20:21], v[20:21], 1.0
	v_div_scale_f64 v[28:29], vcc_lo, 1.0, v[20:21], 1.0
	s_delay_alu instid0(VALU_DEP_2) | instskip(SKIP_1) | instid1(TRANS32_DEP_1)
	v_rcp_f64_e32 v[24:25], v[22:23]
	v_nop
	v_fma_f64 v[26:27], -v[22:23], v[24:25], 1.0
	s_delay_alu instid0(VALU_DEP_1) | instskip(NEXT) | instid1(VALU_DEP_1)
	v_fmac_f64_e32 v[24:25], v[24:25], v[26:27]
	v_fma_f64 v[26:27], -v[22:23], v[24:25], 1.0
	s_delay_alu instid0(VALU_DEP_1) | instskip(NEXT) | instid1(VALU_DEP_1)
	v_fmac_f64_e32 v[24:25], v[24:25], v[26:27]
	v_mul_f64_e32 v[26:27], v[28:29], v[24:25]
	s_delay_alu instid0(VALU_DEP_1) | instskip(NEXT) | instid1(VALU_DEP_1)
	v_fma_f64 v[22:23], -v[22:23], v[26:27], v[28:29]
	v_div_fmas_f64 v[22:23], v[22:23], v[24:25], v[26:27]
	v_fma_f64 v[24:25], 0, v[6:7], v[8:9]
	v_fma_f64 v[6:7], v[8:9], 0, -v[6:7]
	s_delay_alu instid0(VALU_DEP_3) | instskip(NEXT) | instid1(VALU_DEP_1)
	v_div_fixup_f64 v[22:23], v[22:23], v[20:21], 1.0
	v_mul_f64_e32 v[20:21], v[24:25], v[22:23]
	s_delay_alu instid0(VALU_DEP_3)
	v_mul_f64_e32 v[22:23], v[6:7], v[22:23]
.LBB115_49:                             ;   in Loop: Header=BB115_18 Depth=1
	s_delay_alu instid0(VALU_DEP_2) | instskip(NEXT) | instid1(VALU_DEP_2)
	v_mov_b64_e32 v[26:27], v[20:21]
	v_mov_b64_e32 v[24:25], v[22:23]
	;; [unrolled: 1-line block ×4, first 2 shown]
	s_mov_b32 s17, 2
	s_mov_b32 s0, -1
	s_cmp_gt_i32 s17, 3
	s_mov_b32 s1, -1
	s_cbranch_scc1 .LBB115_27
.LBB115_50:                             ;   in Loop: Header=BB115_18 Depth=1
	s_cmp_eq_u32 s17, 0
	s_cselect_b32 s1, -1, 0
	s_delay_alu instid0(SALU_CYCLE_1)
	s_and_not1_b32 vcc_lo, exec_lo, s1
	s_cbranch_vccnz .LBB115_28
.LBB115_51:                             ;   in Loop: Header=BB115_18 Depth=1
	s_add_nc_u64 s[30:31], s[30:31], 1
	s_delay_alu instid0(SALU_CYCLE_1) | instskip(NEXT) | instid1(VALU_DEP_2)
	v_cmp_ge_i64_e64 s0, s[30:31], s[18:19]
	v_mov_b64_e32 v[4:5], v[30:31]
	s_delay_alu instid0(VALU_DEP_3)
	v_mov_b64_e32 v[2:3], v[28:29]
	s_and_not1_b32 vcc_lo, exec_lo, s0
	s_cbranch_vccz .LBB115_54
.LBB115_52:                             ;   in Loop: Header=BB115_18 Depth=1
	s_delay_alu instid0(VALU_DEP_4) | instskip(NEXT) | instid1(VALU_DEP_4)
	v_mov_b64_e32 v[22:23], v[24:25]
	v_mov_b64_e32 v[20:21], v[26:27]
	s_sub_co_i32 s0, s30, s16
	s_delay_alu instid0(SALU_CYCLE_1) | instskip(NEXT) | instid1(SALU_CYCLE_1)
	s_and_b32 s0, s0, 63
	s_cmp_lg_u32 s0, 0
	s_cbranch_scc1 .LBB115_18
	s_branch .LBB115_15
.LBB115_53:
	v_mov_b64_e32 v[26:27], 1.0
	v_mov_b64_e32 v[24:25], 0
.LBB115_54:
	s_cmp_lg_u32 s14, 0
	s_cbranch_scc0 .LBB115_61
; %bb.55:
	s_and_saveexec_b32 s0, s2
	s_cbranch_execz .LBB115_57
.LBB115_56:
	s_wait_loadcnt_dscnt 0x0
	v_lshl_add_u64 v[6:7], s[22:23], 4, v[10:11]
	global_store_b128 v[6:7], v[2:5], off
.LBB115_57:
	s_wait_xcnt 0x0
	s_or_b32 exec_lo, exec_lo, s0
	global_wb scope:SCOPE_DEV
	s_wait_storecnt 0x0
	s_wait_loadcnt_dscnt 0x0
	global_inv scope:SCOPE_DEV
	s_wait_loadcnt 0x0
	s_barrier_signal -1
	s_barrier_wait -1
	s_mov_b32 s0, exec_lo
	v_cmpx_eq_u32_e32 0, v0
	s_cbranch_execz .LBB115_59
; %bb.58:
	s_lshl_b64 s[0:1], s[20:21], 2
	v_dual_mov_b32 v0, 0 :: v_dual_mov_b32 v1, 1
	s_add_nc_u64 s[0:1], s[6:7], s[0:1]
	s_lshl_b64 s[2:3], s[4:5], 2
	s_delay_alu instid0(SALU_CYCLE_1)
	s_add_nc_u64 s[0:1], s[0:1], s[2:3]
	global_store_b32 v0, v1, s[0:1] scope:SCOPE_DEV
.LBB115_59:
	s_endpgm
.LBB115_60:
                                        ; implicit-def: $sgpr22_sgpr23
	s_clause 0x1
	s_load_b64 s[8:9], s[0:1], 0x58
	s_load_b64 s[16:17], s[0:1], 0x28
	s_branch .LBB115_4
.LBB115_61:
	s_wait_loadcnt_dscnt 0x0
	s_delay_alu instid0(VALU_DEP_1) | instskip(SKIP_1) | instid1(VALU_DEP_2)
	v_mul_f64_e64 v[6:7], v[24:25], -v[4:5]
	v_mul_f64_e32 v[8:9], v[24:25], v[2:3]
	v_fmac_f64_e32 v[6:7], v[2:3], v[26:27]
	s_delay_alu instid0(VALU_DEP_2) | instskip(NEXT) | instid1(VALU_DEP_2)
	v_fmac_f64_e32 v[8:9], v[4:5], v[26:27]
	v_mov_b64_e32 v[2:3], v[6:7]
	s_delay_alu instid0(VALU_DEP_2)
	v_mov_b64_e32 v[4:5], v[8:9]
	s_and_saveexec_b32 s0, s2
	s_cbranch_execnz .LBB115_56
	s_branch .LBB115_57
	.section	.rodata,"a",@progbits
	.p2align	6, 0x0
	.amdhsa_kernel _ZN9rocsparseL5csrsmILj64ELj64ELb0Ell21rocsparse_complex_numIdEEEv20rocsparse_operation_T3_S4_NS_24const_host_device_scalarIT4_EEPKT2_PKS4_PKS6_PS6_lPiSC_PS4_21rocsparse_index_base_20rocsparse_fill_mode_20rocsparse_diag_type_b
		.amdhsa_group_segment_fixed_size 1536
		.amdhsa_private_segment_fixed_size 16
		.amdhsa_kernarg_size 120
		.amdhsa_user_sgpr_count 2
		.amdhsa_user_sgpr_dispatch_ptr 0
		.amdhsa_user_sgpr_queue_ptr 0
		.amdhsa_user_sgpr_kernarg_segment_ptr 1
		.amdhsa_user_sgpr_dispatch_id 0
		.amdhsa_user_sgpr_kernarg_preload_length 0
		.amdhsa_user_sgpr_kernarg_preload_offset 0
		.amdhsa_user_sgpr_private_segment_size 0
		.amdhsa_wavefront_size32 1
		.amdhsa_uses_dynamic_stack 0
		.amdhsa_enable_private_segment 1
		.amdhsa_system_sgpr_workgroup_id_x 1
		.amdhsa_system_sgpr_workgroup_id_y 0
		.amdhsa_system_sgpr_workgroup_id_z 0
		.amdhsa_system_sgpr_workgroup_info 0
		.amdhsa_system_vgpr_workitem_id 0
		.amdhsa_next_free_vgpr 36
		.amdhsa_next_free_sgpr 36
		.amdhsa_named_barrier_count 0
		.amdhsa_reserve_vcc 1
		.amdhsa_float_round_mode_32 0
		.amdhsa_float_round_mode_16_64 0
		.amdhsa_float_denorm_mode_32 3
		.amdhsa_float_denorm_mode_16_64 3
		.amdhsa_fp16_overflow 0
		.amdhsa_memory_ordered 1
		.amdhsa_forward_progress 1
		.amdhsa_inst_pref_size 22
		.amdhsa_round_robin_scheduling 0
		.amdhsa_exception_fp_ieee_invalid_op 0
		.amdhsa_exception_fp_denorm_src 0
		.amdhsa_exception_fp_ieee_div_zero 0
		.amdhsa_exception_fp_ieee_overflow 0
		.amdhsa_exception_fp_ieee_underflow 0
		.amdhsa_exception_fp_ieee_inexact 0
		.amdhsa_exception_int_div_zero 0
	.end_amdhsa_kernel
	.section	.text._ZN9rocsparseL5csrsmILj64ELj64ELb0Ell21rocsparse_complex_numIdEEEv20rocsparse_operation_T3_S4_NS_24const_host_device_scalarIT4_EEPKT2_PKS4_PKS6_PS6_lPiSC_PS4_21rocsparse_index_base_20rocsparse_fill_mode_20rocsparse_diag_type_b,"axG",@progbits,_ZN9rocsparseL5csrsmILj64ELj64ELb0Ell21rocsparse_complex_numIdEEEv20rocsparse_operation_T3_S4_NS_24const_host_device_scalarIT4_EEPKT2_PKS4_PKS6_PS6_lPiSC_PS4_21rocsparse_index_base_20rocsparse_fill_mode_20rocsparse_diag_type_b,comdat
.Lfunc_end115:
	.size	_ZN9rocsparseL5csrsmILj64ELj64ELb0Ell21rocsparse_complex_numIdEEEv20rocsparse_operation_T3_S4_NS_24const_host_device_scalarIT4_EEPKT2_PKS4_PKS6_PS6_lPiSC_PS4_21rocsparse_index_base_20rocsparse_fill_mode_20rocsparse_diag_type_b, .Lfunc_end115-_ZN9rocsparseL5csrsmILj64ELj64ELb0Ell21rocsparse_complex_numIdEEEv20rocsparse_operation_T3_S4_NS_24const_host_device_scalarIT4_EEPKT2_PKS4_PKS6_PS6_lPiSC_PS4_21rocsparse_index_base_20rocsparse_fill_mode_20rocsparse_diag_type_b
                                        ; -- End function
	.set _ZN9rocsparseL5csrsmILj64ELj64ELb0Ell21rocsparse_complex_numIdEEEv20rocsparse_operation_T3_S4_NS_24const_host_device_scalarIT4_EEPKT2_PKS4_PKS6_PS6_lPiSC_PS4_21rocsparse_index_base_20rocsparse_fill_mode_20rocsparse_diag_type_b.num_vgpr, 36
	.set _ZN9rocsparseL5csrsmILj64ELj64ELb0Ell21rocsparse_complex_numIdEEEv20rocsparse_operation_T3_S4_NS_24const_host_device_scalarIT4_EEPKT2_PKS4_PKS6_PS6_lPiSC_PS4_21rocsparse_index_base_20rocsparse_fill_mode_20rocsparse_diag_type_b.num_agpr, 0
	.set _ZN9rocsparseL5csrsmILj64ELj64ELb0Ell21rocsparse_complex_numIdEEEv20rocsparse_operation_T3_S4_NS_24const_host_device_scalarIT4_EEPKT2_PKS4_PKS6_PS6_lPiSC_PS4_21rocsparse_index_base_20rocsparse_fill_mode_20rocsparse_diag_type_b.numbered_sgpr, 36
	.set _ZN9rocsparseL5csrsmILj64ELj64ELb0Ell21rocsparse_complex_numIdEEEv20rocsparse_operation_T3_S4_NS_24const_host_device_scalarIT4_EEPKT2_PKS4_PKS6_PS6_lPiSC_PS4_21rocsparse_index_base_20rocsparse_fill_mode_20rocsparse_diag_type_b.num_named_barrier, 0
	.set _ZN9rocsparseL5csrsmILj64ELj64ELb0Ell21rocsparse_complex_numIdEEEv20rocsparse_operation_T3_S4_NS_24const_host_device_scalarIT4_EEPKT2_PKS4_PKS6_PS6_lPiSC_PS4_21rocsparse_index_base_20rocsparse_fill_mode_20rocsparse_diag_type_b.private_seg_size, 16
	.set _ZN9rocsparseL5csrsmILj64ELj64ELb0Ell21rocsparse_complex_numIdEEEv20rocsparse_operation_T3_S4_NS_24const_host_device_scalarIT4_EEPKT2_PKS4_PKS6_PS6_lPiSC_PS4_21rocsparse_index_base_20rocsparse_fill_mode_20rocsparse_diag_type_b.uses_vcc, 1
	.set _ZN9rocsparseL5csrsmILj64ELj64ELb0Ell21rocsparse_complex_numIdEEEv20rocsparse_operation_T3_S4_NS_24const_host_device_scalarIT4_EEPKT2_PKS4_PKS6_PS6_lPiSC_PS4_21rocsparse_index_base_20rocsparse_fill_mode_20rocsparse_diag_type_b.uses_flat_scratch, 0
	.set _ZN9rocsparseL5csrsmILj64ELj64ELb0Ell21rocsparse_complex_numIdEEEv20rocsparse_operation_T3_S4_NS_24const_host_device_scalarIT4_EEPKT2_PKS4_PKS6_PS6_lPiSC_PS4_21rocsparse_index_base_20rocsparse_fill_mode_20rocsparse_diag_type_b.has_dyn_sized_stack, 0
	.set _ZN9rocsparseL5csrsmILj64ELj64ELb0Ell21rocsparse_complex_numIdEEEv20rocsparse_operation_T3_S4_NS_24const_host_device_scalarIT4_EEPKT2_PKS4_PKS6_PS6_lPiSC_PS4_21rocsparse_index_base_20rocsparse_fill_mode_20rocsparse_diag_type_b.has_recursion, 0
	.set _ZN9rocsparseL5csrsmILj64ELj64ELb0Ell21rocsparse_complex_numIdEEEv20rocsparse_operation_T3_S4_NS_24const_host_device_scalarIT4_EEPKT2_PKS4_PKS6_PS6_lPiSC_PS4_21rocsparse_index_base_20rocsparse_fill_mode_20rocsparse_diag_type_b.has_indirect_call, 0
	.section	.AMDGPU.csdata,"",@progbits
; Kernel info:
; codeLenInByte = 2728
; TotalNumSgprs: 38
; NumVgprs: 36
; ScratchSize: 16
; MemoryBound: 1
; FloatMode: 240
; IeeeMode: 1
; LDSByteSize: 1536 bytes/workgroup (compile time only)
; SGPRBlocks: 0
; VGPRBlocks: 2
; NumSGPRsForWavesPerEU: 38
; NumVGPRsForWavesPerEU: 36
; NamedBarCnt: 0
; Occupancy: 16
; WaveLimiterHint : 1
; COMPUTE_PGM_RSRC2:SCRATCH_EN: 1
; COMPUTE_PGM_RSRC2:USER_SGPR: 2
; COMPUTE_PGM_RSRC2:TRAP_HANDLER: 0
; COMPUTE_PGM_RSRC2:TGID_X_EN: 1
; COMPUTE_PGM_RSRC2:TGID_Y_EN: 0
; COMPUTE_PGM_RSRC2:TGID_Z_EN: 0
; COMPUTE_PGM_RSRC2:TIDIG_COMP_CNT: 0
	.section	.text._ZN9rocsparseL5csrsmILj128ELj64ELb1Ell21rocsparse_complex_numIdEEEv20rocsparse_operation_T3_S4_NS_24const_host_device_scalarIT4_EEPKT2_PKS4_PKS6_PS6_lPiSC_PS4_21rocsparse_index_base_20rocsparse_fill_mode_20rocsparse_diag_type_b,"axG",@progbits,_ZN9rocsparseL5csrsmILj128ELj64ELb1Ell21rocsparse_complex_numIdEEEv20rocsparse_operation_T3_S4_NS_24const_host_device_scalarIT4_EEPKT2_PKS4_PKS6_PS6_lPiSC_PS4_21rocsparse_index_base_20rocsparse_fill_mode_20rocsparse_diag_type_b,comdat
	.globl	_ZN9rocsparseL5csrsmILj128ELj64ELb1Ell21rocsparse_complex_numIdEEEv20rocsparse_operation_T3_S4_NS_24const_host_device_scalarIT4_EEPKT2_PKS4_PKS6_PS6_lPiSC_PS4_21rocsparse_index_base_20rocsparse_fill_mode_20rocsparse_diag_type_b ; -- Begin function _ZN9rocsparseL5csrsmILj128ELj64ELb1Ell21rocsparse_complex_numIdEEEv20rocsparse_operation_T3_S4_NS_24const_host_device_scalarIT4_EEPKT2_PKS4_PKS6_PS6_lPiSC_PS4_21rocsparse_index_base_20rocsparse_fill_mode_20rocsparse_diag_type_b
	.p2align	8
	.type	_ZN9rocsparseL5csrsmILj128ELj64ELb1Ell21rocsparse_complex_numIdEEEv20rocsparse_operation_T3_S4_NS_24const_host_device_scalarIT4_EEPKT2_PKS4_PKS6_PS6_lPiSC_PS4_21rocsparse_index_base_20rocsparse_fill_mode_20rocsparse_diag_type_b,@function
_ZN9rocsparseL5csrsmILj128ELj64ELb1Ell21rocsparse_complex_numIdEEEv20rocsparse_operation_T3_S4_NS_24const_host_device_scalarIT4_EEPKT2_PKS4_PKS6_PS6_lPiSC_PS4_21rocsparse_index_base_20rocsparse_fill_mode_20rocsparse_diag_type_b: ; @_ZN9rocsparseL5csrsmILj128ELj64ELb1Ell21rocsparse_complex_numIdEEEv20rocsparse_operation_T3_S4_NS_24const_host_device_scalarIT4_EEPKT2_PKS4_PKS6_PS6_lPiSC_PS4_21rocsparse_index_base_20rocsparse_fill_mode_20rocsparse_diag_type_b
; %bb.0:
	s_clause 0x1
	s_load_b128 s[12:15], s[0:1], 0x68
	s_load_b256 s[4:11], s[0:1], 0x8
	v_mbcnt_lo_u32_b32 v1, -1, 0
	s_mov_b32 s3, 0
	s_delay_alu instid0(VALU_DEP_1) | instskip(NEXT) | instid1(VALU_DEP_1)
	v_dual_mov_b32 v2, 0 :: v_dual_lshlrev_b32 v3, 20, v1
	v_add_nc_u64_e32 v[2:3], src_flat_scratch_base_lo, v[2:3]
	s_wait_kmcnt 0x0
	s_bitcmp1_b32 s15, 0
	v_mov_b64_e32 v[4:5], s[8:9]
	s_cselect_b32 vcc_lo, -1, 0
	v_mov_b64_e32 v[8:9], s[10:11]
	s_delay_alu instid0(VALU_DEP_3)
	v_cndmask_b32_e32 v3, s9, v3, vcc_lo
	v_cndmask_b32_e32 v2, s8, v2, vcc_lo
	s_and_b32 vcc_lo, exec_lo, vcc_lo
	scratch_store_b64 off, v[4:5], off
	flat_load_b64 v[6:7], v[2:3]
	s_cbranch_vccnz .LBB116_2
; %bb.1:
	v_mov_b32_e32 v1, 0
	flat_load_b64 v[8:9], v1, s[8:9] offset:8
.LBB116_2:
	s_bfe_u32 s2, ttmp6, 0x4000c
	s_wait_xcnt 0x0
	s_and_b32 s8, ttmp6, 15
	s_add_co_i32 s2, s2, 1
	s_getreg_b32 s9, hwreg(HW_REG_IB_STS2, 6, 4)
	s_mul_i32 s2, ttmp9, s2
	s_delay_alu instid0(SALU_CYCLE_1) | instskip(SKIP_3) | instid1(SALU_CYCLE_1)
	s_add_co_i32 s8, s8, s2
	s_cmp_eq_u32 s9, 0
	s_cselect_b32 s2, ttmp9, s8
	s_and_b64 s[8:9], s[4:5], 0xffffffff00000000
	s_cmp_lg_u64 s[8:9], 0
	s_cbranch_scc0 .LBB116_63
; %bb.3:
	s_ashr_i32 s8, s5, 31
	s_delay_alu instid0(SALU_CYCLE_1) | instskip(NEXT) | instid1(SALU_CYCLE_1)
	s_mov_b32 s9, s8
	s_add_nc_u64 s[10:11], s[4:5], s[8:9]
	s_delay_alu instid0(SALU_CYCLE_1) | instskip(NEXT) | instid1(SALU_CYCLE_1)
	s_xor_b64 s[16:17], s[10:11], s[8:9]
	s_cvt_f32_u32 s10, s16
	s_cvt_f32_u32 s11, s17
	s_sub_nc_u64 s[20:21], 0, s[16:17]
	s_delay_alu instid0(SALU_CYCLE_2) | instskip(NEXT) | instid1(SALU_CYCLE_3)
	s_fmamk_f32 s10, s11, 0x4f800000, s10
	v_s_rcp_f32 s10, s10
	s_delay_alu instid0(TRANS32_DEP_1) | instskip(NEXT) | instid1(SALU_CYCLE_3)
	s_mul_f32 s10, s10, 0x5f7ffffc
	s_mul_f32 s11, s10, 0x2f800000
	s_delay_alu instid0(SALU_CYCLE_3) | instskip(NEXT) | instid1(SALU_CYCLE_3)
	s_trunc_f32 s11, s11
	s_fmamk_f32 s10, s11, 0xcf800000, s10
	s_cvt_u32_f32 s19, s11
	s_mov_b32 s11, 0
	s_delay_alu instid0(SALU_CYCLE_1) | instskip(NEXT) | instid1(SALU_CYCLE_3)
	s_cvt_u32_f32 s18, s10
	s_mul_u64 s[22:23], s[20:21], s[18:19]
	s_delay_alu instid0(SALU_CYCLE_1)
	s_mul_hi_u32 s25, s18, s23
	s_mul_i32 s24, s18, s23
	s_mul_hi_u32 s10, s18, s22
	s_mul_i32 s26, s19, s22
	s_add_nc_u64 s[24:25], s[10:11], s[24:25]
	s_mul_hi_u32 s15, s19, s22
	s_mul_hi_u32 s27, s19, s23
	s_add_co_u32 s10, s24, s26
	s_add_co_ci_u32 s10, s25, s15
	s_mul_i32 s22, s19, s23
	s_add_co_ci_u32 s23, s27, 0
	s_delay_alu instid0(SALU_CYCLE_1) | instskip(NEXT) | instid1(SALU_CYCLE_1)
	s_add_nc_u64 s[22:23], s[10:11], s[22:23]
	s_add_co_u32 s18, s18, s22
	s_cselect_b32 s10, -1, 0
	s_delay_alu instid0(SALU_CYCLE_1) | instskip(SKIP_1) | instid1(SALU_CYCLE_1)
	s_cmp_lg_u32 s10, 0
	s_add_co_ci_u32 s19, s19, s23
	s_mul_u64 s[20:21], s[20:21], s[18:19]
	s_delay_alu instid0(SALU_CYCLE_1)
	s_mul_hi_u32 s23, s18, s21
	s_mul_i32 s22, s18, s21
	s_mul_hi_u32 s10, s18, s20
	s_mul_i32 s24, s19, s20
	s_add_nc_u64 s[22:23], s[10:11], s[22:23]
	s_mul_hi_u32 s15, s19, s20
	s_mul_hi_u32 s25, s19, s21
	s_add_co_u32 s10, s22, s24
	s_add_co_ci_u32 s10, s23, s15
	s_mul_i32 s20, s19, s21
	s_add_co_ci_u32 s21, s25, 0
	s_add_nc_u64 s[22:23], s[2:3], 0
	s_add_nc_u64 s[20:21], s[10:11], s[20:21]
	s_delay_alu instid0(SALU_CYCLE_1) | instskip(SKIP_1) | instid1(SALU_CYCLE_1)
	s_add_co_u32 s15, s18, s20
	s_cselect_b32 s10, -1, 0
	s_cmp_lg_u32 s10, 0
	s_add_co_ci_u32 s24, s19, s21
	s_xor_b64 s[18:19], s[22:23], 0
	s_delay_alu instid0(SALU_CYCLE_1)
	s_mul_hi_u32 s21, s18, s24
	s_mul_i32 s20, s18, s24
	s_mul_hi_u32 s10, s18, s15
	s_mul_hi_u32 s25, s19, s15
	s_mul_i32 s15, s19, s15
	s_add_nc_u64 s[20:21], s[10:11], s[20:21]
	s_mul_hi_u32 s23, s19, s24
	s_add_co_u32 s10, s20, s15
	s_add_co_ci_u32 s10, s21, s25
	s_mul_i32 s22, s19, s24
	s_add_co_ci_u32 s23, s23, 0
	s_delay_alu instid0(SALU_CYCLE_1) | instskip(NEXT) | instid1(SALU_CYCLE_1)
	s_add_nc_u64 s[20:21], s[10:11], s[22:23]
	s_and_b64 s[22:23], s[20:21], 0xffffffff00000000
	s_delay_alu instid0(SALU_CYCLE_1) | instskip(NEXT) | instid1(SALU_CYCLE_1)
	s_or_b32 s22, s22, s20
	s_mul_u64 s[20:21], s[16:17], s[22:23]
	s_delay_alu instid0(SALU_CYCLE_1)
	s_sub_co_u32 s10, s18, s20
	s_cselect_b32 s15, -1, 0
	s_sub_co_i32 s18, s19, s21
	s_cmp_lg_u32 s15, 0
	s_sub_co_ci_u32 s18, s18, s17
	s_sub_co_u32 s20, s10, s16
	s_cselect_b32 s24, -1, 0
	s_delay_alu instid0(SALU_CYCLE_1) | instskip(SKIP_2) | instid1(SALU_CYCLE_1)
	s_cmp_lg_u32 s24, 0
	s_add_nc_u64 s[24:25], s[22:23], 1
	s_sub_co_ci_u32 s18, s18, 0
	s_cmp_ge_u32 s18, s17
	s_cselect_b32 s26, -1, 0
	s_cmp_ge_u32 s20, s16
	s_cselect_b32 s20, -1, 0
	s_cmp_eq_u32 s18, s17
	s_cselect_b32 s18, s20, s26
	s_add_nc_u64 s[26:27], s[22:23], 2
	s_cmp_lg_u32 s18, 0
	s_cselect_b32 s18, s26, s24
	s_cselect_b32 s20, s27, s25
	s_cmp_lg_u32 s15, 0
	s_sub_co_ci_u32 s15, s19, s21
	s_delay_alu instid0(SALU_CYCLE_1)
	s_cmp_ge_u32 s15, s17
	s_cselect_b32 s19, -1, 0
	s_cmp_ge_u32 s10, s16
	s_cselect_b32 s10, -1, 0
	s_cmp_eq_u32 s15, s17
	s_cselect_b32 s10, s10, s19
	s_delay_alu instid0(SALU_CYCLE_1) | instskip(SKIP_3) | instid1(SALU_CYCLE_1)
	s_cmp_lg_u32 s10, 0
	s_cselect_b32 s17, s20, s23
	s_cselect_b32 s16, s18, s22
	s_xor_b64 s[8:9], 0, s[8:9]
	s_xor_b64 s[16:17], s[16:17], s[8:9]
	s_delay_alu instid0(SALU_CYCLE_1)
	s_sub_nc_u64 s[22:23], s[16:17], s[8:9]
	s_clause 0x1
	s_load_b64 s[8:9], s[0:1], 0x58
	s_load_b64 s[16:17], s[0:1], 0x28
	s_cbranch_execnz .LBB116_5
.LBB116_4:
	v_cvt_f32_u32_e32 v1, s4
	s_sub_co_i32 s11, 0, s4
	s_mov_b32 s23, 0
	s_delay_alu instid0(VALU_DEP_1) | instskip(SKIP_1) | instid1(TRANS32_DEP_1)
	v_rcp_iflag_f32_e32 v1, v1
	v_nop
	v_mul_f32_e32 v1, 0x4f7ffffe, v1
	s_delay_alu instid0(VALU_DEP_1) | instskip(NEXT) | instid1(VALU_DEP_1)
	v_cvt_u32_f32_e32 v1, v1
	v_readfirstlane_b32 s10, v1
	s_mul_i32 s11, s11, s10
	s_delay_alu instid0(SALU_CYCLE_1) | instskip(NEXT) | instid1(SALU_CYCLE_1)
	s_mul_hi_u32 s11, s10, s11
	s_add_co_i32 s10, s10, s11
	s_delay_alu instid0(SALU_CYCLE_1) | instskip(NEXT) | instid1(SALU_CYCLE_1)
	s_mul_hi_u32 s10, s2, s10
	s_mul_i32 s11, s10, s4
	s_add_co_i32 s15, s10, 1
	s_sub_co_i32 s11, s2, s11
	s_delay_alu instid0(SALU_CYCLE_1)
	s_sub_co_i32 s18, s11, s4
	s_cmp_ge_u32 s11, s4
	s_cselect_b32 s10, s15, s10
	s_cselect_b32 s11, s18, s11
	s_add_co_i32 s15, s10, 1
	s_cmp_ge_u32 s11, s4
	s_cselect_b32 s22, s15, s10
.LBB116_5:
	s_delay_alu instid0(SALU_CYCLE_1)
	s_mul_u64 s[4:5], s[22:23], s[4:5]
	s_load_b32 s15, s[0:1], 0x0
	s_sub_nc_u64 s[2:3], s[2:3], s[4:5]
	v_mov_b32_e32 v1, 0
	s_lshl_b64 s[2:3], s[2:3], 3
	s_wait_kmcnt 0x0
	s_add_nc_u64 s[2:3], s[8:9], s[2:3]
	s_load_b64 s[20:21], s[2:3], 0x0
	s_load_b128 s[8:11], s[0:1], 0x40
	s_wait_kmcnt 0x0
	s_lshl_b64 s[2:3], s[20:21], 3
	s_delay_alu instid0(SALU_CYCLE_1)
	s_add_nc_u64 s[2:3], s[16:17], s[2:3]
	s_load_b128 s[16:19], s[2:3], 0x0
	s_wait_xcnt 0x0
	s_lshl_b64 s[2:3], s[22:23], 7
	s_mul_u64 s[22:23], s[20:21], s[10:11]
	v_dual_mov_b32 v11, s3 :: v_dual_bitop2_b32 v10, s2, v0 bitop3:0x54
	s_cmp_lg_u32 s15, 0x71
	s_delay_alu instid0(VALU_DEP_1)
	v_add_nc_u64_e32 v[12:13], s[22:23], v[10:11]
	v_cmp_gt_i64_e64 s2, s[6:7], v[10:11]
	s_cbranch_scc0 .LBB116_9
; %bb.6:
	v_mov_b64_e32 v[4:5], 0
	v_mov_b64_e32 v[2:3], 0
	s_and_saveexec_b32 s3, s2
	s_cbranch_execz .LBB116_8
; %bb.7:
	v_lshl_add_u64 v[2:3], v[12:13], 4, s[8:9]
	global_load_b128 v[14:17], v[2:3], off
	s_wait_loadcnt_dscnt 0x0
	v_mul_f64_e64 v[2:3], v[16:17], -v[8:9]
	v_mul_f64_e32 v[4:5], v[6:7], v[16:17]
	s_delay_alu instid0(VALU_DEP_2) | instskip(NEXT) | instid1(VALU_DEP_2)
	v_fmac_f64_e32 v[2:3], v[6:7], v[14:15]
	v_fmac_f64_e32 v[4:5], v[8:9], v[14:15]
.LBB116_8:
	s_or_b32 exec_lo, exec_lo, s3
	s_cbranch_execz .LBB116_10
	s_branch .LBB116_13
.LBB116_9:
                                        ; implicit-def: $vgpr4_vgpr5
.LBB116_10:
	v_mov_b64_e32 v[4:5], 0
	v_mov_b64_e32 v[2:3], 0
	s_and_saveexec_b32 s3, s2
	s_cbranch_execz .LBB116_12
; %bb.11:
	v_lshl_add_u64 v[2:3], v[12:13], 4, s[8:9]
	global_load_b128 v[12:15], v[2:3], off
	s_wait_loadcnt_dscnt 0x0
	v_mul_f64_e32 v[2:3], v[8:9], v[14:15]
	v_mul_f64_e64 v[4:5], v[6:7], -v[14:15]
	s_delay_alu instid0(VALU_DEP_2) | instskip(NEXT) | instid1(VALU_DEP_2)
	v_fmac_f64_e32 v[2:3], v[6:7], v[12:13]
	v_fmac_f64_e32 v[4:5], v[8:9], v[12:13]
.LBB116_12:
	s_or_b32 exec_lo, exec_lo, s3
.LBB116_13:
	s_load_b64 s[6:7], s[0:1], 0x50
	s_wait_kmcnt 0x0
	v_cmp_ge_i64_e64 s3, s[16:17], s[18:19]
	v_lshl_add_u64 v[10:11], v[10:11], 4, s[8:9]
	s_and_b32 vcc_lo, exec_lo, s3
	v_cmp_eq_u32_e64 s3, 0, v0
	s_cbranch_vccnz .LBB116_56
; %bb.14:
	s_clause 0x1
	s_load_b128 s[28:31], s[0:1], 0x30
	s_load_b64 s[8:9], s[0:1], 0x60
	v_dual_mov_b32 v13, 0 :: v_dual_lshlrev_b32 v12, 3, v0
	v_lshlrev_b32_e32 v14, 4, v0
	v_mov_b64_e32 v[20:21], 1.0
	v_mov_b64_e32 v[22:23], 0
	s_mov_b32 s25, 0
	v_mov_b32_e32 v15, v13
	s_mov_b32 s24, s12
	s_wait_xcnt 0x0
	s_lshl_b64 s[0:1], s[4:5], 2
	s_sub_nc_u64 s[16:17], s[16:17], s[24:25]
	s_cmp_eq_u32 s14, 0
	s_add_nc_u64 s[26:27], s[6:7], s[0:1]
	s_sub_nc_u64 s[18:19], s[18:19], s[24:25]
	s_cselect_b32 s12, -1, 0
	s_wait_kmcnt 0x0
	v_add_nc_u64_e32 v[16:17], s[28:29], v[12:13]
	v_add_nc_u64_e32 v[18:19], s[30:31], v[14:15]
	v_or_b32_e32 v12, 0x800, v12
	s_add_nc_u64 s[28:29], s[20:21], s[24:25]
	s_mov_b64 s[30:31], s[16:17]
	s_delay_alu instid0(SALU_CYCLE_1) | instskip(NEXT) | instid1(SALU_CYCLE_1)
	s_sub_co_i32 s0, s30, s16
	s_and_b32 s0, s0, 0x7f
	s_delay_alu instid0(SALU_CYCLE_1)
	s_cmp_lg_u32 s0, 0
	s_cbranch_scc1 .LBB116_18
.LBB116_15:
	s_wait_loadcnt_dscnt 0x0
	v_mov_b64_e32 v[6:7], -1.0
	v_mov_b64_e32 v[8:9], 0
	v_mov_b64_e32 v[24:25], -1
	s_sub_nc_u64 s[34:35], s[18:19], s[30:31]
	s_mov_b32 s1, exec_lo
	v_cmpx_gt_i64_e64 s[34:35], v[0:1]
	s_cbranch_execz .LBB116_17
; %bb.16:
	v_lshl_add_u64 v[6:7], s[30:31], 3, v[16:17]
	global_load_b64 v[24:25], v[6:7], off
	s_wait_xcnt 0x0
	v_lshl_add_u64 v[6:7], s[30:31], 4, v[18:19]
	global_load_b128 v[6:9], v[6:7], off
	s_wait_loadcnt 0x1
	v_sub_nc_u64_e64 v[24:25], v[24:25], s[24:25]
.LBB116_17:
	s_wait_xcnt 0x0
	s_or_b32 exec_lo, exec_lo, s1
	ds_store_b64 v12, v[24:25]
	s_wait_loadcnt 0x0
	ds_store_b128 v14, v[6:9]
.LBB116_18:                             ; =>This Loop Header: Depth=1
                                        ;     Child Loop BB116_54 Depth 2
                                        ;       Child Loop BB116_55 Depth 3
	s_lshl_b32 s1, s0, 4
	s_wait_storecnt 0x0
	s_wait_loadcnt_dscnt 0x0
	v_mov_b32_e32 v6, s1
	s_barrier_signal -1
	s_barrier_wait -1
	s_lshl_b32 s1, s0, 3
	ds_load_b128 v[24:27], v6
	v_mov_b32_e32 v6, s1
	ds_load_b64 v[6:7], v6 offset:2048
	s_wait_dscnt 0x1
	v_cmp_eq_f64_e32 vcc_lo, 0, v[24:25]
	v_cmp_eq_f64_e64 s0, 0, v[26:27]
	s_wait_dscnt 0x0
	v_readfirstlane_b32 s34, v6
	v_readfirstlane_b32 s35, v7
	s_and_b32 s1, vcc_lo, s0
	s_cmp_eq_u64 s[34:35], s[20:21]
	s_cselect_b32 s17, -1, 0
	s_cmp_lg_u64 s[34:35], s[20:21]
	s_cselect_b32 s0, -1, 0
	s_and_b32 s1, s1, s17
	s_delay_alu instid0(SALU_CYCLE_1) | instskip(NEXT) | instid1(SALU_CYCLE_1)
	s_and_b32 s1, s12, s1
	v_cndmask_b32_e64 v7, v27, 0, s1
	v_cndmask_b32_e64 v6, v26, 0, s1
	;; [unrolled: 1-line block ×4, first 2 shown]
	s_and_b32 s15, s3, s1
	s_delay_alu instid0(SALU_CYCLE_1)
	s_and_saveexec_b32 s1, s15
	s_cbranch_execz .LBB116_22
; %bb.19:                               ;   in Loop: Header=BB116_18 Depth=1
	v_mbcnt_lo_u32_b32 v6, exec_lo, 0
	s_mov_b32 s15, exec_lo
	s_delay_alu instid0(VALU_DEP_1)
	v_cmpx_eq_u32_e32 0, v6
	s_cbranch_execz .LBB116_21
; %bb.20:                               ;   in Loop: Header=BB116_18 Depth=1
	v_mov_b64_e32 v[6:7], s[28:29]
	global_atomic_min_u64 v13, v[6:7], s[8:9] scope:SCOPE_DEV
.LBB116_21:                             ;   in Loop: Header=BB116_18 Depth=1
	s_wait_xcnt 0x0
	s_or_b32 exec_lo, exec_lo, s15
	v_mov_b64_e32 v[8:9], 1.0
	v_mov_b64_e32 v[6:7], 0
.LBB116_22:                             ;   in Loop: Header=BB116_18 Depth=1
	s_or_b32 exec_lo, exec_lo, s1
	s_mov_b32 s33, -1
	s_mov_b32 s1, 0
	s_cmp_lt_i32 s13, 1
	s_mov_b32 s15, 0
                                        ; implicit-def: $vgpr24_vgpr25
                                        ; implicit-def: $vgpr26_vgpr27
	s_cbranch_scc0 .LBB116_29
; %bb.23:                               ;   in Loop: Header=BB116_18 Depth=1
	s_and_b32 vcc_lo, exec_lo, s33
	s_mov_b32 s17, 4
	s_cbranch_vccnz .LBB116_36
.LBB116_24:                             ;   in Loop: Header=BB116_18 Depth=1
	v_mov_b64_e32 v[30:31], v[4:5]
	v_mov_b64_e32 v[28:29], v[2:3]
	s_and_b32 vcc_lo, exec_lo, s15
	s_cbranch_vccnz .LBB116_41
.LBB116_25:                             ;   in Loop: Header=BB116_18 Depth=1
	s_and_b32 vcc_lo, exec_lo, s1
	s_cbranch_vccnz .LBB116_46
.LBB116_26:                             ;   in Loop: Header=BB116_18 Depth=1
	s_mov_b32 s0, -1
	s_cmp_gt_i32 s17, 3
	s_mov_b32 s1, -1
	s_cbranch_scc0 .LBB116_49
.LBB116_27:                             ;   in Loop: Header=BB116_18 Depth=1
	s_and_not1_b32 vcc_lo, exec_lo, s1
	s_cbranch_vccz .LBB116_50
.LBB116_28:                             ;   in Loop: Header=BB116_18 Depth=1
	s_delay_alu instid0(VALU_DEP_1) | instskip(NEXT) | instid1(VALU_DEP_2)
	v_mov_b64_e32 v[4:5], v[30:31]
	v_mov_b64_e32 v[2:3], v[28:29]
	s_and_not1_b32 vcc_lo, exec_lo, s0
	s_cbranch_vccnz .LBB116_51
	s_branch .LBB116_57
.LBB116_29:                             ;   in Loop: Header=BB116_18 Depth=1
	s_cmp_eq_u32 s13, 1
	s_mov_b32 s15, -1
                                        ; implicit-def: $vgpr24_vgpr25
                                        ; implicit-def: $vgpr26_vgpr27
	s_cbranch_scc0 .LBB116_35
; %bb.30:                               ;   in Loop: Header=BB116_18 Depth=1
	v_cmp_ge_i64_e64 s15, s[34:35], s[20:21]
	v_mov_b64_e32 v[24:25], v[22:23]
	v_mov_b64_e32 v[26:27], v[20:21]
	s_and_b32 vcc_lo, exec_lo, s15
	s_mov_b32 s15, 0
	s_cbranch_vccz .LBB116_35
; %bb.31:                               ;   in Loop: Header=BB116_18 Depth=1
	s_and_b32 vcc_lo, exec_lo, s17
	s_mov_b32 s15, -1
                                        ; implicit-def: $vgpr24_vgpr25
                                        ; implicit-def: $vgpr26_vgpr27
	s_cbranch_vccz .LBB116_35
; %bb.32:                               ;   in Loop: Header=BB116_18 Depth=1
	v_mov_b64_e32 v[24:25], v[22:23]
	v_mov_b64_e32 v[26:27], v[20:21]
	s_and_not1_b32 vcc_lo, exec_lo, s12
	s_cbranch_vccnz .LBB116_34
; %bb.33:                               ;   in Loop: Header=BB116_18 Depth=1
	v_mul_f64_e32 v[24:25], v[6:7], v[6:7]
	s_delay_alu instid0(VALU_DEP_1) | instskip(NEXT) | instid1(VALU_DEP_1)
	v_fmac_f64_e32 v[24:25], v[8:9], v[8:9]
	v_div_scale_f64 v[26:27], null, v[24:25], v[24:25], 1.0
	v_div_scale_f64 v[32:33], vcc_lo, 1.0, v[24:25], 1.0
	s_delay_alu instid0(VALU_DEP_2) | instskip(SKIP_1) | instid1(TRANS32_DEP_1)
	v_rcp_f64_e32 v[28:29], v[26:27]
	v_nop
	v_fma_f64 v[30:31], -v[26:27], v[28:29], 1.0
	s_delay_alu instid0(VALU_DEP_1) | instskip(NEXT) | instid1(VALU_DEP_1)
	v_fmac_f64_e32 v[28:29], v[28:29], v[30:31]
	v_fma_f64 v[30:31], -v[26:27], v[28:29], 1.0
	s_delay_alu instid0(VALU_DEP_1) | instskip(NEXT) | instid1(VALU_DEP_1)
	v_fmac_f64_e32 v[28:29], v[28:29], v[30:31]
	v_mul_f64_e32 v[30:31], v[32:33], v[28:29]
	s_delay_alu instid0(VALU_DEP_1) | instskip(NEXT) | instid1(VALU_DEP_1)
	v_fma_f64 v[26:27], -v[26:27], v[30:31], v[32:33]
	v_div_fmas_f64 v[26:27], v[26:27], v[28:29], v[30:31]
	v_fma_f64 v[28:29], 0, v[6:7], v[8:9]
	v_fma_f64 v[30:31], v[8:9], 0, -v[6:7]
	s_delay_alu instid0(VALU_DEP_3) | instskip(NEXT) | instid1(VALU_DEP_1)
	v_div_fixup_f64 v[24:25], v[26:27], v[24:25], 1.0
	v_mul_f64_e32 v[26:27], v[28:29], v[24:25]
	s_delay_alu instid0(VALU_DEP_3)
	v_mul_f64_e32 v[24:25], v[30:31], v[24:25]
.LBB116_34:                             ;   in Loop: Header=BB116_18 Depth=1
	s_mov_b32 s15, 0
.LBB116_35:                             ;   in Loop: Header=BB116_18 Depth=1
	s_mov_b32 s17, 4
	s_branch .LBB116_24
.LBB116_36:                             ;   in Loop: Header=BB116_18 Depth=1
	s_cmp_eq_u32 s13, 0
	s_cbranch_scc1 .LBB116_38
; %bb.37:                               ;   in Loop: Header=BB116_18 Depth=1
	s_mov_b32 s15, -1
	s_branch .LBB116_40
.LBB116_38:                             ;   in Loop: Header=BB116_18 Depth=1
	v_cmp_le_i64_e64 s15, s[34:35], s[20:21]
	s_and_b32 vcc_lo, exec_lo, s15
	s_mov_b32 s15, 0
	s_cbranch_vccz .LBB116_40
; %bb.39:                               ;   in Loop: Header=BB116_18 Depth=1
	s_mov_b32 s1, -1
	s_mov_b32 s15, s0
.LBB116_40:                             ;   in Loop: Header=BB116_18 Depth=1
	v_mov_b64_e32 v[24:25], v[22:23]
	v_mov_b64_e32 v[26:27], v[20:21]
	s_mov_b32 s17, 2
	v_mov_b64_e32 v[30:31], v[4:5]
	v_mov_b64_e32 v[28:29], v[2:3]
	s_and_b32 vcc_lo, exec_lo, s15
	s_cbranch_vccz .LBB116_25
.LBB116_41:                             ;   in Loop: Header=BB116_18 Depth=1
	s_and_saveexec_b32 s15, s3
	s_cbranch_execz .LBB116_43
; %bb.42:                               ;   in Loop: Header=BB116_18 Depth=1
	s_lshl_b64 s[0:1], s[34:35], 2
	s_delay_alu instid0(SALU_CYCLE_1)
	s_add_nc_u64 s[0:1], s[26:27], s[0:1]
	global_load_b32 v15, v13, s[0:1] scope:SCOPE_DEV
	s_wait_loadcnt 0x0
	v_cmp_ne_u32_e32 vcc_lo, 0, v15
	s_cbranch_vccz .LBB116_52
.LBB116_43:                             ;   in Loop: Header=BB116_18 Depth=1
	s_wait_xcnt 0x0
	s_or_b32 exec_lo, exec_lo, s15
	v_mov_b64_e32 v[30:31], 0
	v_mov_b64_e32 v[28:29], 0
	s_wait_storecnt 0x0
	s_barrier_signal -1
	s_barrier_wait -1
	global_inv scope:SCOPE_DEV
	s_and_saveexec_b32 s0, s2
	s_cbranch_execz .LBB116_45
; %bb.44:                               ;   in Loop: Header=BB116_18 Depth=1
	s_mul_u64 s[34:35], s[34:35], s[10:11]
	s_delay_alu instid0(SALU_CYCLE_1) | instskip(SKIP_4) | instid1(VALU_DEP_2)
	v_lshl_add_u64 v[24:25], s[34:35], 4, v[10:11]
	global_load_b128 v[24:27], v[24:25], off
	s_wait_loadcnt 0x0
	v_fma_f64 v[28:29], -v[8:9], v[24:25], v[2:3]
	v_fma_f64 v[24:25], -v[6:7], v[24:25], v[4:5]
	v_fmac_f64_e32 v[28:29], v[6:7], v[26:27]
	s_delay_alu instid0(VALU_DEP_2)
	v_fma_f64 v[30:31], -v[8:9], v[26:27], v[24:25]
.LBB116_45:                             ;   in Loop: Header=BB116_18 Depth=1
	s_or_b32 exec_lo, exec_lo, s0
	v_mov_b64_e32 v[24:25], v[22:23]
	v_mov_b64_e32 v[26:27], v[20:21]
	s_mov_b32 s17, 0
	s_branch .LBB116_26
.LBB116_46:                             ;   in Loop: Header=BB116_18 Depth=1
	s_and_not1_b32 vcc_lo, exec_lo, s12
	s_cbranch_vccnz .LBB116_48
; %bb.47:                               ;   in Loop: Header=BB116_18 Depth=1
	v_mul_f64_e32 v[20:21], v[6:7], v[6:7]
	s_delay_alu instid0(VALU_DEP_1) | instskip(NEXT) | instid1(VALU_DEP_1)
	v_fmac_f64_e32 v[20:21], v[8:9], v[8:9]
	v_div_scale_f64 v[22:23], null, v[20:21], v[20:21], 1.0
	v_div_scale_f64 v[28:29], vcc_lo, 1.0, v[20:21], 1.0
	s_delay_alu instid0(VALU_DEP_2) | instskip(SKIP_1) | instid1(TRANS32_DEP_1)
	v_rcp_f64_e32 v[24:25], v[22:23]
	v_nop
	v_fma_f64 v[26:27], -v[22:23], v[24:25], 1.0
	s_delay_alu instid0(VALU_DEP_1) | instskip(NEXT) | instid1(VALU_DEP_1)
	v_fmac_f64_e32 v[24:25], v[24:25], v[26:27]
	v_fma_f64 v[26:27], -v[22:23], v[24:25], 1.0
	s_delay_alu instid0(VALU_DEP_1) | instskip(NEXT) | instid1(VALU_DEP_1)
	v_fmac_f64_e32 v[24:25], v[24:25], v[26:27]
	v_mul_f64_e32 v[26:27], v[28:29], v[24:25]
	s_delay_alu instid0(VALU_DEP_1) | instskip(NEXT) | instid1(VALU_DEP_1)
	v_fma_f64 v[22:23], -v[22:23], v[26:27], v[28:29]
	v_div_fmas_f64 v[22:23], v[22:23], v[24:25], v[26:27]
	v_fma_f64 v[24:25], 0, v[6:7], v[8:9]
	v_fma_f64 v[6:7], v[8:9], 0, -v[6:7]
	s_delay_alu instid0(VALU_DEP_3) | instskip(NEXT) | instid1(VALU_DEP_1)
	v_div_fixup_f64 v[22:23], v[22:23], v[20:21], 1.0
	v_mul_f64_e32 v[20:21], v[24:25], v[22:23]
	s_delay_alu instid0(VALU_DEP_3)
	v_mul_f64_e32 v[22:23], v[6:7], v[22:23]
.LBB116_48:                             ;   in Loop: Header=BB116_18 Depth=1
	s_delay_alu instid0(VALU_DEP_2) | instskip(NEXT) | instid1(VALU_DEP_2)
	v_mov_b64_e32 v[26:27], v[20:21]
	v_mov_b64_e32 v[24:25], v[22:23]
	;; [unrolled: 1-line block ×4, first 2 shown]
	s_mov_b32 s17, 2
	s_mov_b32 s0, -1
	s_cmp_gt_i32 s17, 3
	s_mov_b32 s1, -1
	s_cbranch_scc1 .LBB116_27
.LBB116_49:                             ;   in Loop: Header=BB116_18 Depth=1
	s_cmp_eq_u32 s17, 0
	s_cselect_b32 s1, -1, 0
	s_delay_alu instid0(SALU_CYCLE_1)
	s_and_not1_b32 vcc_lo, exec_lo, s1
	s_cbranch_vccnz .LBB116_28
.LBB116_50:                             ;   in Loop: Header=BB116_18 Depth=1
	s_add_nc_u64 s[30:31], s[30:31], 1
	s_delay_alu instid0(SALU_CYCLE_1) | instskip(NEXT) | instid1(VALU_DEP_2)
	v_cmp_ge_i64_e64 s0, s[30:31], s[18:19]
	v_mov_b64_e32 v[4:5], v[30:31]
	s_delay_alu instid0(VALU_DEP_3)
	v_mov_b64_e32 v[2:3], v[28:29]
	s_and_not1_b32 vcc_lo, exec_lo, s0
	s_cbranch_vccz .LBB116_57
.LBB116_51:                             ;   in Loop: Header=BB116_18 Depth=1
	s_delay_alu instid0(VALU_DEP_4) | instskip(NEXT) | instid1(VALU_DEP_4)
	v_mov_b64_e32 v[22:23], v[24:25]
	v_mov_b64_e32 v[20:21], v[26:27]
	s_sub_co_i32 s0, s30, s16
	s_delay_alu instid0(SALU_CYCLE_1) | instskip(NEXT) | instid1(SALU_CYCLE_1)
	s_and_b32 s0, s0, 0x7f
	s_cmp_lg_u32 s0, 0
	s_cbranch_scc1 .LBB116_18
	s_branch .LBB116_15
.LBB116_52:                             ;   in Loop: Header=BB116_18 Depth=1
	s_mov_b32 s17, 0
	s_branch .LBB116_54
.LBB116_53:                             ;   in Loop: Header=BB116_54 Depth=2
	global_load_b32 v15, v13, s[0:1] scope:SCOPE_DEV
	s_cmp_lt_u32 s17, 0xf43
	s_cselect_b32 s33, -1, 0
	s_delay_alu instid0(SALU_CYCLE_1)
	s_cmp_lg_u32 s33, 0
	s_add_co_ci_u32 s17, s17, 0
	s_wait_loadcnt 0x0
	v_cmp_ne_u32_e32 vcc_lo, 0, v15
	s_cbranch_vccnz .LBB116_43
.LBB116_54:                             ;   Parent Loop BB116_18 Depth=1
                                        ; =>  This Loop Header: Depth=2
                                        ;       Child Loop BB116_55 Depth 3
	s_cmp_eq_u32 s17, 0
	s_mov_b32 s33, s17
	s_cbranch_scc1 .LBB116_53
.LBB116_55:                             ;   Parent Loop BB116_18 Depth=1
                                        ;     Parent Loop BB116_54 Depth=2
                                        ; =>    This Inner Loop Header: Depth=3
	s_add_co_i32 s33, s33, -1
	s_sleep 1
	s_cmp_eq_u32 s33, 0
	s_cbranch_scc0 .LBB116_55
	s_branch .LBB116_53
.LBB116_56:
	v_mov_b64_e32 v[26:27], 1.0
	v_mov_b64_e32 v[24:25], 0
.LBB116_57:
	s_cmp_lg_u32 s14, 0
	s_cbranch_scc0 .LBB116_64
; %bb.58:
	s_and_saveexec_b32 s0, s2
	s_cbranch_execz .LBB116_60
.LBB116_59:
	s_wait_loadcnt_dscnt 0x0
	v_lshl_add_u64 v[6:7], s[22:23], 4, v[10:11]
	global_store_b128 v[6:7], v[2:5], off
.LBB116_60:
	s_wait_xcnt 0x0
	s_or_b32 exec_lo, exec_lo, s0
	global_wb scope:SCOPE_DEV
	s_wait_storecnt 0x0
	s_wait_loadcnt_dscnt 0x0
	global_inv scope:SCOPE_DEV
	s_wait_loadcnt 0x0
	s_barrier_signal -1
	s_barrier_wait -1
	s_mov_b32 s0, exec_lo
	v_cmpx_eq_u32_e32 0, v0
	s_cbranch_execz .LBB116_62
; %bb.61:
	s_lshl_b64 s[0:1], s[20:21], 2
	v_dual_mov_b32 v0, 0 :: v_dual_mov_b32 v1, 1
	s_add_nc_u64 s[0:1], s[6:7], s[0:1]
	s_lshl_b64 s[2:3], s[4:5], 2
	s_delay_alu instid0(SALU_CYCLE_1)
	s_add_nc_u64 s[0:1], s[0:1], s[2:3]
	global_store_b32 v0, v1, s[0:1] scope:SCOPE_DEV
.LBB116_62:
	s_endpgm
.LBB116_63:
                                        ; implicit-def: $sgpr22_sgpr23
	s_clause 0x1
	s_load_b64 s[8:9], s[0:1], 0x58
	s_load_b64 s[16:17], s[0:1], 0x28
	s_branch .LBB116_4
.LBB116_64:
	s_wait_loadcnt_dscnt 0x0
	s_delay_alu instid0(VALU_DEP_1) | instskip(SKIP_1) | instid1(VALU_DEP_2)
	v_mul_f64_e64 v[6:7], v[24:25], -v[4:5]
	v_mul_f64_e32 v[8:9], v[24:25], v[2:3]
	v_fmac_f64_e32 v[6:7], v[2:3], v[26:27]
	s_delay_alu instid0(VALU_DEP_2) | instskip(NEXT) | instid1(VALU_DEP_2)
	v_fmac_f64_e32 v[8:9], v[4:5], v[26:27]
	v_mov_b64_e32 v[2:3], v[6:7]
	s_delay_alu instid0(VALU_DEP_2)
	v_mov_b64_e32 v[4:5], v[8:9]
	s_and_saveexec_b32 s0, s2
	s_cbranch_execnz .LBB116_59
	s_branch .LBB116_60
	.section	.rodata,"a",@progbits
	.p2align	6, 0x0
	.amdhsa_kernel _ZN9rocsparseL5csrsmILj128ELj64ELb1Ell21rocsparse_complex_numIdEEEv20rocsparse_operation_T3_S4_NS_24const_host_device_scalarIT4_EEPKT2_PKS4_PKS6_PS6_lPiSC_PS4_21rocsparse_index_base_20rocsparse_fill_mode_20rocsparse_diag_type_b
		.amdhsa_group_segment_fixed_size 3072
		.amdhsa_private_segment_fixed_size 16
		.amdhsa_kernarg_size 120
		.amdhsa_user_sgpr_count 2
		.amdhsa_user_sgpr_dispatch_ptr 0
		.amdhsa_user_sgpr_queue_ptr 0
		.amdhsa_user_sgpr_kernarg_segment_ptr 1
		.amdhsa_user_sgpr_dispatch_id 0
		.amdhsa_user_sgpr_kernarg_preload_length 0
		.amdhsa_user_sgpr_kernarg_preload_offset 0
		.amdhsa_user_sgpr_private_segment_size 0
		.amdhsa_wavefront_size32 1
		.amdhsa_uses_dynamic_stack 0
		.amdhsa_enable_private_segment 1
		.amdhsa_system_sgpr_workgroup_id_x 1
		.amdhsa_system_sgpr_workgroup_id_y 0
		.amdhsa_system_sgpr_workgroup_id_z 0
		.amdhsa_system_sgpr_workgroup_info 0
		.amdhsa_system_vgpr_workitem_id 0
		.amdhsa_next_free_vgpr 34
		.amdhsa_next_free_sgpr 36
		.amdhsa_named_barrier_count 0
		.amdhsa_reserve_vcc 1
		.amdhsa_float_round_mode_32 0
		.amdhsa_float_round_mode_16_64 0
		.amdhsa_float_denorm_mode_32 3
		.amdhsa_float_denorm_mode_16_64 3
		.amdhsa_fp16_overflow 0
		.amdhsa_memory_ordered 1
		.amdhsa_forward_progress 1
		.amdhsa_inst_pref_size 22
		.amdhsa_round_robin_scheduling 0
		.amdhsa_exception_fp_ieee_invalid_op 0
		.amdhsa_exception_fp_denorm_src 0
		.amdhsa_exception_fp_ieee_div_zero 0
		.amdhsa_exception_fp_ieee_overflow 0
		.amdhsa_exception_fp_ieee_underflow 0
		.amdhsa_exception_fp_ieee_inexact 0
		.amdhsa_exception_int_div_zero 0
	.end_amdhsa_kernel
	.section	.text._ZN9rocsparseL5csrsmILj128ELj64ELb1Ell21rocsparse_complex_numIdEEEv20rocsparse_operation_T3_S4_NS_24const_host_device_scalarIT4_EEPKT2_PKS4_PKS6_PS6_lPiSC_PS4_21rocsparse_index_base_20rocsparse_fill_mode_20rocsparse_diag_type_b,"axG",@progbits,_ZN9rocsparseL5csrsmILj128ELj64ELb1Ell21rocsparse_complex_numIdEEEv20rocsparse_operation_T3_S4_NS_24const_host_device_scalarIT4_EEPKT2_PKS4_PKS6_PS6_lPiSC_PS4_21rocsparse_index_base_20rocsparse_fill_mode_20rocsparse_diag_type_b,comdat
.Lfunc_end116:
	.size	_ZN9rocsparseL5csrsmILj128ELj64ELb1Ell21rocsparse_complex_numIdEEEv20rocsparse_operation_T3_S4_NS_24const_host_device_scalarIT4_EEPKT2_PKS4_PKS6_PS6_lPiSC_PS4_21rocsparse_index_base_20rocsparse_fill_mode_20rocsparse_diag_type_b, .Lfunc_end116-_ZN9rocsparseL5csrsmILj128ELj64ELb1Ell21rocsparse_complex_numIdEEEv20rocsparse_operation_T3_S4_NS_24const_host_device_scalarIT4_EEPKT2_PKS4_PKS6_PS6_lPiSC_PS4_21rocsparse_index_base_20rocsparse_fill_mode_20rocsparse_diag_type_b
                                        ; -- End function
	.set _ZN9rocsparseL5csrsmILj128ELj64ELb1Ell21rocsparse_complex_numIdEEEv20rocsparse_operation_T3_S4_NS_24const_host_device_scalarIT4_EEPKT2_PKS4_PKS6_PS6_lPiSC_PS4_21rocsparse_index_base_20rocsparse_fill_mode_20rocsparse_diag_type_b.num_vgpr, 34
	.set _ZN9rocsparseL5csrsmILj128ELj64ELb1Ell21rocsparse_complex_numIdEEEv20rocsparse_operation_T3_S4_NS_24const_host_device_scalarIT4_EEPKT2_PKS4_PKS6_PS6_lPiSC_PS4_21rocsparse_index_base_20rocsparse_fill_mode_20rocsparse_diag_type_b.num_agpr, 0
	.set _ZN9rocsparseL5csrsmILj128ELj64ELb1Ell21rocsparse_complex_numIdEEEv20rocsparse_operation_T3_S4_NS_24const_host_device_scalarIT4_EEPKT2_PKS4_PKS6_PS6_lPiSC_PS4_21rocsparse_index_base_20rocsparse_fill_mode_20rocsparse_diag_type_b.numbered_sgpr, 36
	.set _ZN9rocsparseL5csrsmILj128ELj64ELb1Ell21rocsparse_complex_numIdEEEv20rocsparse_operation_T3_S4_NS_24const_host_device_scalarIT4_EEPKT2_PKS4_PKS6_PS6_lPiSC_PS4_21rocsparse_index_base_20rocsparse_fill_mode_20rocsparse_diag_type_b.num_named_barrier, 0
	.set _ZN9rocsparseL5csrsmILj128ELj64ELb1Ell21rocsparse_complex_numIdEEEv20rocsparse_operation_T3_S4_NS_24const_host_device_scalarIT4_EEPKT2_PKS4_PKS6_PS6_lPiSC_PS4_21rocsparse_index_base_20rocsparse_fill_mode_20rocsparse_diag_type_b.private_seg_size, 16
	.set _ZN9rocsparseL5csrsmILj128ELj64ELb1Ell21rocsparse_complex_numIdEEEv20rocsparse_operation_T3_S4_NS_24const_host_device_scalarIT4_EEPKT2_PKS4_PKS6_PS6_lPiSC_PS4_21rocsparse_index_base_20rocsparse_fill_mode_20rocsparse_diag_type_b.uses_vcc, 1
	.set _ZN9rocsparseL5csrsmILj128ELj64ELb1Ell21rocsparse_complex_numIdEEEv20rocsparse_operation_T3_S4_NS_24const_host_device_scalarIT4_EEPKT2_PKS4_PKS6_PS6_lPiSC_PS4_21rocsparse_index_base_20rocsparse_fill_mode_20rocsparse_diag_type_b.uses_flat_scratch, 0
	.set _ZN9rocsparseL5csrsmILj128ELj64ELb1Ell21rocsparse_complex_numIdEEEv20rocsparse_operation_T3_S4_NS_24const_host_device_scalarIT4_EEPKT2_PKS4_PKS6_PS6_lPiSC_PS4_21rocsparse_index_base_20rocsparse_fill_mode_20rocsparse_diag_type_b.has_dyn_sized_stack, 0
	.set _ZN9rocsparseL5csrsmILj128ELj64ELb1Ell21rocsparse_complex_numIdEEEv20rocsparse_operation_T3_S4_NS_24const_host_device_scalarIT4_EEPKT2_PKS4_PKS6_PS6_lPiSC_PS4_21rocsparse_index_base_20rocsparse_fill_mode_20rocsparse_diag_type_b.has_recursion, 0
	.set _ZN9rocsparseL5csrsmILj128ELj64ELb1Ell21rocsparse_complex_numIdEEEv20rocsparse_operation_T3_S4_NS_24const_host_device_scalarIT4_EEPKT2_PKS4_PKS6_PS6_lPiSC_PS4_21rocsparse_index_base_20rocsparse_fill_mode_20rocsparse_diag_type_b.has_indirect_call, 0
	.section	.AMDGPU.csdata,"",@progbits
; Kernel info:
; codeLenInByte = 2800
; TotalNumSgprs: 38
; NumVgprs: 34
; ScratchSize: 16
; MemoryBound: 1
; FloatMode: 240
; IeeeMode: 1
; LDSByteSize: 3072 bytes/workgroup (compile time only)
; SGPRBlocks: 0
; VGPRBlocks: 2
; NumSGPRsForWavesPerEU: 38
; NumVGPRsForWavesPerEU: 34
; NamedBarCnt: 0
; Occupancy: 16
; WaveLimiterHint : 1
; COMPUTE_PGM_RSRC2:SCRATCH_EN: 1
; COMPUTE_PGM_RSRC2:USER_SGPR: 2
; COMPUTE_PGM_RSRC2:TRAP_HANDLER: 0
; COMPUTE_PGM_RSRC2:TGID_X_EN: 1
; COMPUTE_PGM_RSRC2:TGID_Y_EN: 0
; COMPUTE_PGM_RSRC2:TGID_Z_EN: 0
; COMPUTE_PGM_RSRC2:TIDIG_COMP_CNT: 0
	.section	.text._ZN9rocsparseL5csrsmILj128ELj64ELb0Ell21rocsparse_complex_numIdEEEv20rocsparse_operation_T3_S4_NS_24const_host_device_scalarIT4_EEPKT2_PKS4_PKS6_PS6_lPiSC_PS4_21rocsparse_index_base_20rocsparse_fill_mode_20rocsparse_diag_type_b,"axG",@progbits,_ZN9rocsparseL5csrsmILj128ELj64ELb0Ell21rocsparse_complex_numIdEEEv20rocsparse_operation_T3_S4_NS_24const_host_device_scalarIT4_EEPKT2_PKS4_PKS6_PS6_lPiSC_PS4_21rocsparse_index_base_20rocsparse_fill_mode_20rocsparse_diag_type_b,comdat
	.globl	_ZN9rocsparseL5csrsmILj128ELj64ELb0Ell21rocsparse_complex_numIdEEEv20rocsparse_operation_T3_S4_NS_24const_host_device_scalarIT4_EEPKT2_PKS4_PKS6_PS6_lPiSC_PS4_21rocsparse_index_base_20rocsparse_fill_mode_20rocsparse_diag_type_b ; -- Begin function _ZN9rocsparseL5csrsmILj128ELj64ELb0Ell21rocsparse_complex_numIdEEEv20rocsparse_operation_T3_S4_NS_24const_host_device_scalarIT4_EEPKT2_PKS4_PKS6_PS6_lPiSC_PS4_21rocsparse_index_base_20rocsparse_fill_mode_20rocsparse_diag_type_b
	.p2align	8
	.type	_ZN9rocsparseL5csrsmILj128ELj64ELb0Ell21rocsparse_complex_numIdEEEv20rocsparse_operation_T3_S4_NS_24const_host_device_scalarIT4_EEPKT2_PKS4_PKS6_PS6_lPiSC_PS4_21rocsparse_index_base_20rocsparse_fill_mode_20rocsparse_diag_type_b,@function
_ZN9rocsparseL5csrsmILj128ELj64ELb0Ell21rocsparse_complex_numIdEEEv20rocsparse_operation_T3_S4_NS_24const_host_device_scalarIT4_EEPKT2_PKS4_PKS6_PS6_lPiSC_PS4_21rocsparse_index_base_20rocsparse_fill_mode_20rocsparse_diag_type_b: ; @_ZN9rocsparseL5csrsmILj128ELj64ELb0Ell21rocsparse_complex_numIdEEEv20rocsparse_operation_T3_S4_NS_24const_host_device_scalarIT4_EEPKT2_PKS4_PKS6_PS6_lPiSC_PS4_21rocsparse_index_base_20rocsparse_fill_mode_20rocsparse_diag_type_b
; %bb.0:
	s_clause 0x1
	s_load_b128 s[12:15], s[0:1], 0x68
	s_load_b256 s[4:11], s[0:1], 0x8
	v_mbcnt_lo_u32_b32 v1, -1, 0
	s_mov_b32 s3, 0
	s_delay_alu instid0(VALU_DEP_1) | instskip(NEXT) | instid1(VALU_DEP_1)
	v_dual_mov_b32 v2, 0 :: v_dual_lshlrev_b32 v3, 20, v1
	v_add_nc_u64_e32 v[2:3], src_flat_scratch_base_lo, v[2:3]
	s_wait_kmcnt 0x0
	s_bitcmp1_b32 s15, 0
	v_mov_b64_e32 v[4:5], s[8:9]
	s_cselect_b32 vcc_lo, -1, 0
	v_mov_b64_e32 v[8:9], s[10:11]
	s_delay_alu instid0(VALU_DEP_3)
	v_cndmask_b32_e32 v3, s9, v3, vcc_lo
	v_cndmask_b32_e32 v2, s8, v2, vcc_lo
	s_and_b32 vcc_lo, exec_lo, vcc_lo
	scratch_store_b64 off, v[4:5], off
	flat_load_b64 v[6:7], v[2:3]
	s_cbranch_vccnz .LBB117_2
; %bb.1:
	v_mov_b32_e32 v1, 0
	flat_load_b64 v[8:9], v1, s[8:9] offset:8
.LBB117_2:
	s_bfe_u32 s2, ttmp6, 0x4000c
	s_wait_xcnt 0x0
	s_and_b32 s8, ttmp6, 15
	s_add_co_i32 s2, s2, 1
	s_getreg_b32 s9, hwreg(HW_REG_IB_STS2, 6, 4)
	s_mul_i32 s2, ttmp9, s2
	s_delay_alu instid0(SALU_CYCLE_1) | instskip(SKIP_3) | instid1(SALU_CYCLE_1)
	s_add_co_i32 s8, s8, s2
	s_cmp_eq_u32 s9, 0
	s_cselect_b32 s2, ttmp9, s8
	s_and_b64 s[8:9], s[4:5], 0xffffffff00000000
	s_cmp_lg_u64 s[8:9], 0
	s_cbranch_scc0 .LBB117_60
; %bb.3:
	s_ashr_i32 s8, s5, 31
	s_delay_alu instid0(SALU_CYCLE_1) | instskip(NEXT) | instid1(SALU_CYCLE_1)
	s_mov_b32 s9, s8
	s_add_nc_u64 s[10:11], s[4:5], s[8:9]
	s_delay_alu instid0(SALU_CYCLE_1) | instskip(NEXT) | instid1(SALU_CYCLE_1)
	s_xor_b64 s[16:17], s[10:11], s[8:9]
	s_cvt_f32_u32 s10, s16
	s_cvt_f32_u32 s11, s17
	s_sub_nc_u64 s[20:21], 0, s[16:17]
	s_delay_alu instid0(SALU_CYCLE_2) | instskip(NEXT) | instid1(SALU_CYCLE_3)
	s_fmamk_f32 s10, s11, 0x4f800000, s10
	v_s_rcp_f32 s10, s10
	s_delay_alu instid0(TRANS32_DEP_1) | instskip(NEXT) | instid1(SALU_CYCLE_3)
	s_mul_f32 s10, s10, 0x5f7ffffc
	s_mul_f32 s11, s10, 0x2f800000
	s_delay_alu instid0(SALU_CYCLE_3) | instskip(NEXT) | instid1(SALU_CYCLE_3)
	s_trunc_f32 s11, s11
	s_fmamk_f32 s10, s11, 0xcf800000, s10
	s_cvt_u32_f32 s19, s11
	s_mov_b32 s11, 0
	s_delay_alu instid0(SALU_CYCLE_1) | instskip(NEXT) | instid1(SALU_CYCLE_3)
	s_cvt_u32_f32 s18, s10
	s_mul_u64 s[22:23], s[20:21], s[18:19]
	s_delay_alu instid0(SALU_CYCLE_1)
	s_mul_hi_u32 s25, s18, s23
	s_mul_i32 s24, s18, s23
	s_mul_hi_u32 s10, s18, s22
	s_mul_i32 s26, s19, s22
	s_add_nc_u64 s[24:25], s[10:11], s[24:25]
	s_mul_hi_u32 s15, s19, s22
	s_mul_hi_u32 s27, s19, s23
	s_add_co_u32 s10, s24, s26
	s_add_co_ci_u32 s10, s25, s15
	s_mul_i32 s22, s19, s23
	s_add_co_ci_u32 s23, s27, 0
	s_delay_alu instid0(SALU_CYCLE_1) | instskip(NEXT) | instid1(SALU_CYCLE_1)
	s_add_nc_u64 s[22:23], s[10:11], s[22:23]
	s_add_co_u32 s18, s18, s22
	s_cselect_b32 s10, -1, 0
	s_delay_alu instid0(SALU_CYCLE_1) | instskip(SKIP_1) | instid1(SALU_CYCLE_1)
	s_cmp_lg_u32 s10, 0
	s_add_co_ci_u32 s19, s19, s23
	s_mul_u64 s[20:21], s[20:21], s[18:19]
	s_delay_alu instid0(SALU_CYCLE_1)
	s_mul_hi_u32 s23, s18, s21
	s_mul_i32 s22, s18, s21
	s_mul_hi_u32 s10, s18, s20
	s_mul_i32 s24, s19, s20
	s_add_nc_u64 s[22:23], s[10:11], s[22:23]
	s_mul_hi_u32 s15, s19, s20
	s_mul_hi_u32 s25, s19, s21
	s_add_co_u32 s10, s22, s24
	s_add_co_ci_u32 s10, s23, s15
	s_mul_i32 s20, s19, s21
	s_add_co_ci_u32 s21, s25, 0
	s_add_nc_u64 s[22:23], s[2:3], 0
	s_add_nc_u64 s[20:21], s[10:11], s[20:21]
	s_delay_alu instid0(SALU_CYCLE_1) | instskip(SKIP_1) | instid1(SALU_CYCLE_1)
	s_add_co_u32 s15, s18, s20
	s_cselect_b32 s10, -1, 0
	s_cmp_lg_u32 s10, 0
	s_add_co_ci_u32 s24, s19, s21
	s_xor_b64 s[18:19], s[22:23], 0
	s_delay_alu instid0(SALU_CYCLE_1)
	s_mul_hi_u32 s21, s18, s24
	s_mul_i32 s20, s18, s24
	s_mul_hi_u32 s10, s18, s15
	s_mul_hi_u32 s25, s19, s15
	s_mul_i32 s15, s19, s15
	s_add_nc_u64 s[20:21], s[10:11], s[20:21]
	s_mul_hi_u32 s23, s19, s24
	s_add_co_u32 s10, s20, s15
	s_add_co_ci_u32 s10, s21, s25
	s_mul_i32 s22, s19, s24
	s_add_co_ci_u32 s23, s23, 0
	s_delay_alu instid0(SALU_CYCLE_1) | instskip(NEXT) | instid1(SALU_CYCLE_1)
	s_add_nc_u64 s[20:21], s[10:11], s[22:23]
	s_and_b64 s[22:23], s[20:21], 0xffffffff00000000
	s_delay_alu instid0(SALU_CYCLE_1) | instskip(NEXT) | instid1(SALU_CYCLE_1)
	s_or_b32 s22, s22, s20
	s_mul_u64 s[20:21], s[16:17], s[22:23]
	s_delay_alu instid0(SALU_CYCLE_1)
	s_sub_co_u32 s10, s18, s20
	s_cselect_b32 s15, -1, 0
	s_sub_co_i32 s18, s19, s21
	s_cmp_lg_u32 s15, 0
	s_sub_co_ci_u32 s18, s18, s17
	s_sub_co_u32 s20, s10, s16
	s_cselect_b32 s24, -1, 0
	s_delay_alu instid0(SALU_CYCLE_1) | instskip(SKIP_2) | instid1(SALU_CYCLE_1)
	s_cmp_lg_u32 s24, 0
	s_add_nc_u64 s[24:25], s[22:23], 1
	s_sub_co_ci_u32 s18, s18, 0
	s_cmp_ge_u32 s18, s17
	s_cselect_b32 s26, -1, 0
	s_cmp_ge_u32 s20, s16
	s_cselect_b32 s20, -1, 0
	s_cmp_eq_u32 s18, s17
	s_cselect_b32 s18, s20, s26
	s_add_nc_u64 s[26:27], s[22:23], 2
	s_cmp_lg_u32 s18, 0
	s_cselect_b32 s18, s26, s24
	s_cselect_b32 s20, s27, s25
	s_cmp_lg_u32 s15, 0
	s_sub_co_ci_u32 s15, s19, s21
	s_delay_alu instid0(SALU_CYCLE_1)
	s_cmp_ge_u32 s15, s17
	s_cselect_b32 s19, -1, 0
	s_cmp_ge_u32 s10, s16
	s_cselect_b32 s10, -1, 0
	s_cmp_eq_u32 s15, s17
	s_cselect_b32 s10, s10, s19
	s_delay_alu instid0(SALU_CYCLE_1) | instskip(SKIP_3) | instid1(SALU_CYCLE_1)
	s_cmp_lg_u32 s10, 0
	s_cselect_b32 s17, s20, s23
	s_cselect_b32 s16, s18, s22
	s_xor_b64 s[8:9], 0, s[8:9]
	s_xor_b64 s[16:17], s[16:17], s[8:9]
	s_delay_alu instid0(SALU_CYCLE_1)
	s_sub_nc_u64 s[22:23], s[16:17], s[8:9]
	s_clause 0x1
	s_load_b64 s[8:9], s[0:1], 0x58
	s_load_b64 s[16:17], s[0:1], 0x28
	s_cbranch_execnz .LBB117_5
.LBB117_4:
	v_cvt_f32_u32_e32 v1, s4
	s_sub_co_i32 s11, 0, s4
	s_mov_b32 s23, 0
	s_delay_alu instid0(VALU_DEP_1) | instskip(SKIP_1) | instid1(TRANS32_DEP_1)
	v_rcp_iflag_f32_e32 v1, v1
	v_nop
	v_mul_f32_e32 v1, 0x4f7ffffe, v1
	s_delay_alu instid0(VALU_DEP_1) | instskip(NEXT) | instid1(VALU_DEP_1)
	v_cvt_u32_f32_e32 v1, v1
	v_readfirstlane_b32 s10, v1
	s_mul_i32 s11, s11, s10
	s_delay_alu instid0(SALU_CYCLE_1) | instskip(NEXT) | instid1(SALU_CYCLE_1)
	s_mul_hi_u32 s11, s10, s11
	s_add_co_i32 s10, s10, s11
	s_delay_alu instid0(SALU_CYCLE_1) | instskip(NEXT) | instid1(SALU_CYCLE_1)
	s_mul_hi_u32 s10, s2, s10
	s_mul_i32 s11, s10, s4
	s_add_co_i32 s15, s10, 1
	s_sub_co_i32 s11, s2, s11
	s_delay_alu instid0(SALU_CYCLE_1)
	s_sub_co_i32 s18, s11, s4
	s_cmp_ge_u32 s11, s4
	s_cselect_b32 s10, s15, s10
	s_cselect_b32 s11, s18, s11
	s_add_co_i32 s15, s10, 1
	s_cmp_ge_u32 s11, s4
	s_cselect_b32 s22, s15, s10
.LBB117_5:
	s_delay_alu instid0(SALU_CYCLE_1)
	s_mul_u64 s[4:5], s[22:23], s[4:5]
	s_load_b32 s15, s[0:1], 0x0
	s_sub_nc_u64 s[2:3], s[2:3], s[4:5]
	v_mov_b32_e32 v1, 0
	s_lshl_b64 s[2:3], s[2:3], 3
	s_wait_kmcnt 0x0
	s_add_nc_u64 s[2:3], s[8:9], s[2:3]
	s_load_b64 s[20:21], s[2:3], 0x0
	s_load_b128 s[8:11], s[0:1], 0x40
	s_wait_kmcnt 0x0
	s_lshl_b64 s[2:3], s[20:21], 3
	s_delay_alu instid0(SALU_CYCLE_1)
	s_add_nc_u64 s[2:3], s[16:17], s[2:3]
	s_load_b128 s[16:19], s[2:3], 0x0
	s_wait_xcnt 0x0
	s_lshl_b64 s[2:3], s[22:23], 7
	s_mul_u64 s[22:23], s[20:21], s[10:11]
	v_dual_mov_b32 v11, s3 :: v_dual_bitop2_b32 v10, s2, v0 bitop3:0x54
	s_cmp_lg_u32 s15, 0x71
	s_delay_alu instid0(VALU_DEP_1)
	v_add_nc_u64_e32 v[12:13], s[22:23], v[10:11]
	v_cmp_gt_i64_e64 s2, s[6:7], v[10:11]
	s_cbranch_scc0 .LBB117_9
; %bb.6:
	v_mov_b64_e32 v[4:5], 0
	v_mov_b64_e32 v[2:3], 0
	s_and_saveexec_b32 s3, s2
	s_cbranch_execz .LBB117_8
; %bb.7:
	v_lshl_add_u64 v[2:3], v[12:13], 4, s[8:9]
	global_load_b128 v[14:17], v[2:3], off
	s_wait_loadcnt_dscnt 0x0
	v_mul_f64_e64 v[2:3], v[16:17], -v[8:9]
	v_mul_f64_e32 v[4:5], v[6:7], v[16:17]
	s_delay_alu instid0(VALU_DEP_2) | instskip(NEXT) | instid1(VALU_DEP_2)
	v_fmac_f64_e32 v[2:3], v[6:7], v[14:15]
	v_fmac_f64_e32 v[4:5], v[8:9], v[14:15]
.LBB117_8:
	s_or_b32 exec_lo, exec_lo, s3
	s_cbranch_execz .LBB117_10
	s_branch .LBB117_13
.LBB117_9:
                                        ; implicit-def: $vgpr4_vgpr5
.LBB117_10:
	v_mov_b64_e32 v[4:5], 0
	v_mov_b64_e32 v[2:3], 0
	s_and_saveexec_b32 s3, s2
	s_cbranch_execz .LBB117_12
; %bb.11:
	v_lshl_add_u64 v[2:3], v[12:13], 4, s[8:9]
	global_load_b128 v[12:15], v[2:3], off
	s_wait_loadcnt_dscnt 0x0
	v_mul_f64_e32 v[2:3], v[8:9], v[14:15]
	v_mul_f64_e64 v[4:5], v[6:7], -v[14:15]
	s_delay_alu instid0(VALU_DEP_2) | instskip(NEXT) | instid1(VALU_DEP_2)
	v_fmac_f64_e32 v[2:3], v[6:7], v[12:13]
	v_fmac_f64_e32 v[4:5], v[8:9], v[12:13]
.LBB117_12:
	s_or_b32 exec_lo, exec_lo, s3
.LBB117_13:
	s_load_b64 s[6:7], s[0:1], 0x50
	s_wait_kmcnt 0x0
	v_cmp_ge_i64_e64 s3, s[16:17], s[18:19]
	v_lshl_add_u64 v[10:11], v[10:11], 4, s[8:9]
	s_and_b32 vcc_lo, exec_lo, s3
	v_cmp_eq_u32_e64 s3, 0, v0
	s_cbranch_vccnz .LBB117_53
; %bb.14:
	s_clause 0x1
	s_load_b128 s[28:31], s[0:1], 0x30
	s_load_b64 s[8:9], s[0:1], 0x60
	v_dual_mov_b32 v13, 0 :: v_dual_lshlrev_b32 v12, 3, v0
	v_lshlrev_b32_e32 v14, 4, v0
	v_mov_b64_e32 v[20:21], 1.0
	v_mov_b64_e32 v[22:23], 0
	s_mov_b32 s25, 0
	v_mov_b32_e32 v15, v13
	s_mov_b32 s24, s12
	s_wait_xcnt 0x0
	s_lshl_b64 s[0:1], s[4:5], 2
	s_sub_nc_u64 s[16:17], s[16:17], s[24:25]
	s_cmp_eq_u32 s14, 0
	s_add_nc_u64 s[26:27], s[6:7], s[0:1]
	s_sub_nc_u64 s[18:19], s[18:19], s[24:25]
	s_cselect_b32 s12, -1, 0
	s_wait_kmcnt 0x0
	v_add_nc_u64_e32 v[16:17], s[28:29], v[12:13]
	v_add_nc_u64_e32 v[18:19], s[30:31], v[14:15]
	v_or_b32_e32 v12, 0x800, v12
	s_add_nc_u64 s[28:29], s[20:21], s[24:25]
	s_mov_b64 s[30:31], s[16:17]
	s_delay_alu instid0(SALU_CYCLE_1) | instskip(NEXT) | instid1(SALU_CYCLE_1)
	s_sub_co_i32 s0, s30, s16
	s_and_b32 s0, s0, 0x7f
	s_delay_alu instid0(SALU_CYCLE_1)
	s_cmp_lg_u32 s0, 0
	s_cbranch_scc1 .LBB117_18
.LBB117_15:
	s_wait_loadcnt_dscnt 0x0
	v_mov_b64_e32 v[6:7], -1.0
	v_mov_b64_e32 v[8:9], 0
	v_mov_b64_e32 v[24:25], -1
	s_sub_nc_u64 s[34:35], s[18:19], s[30:31]
	s_mov_b32 s1, exec_lo
	v_cmpx_gt_i64_e64 s[34:35], v[0:1]
	s_cbranch_execz .LBB117_17
; %bb.16:
	v_lshl_add_u64 v[6:7], s[30:31], 3, v[16:17]
	global_load_b64 v[24:25], v[6:7], off
	s_wait_xcnt 0x0
	v_lshl_add_u64 v[6:7], s[30:31], 4, v[18:19]
	global_load_b128 v[6:9], v[6:7], off
	s_wait_loadcnt 0x1
	v_sub_nc_u64_e64 v[24:25], v[24:25], s[24:25]
.LBB117_17:
	s_wait_xcnt 0x0
	s_or_b32 exec_lo, exec_lo, s1
	ds_store_b64 v12, v[24:25]
	s_wait_loadcnt 0x0
	ds_store_b128 v14, v[6:9]
.LBB117_18:                             ; =>This Loop Header: Depth=1
                                        ;     Child Loop BB117_43 Depth 2
	s_lshl_b32 s1, s0, 4
	s_wait_storecnt 0x0
	s_wait_loadcnt_dscnt 0x0
	v_mov_b32_e32 v6, s1
	s_barrier_signal -1
	s_barrier_wait -1
	s_lshl_b32 s1, s0, 3
	ds_load_b128 v[24:27], v6
	v_mov_b32_e32 v6, s1
	ds_load_b64 v[6:7], v6 offset:2048
	s_wait_dscnt 0x1
	v_cmp_eq_f64_e32 vcc_lo, 0, v[24:25]
	v_cmp_eq_f64_e64 s0, 0, v[26:27]
	s_wait_dscnt 0x0
	v_readfirstlane_b32 s34, v6
	v_readfirstlane_b32 s35, v7
	s_and_b32 s1, vcc_lo, s0
	s_cmp_eq_u64 s[34:35], s[20:21]
	s_cselect_b32 s17, -1, 0
	s_cmp_lg_u64 s[34:35], s[20:21]
	s_cselect_b32 s0, -1, 0
	s_and_b32 s1, s1, s17
	s_delay_alu instid0(SALU_CYCLE_1) | instskip(NEXT) | instid1(SALU_CYCLE_1)
	s_and_b32 s1, s12, s1
	v_cndmask_b32_e64 v7, v27, 0, s1
	v_cndmask_b32_e64 v6, v26, 0, s1
	;; [unrolled: 1-line block ×4, first 2 shown]
	s_and_b32 s15, s3, s1
	s_delay_alu instid0(SALU_CYCLE_1)
	s_and_saveexec_b32 s1, s15
	s_cbranch_execz .LBB117_22
; %bb.19:                               ;   in Loop: Header=BB117_18 Depth=1
	v_mbcnt_lo_u32_b32 v6, exec_lo, 0
	s_mov_b32 s15, exec_lo
	s_delay_alu instid0(VALU_DEP_1)
	v_cmpx_eq_u32_e32 0, v6
	s_cbranch_execz .LBB117_21
; %bb.20:                               ;   in Loop: Header=BB117_18 Depth=1
	v_mov_b64_e32 v[6:7], s[28:29]
	global_atomic_min_u64 v13, v[6:7], s[8:9] scope:SCOPE_DEV
.LBB117_21:                             ;   in Loop: Header=BB117_18 Depth=1
	s_wait_xcnt 0x0
	s_or_b32 exec_lo, exec_lo, s15
	v_mov_b64_e32 v[8:9], 1.0
	v_mov_b64_e32 v[6:7], 0
.LBB117_22:                             ;   in Loop: Header=BB117_18 Depth=1
	s_or_b32 exec_lo, exec_lo, s1
	s_mov_b32 s33, -1
	s_mov_b32 s1, 0
	s_cmp_lt_i32 s13, 1
	s_mov_b32 s15, 0
                                        ; implicit-def: $vgpr24_vgpr25
                                        ; implicit-def: $vgpr26_vgpr27
	s_cbranch_scc0 .LBB117_29
; %bb.23:                               ;   in Loop: Header=BB117_18 Depth=1
	s_and_b32 vcc_lo, exec_lo, s33
	s_mov_b32 s17, 4
	s_cbranch_vccnz .LBB117_36
.LBB117_24:                             ;   in Loop: Header=BB117_18 Depth=1
	v_mov_b64_e32 v[30:31], v[4:5]
	v_mov_b64_e32 v[28:29], v[2:3]
	s_and_b32 vcc_lo, exec_lo, s15
	s_cbranch_vccnz .LBB117_41
.LBB117_25:                             ;   in Loop: Header=BB117_18 Depth=1
	s_and_b32 vcc_lo, exec_lo, s1
	s_cbranch_vccnz .LBB117_47
.LBB117_26:                             ;   in Loop: Header=BB117_18 Depth=1
	s_mov_b32 s0, -1
	s_cmp_gt_i32 s17, 3
	s_mov_b32 s1, -1
	s_cbranch_scc0 .LBB117_50
.LBB117_27:                             ;   in Loop: Header=BB117_18 Depth=1
	s_and_not1_b32 vcc_lo, exec_lo, s1
	s_cbranch_vccz .LBB117_51
.LBB117_28:                             ;   in Loop: Header=BB117_18 Depth=1
	s_delay_alu instid0(VALU_DEP_1) | instskip(NEXT) | instid1(VALU_DEP_2)
	v_mov_b64_e32 v[4:5], v[30:31]
	v_mov_b64_e32 v[2:3], v[28:29]
	s_and_not1_b32 vcc_lo, exec_lo, s0
	s_cbranch_vccnz .LBB117_52
	s_branch .LBB117_54
.LBB117_29:                             ;   in Loop: Header=BB117_18 Depth=1
	s_cmp_eq_u32 s13, 1
	s_mov_b32 s15, -1
                                        ; implicit-def: $vgpr24_vgpr25
                                        ; implicit-def: $vgpr26_vgpr27
	s_cbranch_scc0 .LBB117_35
; %bb.30:                               ;   in Loop: Header=BB117_18 Depth=1
	v_cmp_ge_i64_e64 s15, s[34:35], s[20:21]
	v_mov_b64_e32 v[24:25], v[22:23]
	v_mov_b64_e32 v[26:27], v[20:21]
	s_and_b32 vcc_lo, exec_lo, s15
	s_mov_b32 s15, 0
	s_cbranch_vccz .LBB117_35
; %bb.31:                               ;   in Loop: Header=BB117_18 Depth=1
	s_and_b32 vcc_lo, exec_lo, s17
	s_mov_b32 s15, -1
                                        ; implicit-def: $vgpr24_vgpr25
                                        ; implicit-def: $vgpr26_vgpr27
	s_cbranch_vccz .LBB117_35
; %bb.32:                               ;   in Loop: Header=BB117_18 Depth=1
	v_mov_b64_e32 v[24:25], v[22:23]
	v_mov_b64_e32 v[26:27], v[20:21]
	s_and_not1_b32 vcc_lo, exec_lo, s12
	s_cbranch_vccnz .LBB117_34
; %bb.33:                               ;   in Loop: Header=BB117_18 Depth=1
	v_mul_f64_e32 v[24:25], v[6:7], v[6:7]
	s_delay_alu instid0(VALU_DEP_1) | instskip(NEXT) | instid1(VALU_DEP_1)
	v_fmac_f64_e32 v[24:25], v[8:9], v[8:9]
	v_div_scale_f64 v[26:27], null, v[24:25], v[24:25], 1.0
	v_div_scale_f64 v[32:33], vcc_lo, 1.0, v[24:25], 1.0
	s_delay_alu instid0(VALU_DEP_2) | instskip(SKIP_1) | instid1(TRANS32_DEP_1)
	v_rcp_f64_e32 v[28:29], v[26:27]
	v_nop
	v_fma_f64 v[30:31], -v[26:27], v[28:29], 1.0
	s_delay_alu instid0(VALU_DEP_1) | instskip(NEXT) | instid1(VALU_DEP_1)
	v_fmac_f64_e32 v[28:29], v[28:29], v[30:31]
	v_fma_f64 v[30:31], -v[26:27], v[28:29], 1.0
	s_delay_alu instid0(VALU_DEP_1) | instskip(NEXT) | instid1(VALU_DEP_1)
	v_fmac_f64_e32 v[28:29], v[28:29], v[30:31]
	v_mul_f64_e32 v[30:31], v[32:33], v[28:29]
	s_delay_alu instid0(VALU_DEP_1) | instskip(NEXT) | instid1(VALU_DEP_1)
	v_fma_f64 v[26:27], -v[26:27], v[30:31], v[32:33]
	v_div_fmas_f64 v[26:27], v[26:27], v[28:29], v[30:31]
	v_fma_f64 v[28:29], 0, v[6:7], v[8:9]
	v_fma_f64 v[30:31], v[8:9], 0, -v[6:7]
	s_delay_alu instid0(VALU_DEP_3) | instskip(NEXT) | instid1(VALU_DEP_1)
	v_div_fixup_f64 v[24:25], v[26:27], v[24:25], 1.0
	v_mul_f64_e32 v[26:27], v[28:29], v[24:25]
	s_delay_alu instid0(VALU_DEP_3)
	v_mul_f64_e32 v[24:25], v[30:31], v[24:25]
.LBB117_34:                             ;   in Loop: Header=BB117_18 Depth=1
	s_mov_b32 s15, 0
.LBB117_35:                             ;   in Loop: Header=BB117_18 Depth=1
	s_mov_b32 s17, 4
	s_branch .LBB117_24
.LBB117_36:                             ;   in Loop: Header=BB117_18 Depth=1
	s_cmp_eq_u32 s13, 0
	s_cbranch_scc1 .LBB117_38
; %bb.37:                               ;   in Loop: Header=BB117_18 Depth=1
	s_mov_b32 s15, -1
	s_branch .LBB117_40
.LBB117_38:                             ;   in Loop: Header=BB117_18 Depth=1
	v_cmp_le_i64_e64 s15, s[34:35], s[20:21]
	s_and_b32 vcc_lo, exec_lo, s15
	s_mov_b32 s15, 0
	s_cbranch_vccz .LBB117_40
; %bb.39:                               ;   in Loop: Header=BB117_18 Depth=1
	s_mov_b32 s1, -1
	s_mov_b32 s15, s0
.LBB117_40:                             ;   in Loop: Header=BB117_18 Depth=1
	v_mov_b64_e32 v[24:25], v[22:23]
	v_mov_b64_e32 v[26:27], v[20:21]
	s_mov_b32 s17, 2
	v_mov_b64_e32 v[30:31], v[4:5]
	v_mov_b64_e32 v[28:29], v[2:3]
	s_and_b32 vcc_lo, exec_lo, s15
	s_cbranch_vccz .LBB117_25
.LBB117_41:                             ;   in Loop: Header=BB117_18 Depth=1
	s_and_saveexec_b32 s15, s3
	s_cbranch_execz .LBB117_44
; %bb.42:                               ;   in Loop: Header=BB117_18 Depth=1
	s_lshl_b64 s[0:1], s[34:35], 2
	s_delay_alu instid0(SALU_CYCLE_1)
	s_add_nc_u64 s[0:1], s[26:27], s[0:1]
	global_load_b32 v15, v13, s[0:1] scope:SCOPE_DEV
	s_wait_loadcnt 0x0
	v_cmp_ne_u32_e32 vcc_lo, 0, v15
	s_cbranch_vccnz .LBB117_44
.LBB117_43:                             ;   Parent Loop BB117_18 Depth=1
                                        ; =>  This Inner Loop Header: Depth=2
	global_load_b32 v15, v13, s[0:1] scope:SCOPE_DEV
	s_wait_loadcnt 0x0
	v_cmp_eq_u32_e32 vcc_lo, 0, v15
	s_cbranch_vccnz .LBB117_43
.LBB117_44:                             ;   in Loop: Header=BB117_18 Depth=1
	s_wait_xcnt 0x0
	s_or_b32 exec_lo, exec_lo, s15
	v_mov_b64_e32 v[30:31], 0
	v_mov_b64_e32 v[28:29], 0
	s_wait_storecnt 0x0
	s_barrier_signal -1
	s_barrier_wait -1
	global_inv scope:SCOPE_DEV
	s_and_saveexec_b32 s0, s2
	s_cbranch_execz .LBB117_46
; %bb.45:                               ;   in Loop: Header=BB117_18 Depth=1
	s_mul_u64 s[34:35], s[34:35], s[10:11]
	s_delay_alu instid0(SALU_CYCLE_1) | instskip(SKIP_4) | instid1(VALU_DEP_2)
	v_lshl_add_u64 v[24:25], s[34:35], 4, v[10:11]
	global_load_b128 v[24:27], v[24:25], off
	s_wait_loadcnt 0x0
	v_fma_f64 v[28:29], -v[8:9], v[24:25], v[2:3]
	v_fma_f64 v[24:25], -v[6:7], v[24:25], v[4:5]
	v_fmac_f64_e32 v[28:29], v[6:7], v[26:27]
	s_delay_alu instid0(VALU_DEP_2)
	v_fma_f64 v[30:31], -v[8:9], v[26:27], v[24:25]
.LBB117_46:                             ;   in Loop: Header=BB117_18 Depth=1
	s_or_b32 exec_lo, exec_lo, s0
	v_mov_b64_e32 v[24:25], v[22:23]
	v_mov_b64_e32 v[26:27], v[20:21]
	s_mov_b32 s17, 0
	s_branch .LBB117_26
.LBB117_47:                             ;   in Loop: Header=BB117_18 Depth=1
	s_and_not1_b32 vcc_lo, exec_lo, s12
	s_cbranch_vccnz .LBB117_49
; %bb.48:                               ;   in Loop: Header=BB117_18 Depth=1
	v_mul_f64_e32 v[20:21], v[6:7], v[6:7]
	s_delay_alu instid0(VALU_DEP_1) | instskip(NEXT) | instid1(VALU_DEP_1)
	v_fmac_f64_e32 v[20:21], v[8:9], v[8:9]
	v_div_scale_f64 v[22:23], null, v[20:21], v[20:21], 1.0
	v_div_scale_f64 v[28:29], vcc_lo, 1.0, v[20:21], 1.0
	s_delay_alu instid0(VALU_DEP_2) | instskip(SKIP_1) | instid1(TRANS32_DEP_1)
	v_rcp_f64_e32 v[24:25], v[22:23]
	v_nop
	v_fma_f64 v[26:27], -v[22:23], v[24:25], 1.0
	s_delay_alu instid0(VALU_DEP_1) | instskip(NEXT) | instid1(VALU_DEP_1)
	v_fmac_f64_e32 v[24:25], v[24:25], v[26:27]
	v_fma_f64 v[26:27], -v[22:23], v[24:25], 1.0
	s_delay_alu instid0(VALU_DEP_1) | instskip(NEXT) | instid1(VALU_DEP_1)
	v_fmac_f64_e32 v[24:25], v[24:25], v[26:27]
	v_mul_f64_e32 v[26:27], v[28:29], v[24:25]
	s_delay_alu instid0(VALU_DEP_1) | instskip(NEXT) | instid1(VALU_DEP_1)
	v_fma_f64 v[22:23], -v[22:23], v[26:27], v[28:29]
	v_div_fmas_f64 v[22:23], v[22:23], v[24:25], v[26:27]
	v_fma_f64 v[24:25], 0, v[6:7], v[8:9]
	v_fma_f64 v[6:7], v[8:9], 0, -v[6:7]
	s_delay_alu instid0(VALU_DEP_3) | instskip(NEXT) | instid1(VALU_DEP_1)
	v_div_fixup_f64 v[22:23], v[22:23], v[20:21], 1.0
	v_mul_f64_e32 v[20:21], v[24:25], v[22:23]
	s_delay_alu instid0(VALU_DEP_3)
	v_mul_f64_e32 v[22:23], v[6:7], v[22:23]
.LBB117_49:                             ;   in Loop: Header=BB117_18 Depth=1
	s_delay_alu instid0(VALU_DEP_2) | instskip(NEXT) | instid1(VALU_DEP_2)
	v_mov_b64_e32 v[26:27], v[20:21]
	v_mov_b64_e32 v[24:25], v[22:23]
	;; [unrolled: 1-line block ×4, first 2 shown]
	s_mov_b32 s17, 2
	s_mov_b32 s0, -1
	s_cmp_gt_i32 s17, 3
	s_mov_b32 s1, -1
	s_cbranch_scc1 .LBB117_27
.LBB117_50:                             ;   in Loop: Header=BB117_18 Depth=1
	s_cmp_eq_u32 s17, 0
	s_cselect_b32 s1, -1, 0
	s_delay_alu instid0(SALU_CYCLE_1)
	s_and_not1_b32 vcc_lo, exec_lo, s1
	s_cbranch_vccnz .LBB117_28
.LBB117_51:                             ;   in Loop: Header=BB117_18 Depth=1
	s_add_nc_u64 s[30:31], s[30:31], 1
	s_delay_alu instid0(SALU_CYCLE_1) | instskip(NEXT) | instid1(VALU_DEP_2)
	v_cmp_ge_i64_e64 s0, s[30:31], s[18:19]
	v_mov_b64_e32 v[4:5], v[30:31]
	s_delay_alu instid0(VALU_DEP_3)
	v_mov_b64_e32 v[2:3], v[28:29]
	s_and_not1_b32 vcc_lo, exec_lo, s0
	s_cbranch_vccz .LBB117_54
.LBB117_52:                             ;   in Loop: Header=BB117_18 Depth=1
	s_delay_alu instid0(VALU_DEP_4) | instskip(NEXT) | instid1(VALU_DEP_4)
	v_mov_b64_e32 v[22:23], v[24:25]
	v_mov_b64_e32 v[20:21], v[26:27]
	s_sub_co_i32 s0, s30, s16
	s_delay_alu instid0(SALU_CYCLE_1) | instskip(NEXT) | instid1(SALU_CYCLE_1)
	s_and_b32 s0, s0, 0x7f
	s_cmp_lg_u32 s0, 0
	s_cbranch_scc1 .LBB117_18
	s_branch .LBB117_15
.LBB117_53:
	v_mov_b64_e32 v[26:27], 1.0
	v_mov_b64_e32 v[24:25], 0
.LBB117_54:
	s_cmp_lg_u32 s14, 0
	s_cbranch_scc0 .LBB117_61
; %bb.55:
	s_and_saveexec_b32 s0, s2
	s_cbranch_execz .LBB117_57
.LBB117_56:
	s_wait_loadcnt_dscnt 0x0
	v_lshl_add_u64 v[6:7], s[22:23], 4, v[10:11]
	global_store_b128 v[6:7], v[2:5], off
.LBB117_57:
	s_wait_xcnt 0x0
	s_or_b32 exec_lo, exec_lo, s0
	global_wb scope:SCOPE_DEV
	s_wait_storecnt 0x0
	s_wait_loadcnt_dscnt 0x0
	global_inv scope:SCOPE_DEV
	s_wait_loadcnt 0x0
	s_barrier_signal -1
	s_barrier_wait -1
	s_mov_b32 s0, exec_lo
	v_cmpx_eq_u32_e32 0, v0
	s_cbranch_execz .LBB117_59
; %bb.58:
	s_lshl_b64 s[0:1], s[20:21], 2
	v_dual_mov_b32 v0, 0 :: v_dual_mov_b32 v1, 1
	s_add_nc_u64 s[0:1], s[6:7], s[0:1]
	s_lshl_b64 s[2:3], s[4:5], 2
	s_delay_alu instid0(SALU_CYCLE_1)
	s_add_nc_u64 s[0:1], s[0:1], s[2:3]
	global_store_b32 v0, v1, s[0:1] scope:SCOPE_DEV
.LBB117_59:
	s_endpgm
.LBB117_60:
                                        ; implicit-def: $sgpr22_sgpr23
	s_clause 0x1
	s_load_b64 s[8:9], s[0:1], 0x58
	s_load_b64 s[16:17], s[0:1], 0x28
	s_branch .LBB117_4
.LBB117_61:
	s_wait_loadcnt_dscnt 0x0
	s_delay_alu instid0(VALU_DEP_1) | instskip(SKIP_1) | instid1(VALU_DEP_2)
	v_mul_f64_e64 v[6:7], v[24:25], -v[4:5]
	v_mul_f64_e32 v[8:9], v[24:25], v[2:3]
	v_fmac_f64_e32 v[6:7], v[2:3], v[26:27]
	s_delay_alu instid0(VALU_DEP_2) | instskip(NEXT) | instid1(VALU_DEP_2)
	v_fmac_f64_e32 v[8:9], v[4:5], v[26:27]
	v_mov_b64_e32 v[2:3], v[6:7]
	s_delay_alu instid0(VALU_DEP_2)
	v_mov_b64_e32 v[4:5], v[8:9]
	s_and_saveexec_b32 s0, s2
	s_cbranch_execnz .LBB117_56
	s_branch .LBB117_57
	.section	.rodata,"a",@progbits
	.p2align	6, 0x0
	.amdhsa_kernel _ZN9rocsparseL5csrsmILj128ELj64ELb0Ell21rocsparse_complex_numIdEEEv20rocsparse_operation_T3_S4_NS_24const_host_device_scalarIT4_EEPKT2_PKS4_PKS6_PS6_lPiSC_PS4_21rocsparse_index_base_20rocsparse_fill_mode_20rocsparse_diag_type_b
		.amdhsa_group_segment_fixed_size 3072
		.amdhsa_private_segment_fixed_size 16
		.amdhsa_kernarg_size 120
		.amdhsa_user_sgpr_count 2
		.amdhsa_user_sgpr_dispatch_ptr 0
		.amdhsa_user_sgpr_queue_ptr 0
		.amdhsa_user_sgpr_kernarg_segment_ptr 1
		.amdhsa_user_sgpr_dispatch_id 0
		.amdhsa_user_sgpr_kernarg_preload_length 0
		.amdhsa_user_sgpr_kernarg_preload_offset 0
		.amdhsa_user_sgpr_private_segment_size 0
		.amdhsa_wavefront_size32 1
		.amdhsa_uses_dynamic_stack 0
		.amdhsa_enable_private_segment 1
		.amdhsa_system_sgpr_workgroup_id_x 1
		.amdhsa_system_sgpr_workgroup_id_y 0
		.amdhsa_system_sgpr_workgroup_id_z 0
		.amdhsa_system_sgpr_workgroup_info 0
		.amdhsa_system_vgpr_workitem_id 0
		.amdhsa_next_free_vgpr 34
		.amdhsa_next_free_sgpr 36
		.amdhsa_named_barrier_count 0
		.amdhsa_reserve_vcc 1
		.amdhsa_float_round_mode_32 0
		.amdhsa_float_round_mode_16_64 0
		.amdhsa_float_denorm_mode_32 3
		.amdhsa_float_denorm_mode_16_64 3
		.amdhsa_fp16_overflow 0
		.amdhsa_memory_ordered 1
		.amdhsa_forward_progress 1
		.amdhsa_inst_pref_size 22
		.amdhsa_round_robin_scheduling 0
		.amdhsa_exception_fp_ieee_invalid_op 0
		.amdhsa_exception_fp_denorm_src 0
		.amdhsa_exception_fp_ieee_div_zero 0
		.amdhsa_exception_fp_ieee_overflow 0
		.amdhsa_exception_fp_ieee_underflow 0
		.amdhsa_exception_fp_ieee_inexact 0
		.amdhsa_exception_int_div_zero 0
	.end_amdhsa_kernel
	.section	.text._ZN9rocsparseL5csrsmILj128ELj64ELb0Ell21rocsparse_complex_numIdEEEv20rocsparse_operation_T3_S4_NS_24const_host_device_scalarIT4_EEPKT2_PKS4_PKS6_PS6_lPiSC_PS4_21rocsparse_index_base_20rocsparse_fill_mode_20rocsparse_diag_type_b,"axG",@progbits,_ZN9rocsparseL5csrsmILj128ELj64ELb0Ell21rocsparse_complex_numIdEEEv20rocsparse_operation_T3_S4_NS_24const_host_device_scalarIT4_EEPKT2_PKS4_PKS6_PS6_lPiSC_PS4_21rocsparse_index_base_20rocsparse_fill_mode_20rocsparse_diag_type_b,comdat
.Lfunc_end117:
	.size	_ZN9rocsparseL5csrsmILj128ELj64ELb0Ell21rocsparse_complex_numIdEEEv20rocsparse_operation_T3_S4_NS_24const_host_device_scalarIT4_EEPKT2_PKS4_PKS6_PS6_lPiSC_PS4_21rocsparse_index_base_20rocsparse_fill_mode_20rocsparse_diag_type_b, .Lfunc_end117-_ZN9rocsparseL5csrsmILj128ELj64ELb0Ell21rocsparse_complex_numIdEEEv20rocsparse_operation_T3_S4_NS_24const_host_device_scalarIT4_EEPKT2_PKS4_PKS6_PS6_lPiSC_PS4_21rocsparse_index_base_20rocsparse_fill_mode_20rocsparse_diag_type_b
                                        ; -- End function
	.set _ZN9rocsparseL5csrsmILj128ELj64ELb0Ell21rocsparse_complex_numIdEEEv20rocsparse_operation_T3_S4_NS_24const_host_device_scalarIT4_EEPKT2_PKS4_PKS6_PS6_lPiSC_PS4_21rocsparse_index_base_20rocsparse_fill_mode_20rocsparse_diag_type_b.num_vgpr, 34
	.set _ZN9rocsparseL5csrsmILj128ELj64ELb0Ell21rocsparse_complex_numIdEEEv20rocsparse_operation_T3_S4_NS_24const_host_device_scalarIT4_EEPKT2_PKS4_PKS6_PS6_lPiSC_PS4_21rocsparse_index_base_20rocsparse_fill_mode_20rocsparse_diag_type_b.num_agpr, 0
	.set _ZN9rocsparseL5csrsmILj128ELj64ELb0Ell21rocsparse_complex_numIdEEEv20rocsparse_operation_T3_S4_NS_24const_host_device_scalarIT4_EEPKT2_PKS4_PKS6_PS6_lPiSC_PS4_21rocsparse_index_base_20rocsparse_fill_mode_20rocsparse_diag_type_b.numbered_sgpr, 36
	.set _ZN9rocsparseL5csrsmILj128ELj64ELb0Ell21rocsparse_complex_numIdEEEv20rocsparse_operation_T3_S4_NS_24const_host_device_scalarIT4_EEPKT2_PKS4_PKS6_PS6_lPiSC_PS4_21rocsparse_index_base_20rocsparse_fill_mode_20rocsparse_diag_type_b.num_named_barrier, 0
	.set _ZN9rocsparseL5csrsmILj128ELj64ELb0Ell21rocsparse_complex_numIdEEEv20rocsparse_operation_T3_S4_NS_24const_host_device_scalarIT4_EEPKT2_PKS4_PKS6_PS6_lPiSC_PS4_21rocsparse_index_base_20rocsparse_fill_mode_20rocsparse_diag_type_b.private_seg_size, 16
	.set _ZN9rocsparseL5csrsmILj128ELj64ELb0Ell21rocsparse_complex_numIdEEEv20rocsparse_operation_T3_S4_NS_24const_host_device_scalarIT4_EEPKT2_PKS4_PKS6_PS6_lPiSC_PS4_21rocsparse_index_base_20rocsparse_fill_mode_20rocsparse_diag_type_b.uses_vcc, 1
	.set _ZN9rocsparseL5csrsmILj128ELj64ELb0Ell21rocsparse_complex_numIdEEEv20rocsparse_operation_T3_S4_NS_24const_host_device_scalarIT4_EEPKT2_PKS4_PKS6_PS6_lPiSC_PS4_21rocsparse_index_base_20rocsparse_fill_mode_20rocsparse_diag_type_b.uses_flat_scratch, 0
	.set _ZN9rocsparseL5csrsmILj128ELj64ELb0Ell21rocsparse_complex_numIdEEEv20rocsparse_operation_T3_S4_NS_24const_host_device_scalarIT4_EEPKT2_PKS4_PKS6_PS6_lPiSC_PS4_21rocsparse_index_base_20rocsparse_fill_mode_20rocsparse_diag_type_b.has_dyn_sized_stack, 0
	.set _ZN9rocsparseL5csrsmILj128ELj64ELb0Ell21rocsparse_complex_numIdEEEv20rocsparse_operation_T3_S4_NS_24const_host_device_scalarIT4_EEPKT2_PKS4_PKS6_PS6_lPiSC_PS4_21rocsparse_index_base_20rocsparse_fill_mode_20rocsparse_diag_type_b.has_recursion, 0
	.set _ZN9rocsparseL5csrsmILj128ELj64ELb0Ell21rocsparse_complex_numIdEEEv20rocsparse_operation_T3_S4_NS_24const_host_device_scalarIT4_EEPKT2_PKS4_PKS6_PS6_lPiSC_PS4_21rocsparse_index_base_20rocsparse_fill_mode_20rocsparse_diag_type_b.has_indirect_call, 0
	.section	.AMDGPU.csdata,"",@progbits
; Kernel info:
; codeLenInByte = 2736
; TotalNumSgprs: 38
; NumVgprs: 34
; ScratchSize: 16
; MemoryBound: 1
; FloatMode: 240
; IeeeMode: 1
; LDSByteSize: 3072 bytes/workgroup (compile time only)
; SGPRBlocks: 0
; VGPRBlocks: 2
; NumSGPRsForWavesPerEU: 38
; NumVGPRsForWavesPerEU: 34
; NamedBarCnt: 0
; Occupancy: 16
; WaveLimiterHint : 1
; COMPUTE_PGM_RSRC2:SCRATCH_EN: 1
; COMPUTE_PGM_RSRC2:USER_SGPR: 2
; COMPUTE_PGM_RSRC2:TRAP_HANDLER: 0
; COMPUTE_PGM_RSRC2:TGID_X_EN: 1
; COMPUTE_PGM_RSRC2:TGID_Y_EN: 0
; COMPUTE_PGM_RSRC2:TGID_Z_EN: 0
; COMPUTE_PGM_RSRC2:TIDIG_COMP_CNT: 0
	.section	.text._ZN9rocsparseL5csrsmILj256ELj64ELb1Ell21rocsparse_complex_numIdEEEv20rocsparse_operation_T3_S4_NS_24const_host_device_scalarIT4_EEPKT2_PKS4_PKS6_PS6_lPiSC_PS4_21rocsparse_index_base_20rocsparse_fill_mode_20rocsparse_diag_type_b,"axG",@progbits,_ZN9rocsparseL5csrsmILj256ELj64ELb1Ell21rocsparse_complex_numIdEEEv20rocsparse_operation_T3_S4_NS_24const_host_device_scalarIT4_EEPKT2_PKS4_PKS6_PS6_lPiSC_PS4_21rocsparse_index_base_20rocsparse_fill_mode_20rocsparse_diag_type_b,comdat
	.globl	_ZN9rocsparseL5csrsmILj256ELj64ELb1Ell21rocsparse_complex_numIdEEEv20rocsparse_operation_T3_S4_NS_24const_host_device_scalarIT4_EEPKT2_PKS4_PKS6_PS6_lPiSC_PS4_21rocsparse_index_base_20rocsparse_fill_mode_20rocsparse_diag_type_b ; -- Begin function _ZN9rocsparseL5csrsmILj256ELj64ELb1Ell21rocsparse_complex_numIdEEEv20rocsparse_operation_T3_S4_NS_24const_host_device_scalarIT4_EEPKT2_PKS4_PKS6_PS6_lPiSC_PS4_21rocsparse_index_base_20rocsparse_fill_mode_20rocsparse_diag_type_b
	.p2align	8
	.type	_ZN9rocsparseL5csrsmILj256ELj64ELb1Ell21rocsparse_complex_numIdEEEv20rocsparse_operation_T3_S4_NS_24const_host_device_scalarIT4_EEPKT2_PKS4_PKS6_PS6_lPiSC_PS4_21rocsparse_index_base_20rocsparse_fill_mode_20rocsparse_diag_type_b,@function
_ZN9rocsparseL5csrsmILj256ELj64ELb1Ell21rocsparse_complex_numIdEEEv20rocsparse_operation_T3_S4_NS_24const_host_device_scalarIT4_EEPKT2_PKS4_PKS6_PS6_lPiSC_PS4_21rocsparse_index_base_20rocsparse_fill_mode_20rocsparse_diag_type_b: ; @_ZN9rocsparseL5csrsmILj256ELj64ELb1Ell21rocsparse_complex_numIdEEEv20rocsparse_operation_T3_S4_NS_24const_host_device_scalarIT4_EEPKT2_PKS4_PKS6_PS6_lPiSC_PS4_21rocsparse_index_base_20rocsparse_fill_mode_20rocsparse_diag_type_b
; %bb.0:
	s_clause 0x1
	s_load_b128 s[12:15], s[0:1], 0x68
	s_load_b256 s[4:11], s[0:1], 0x8
	v_mbcnt_lo_u32_b32 v1, -1, 0
	s_mov_b32 s3, 0
	s_delay_alu instid0(VALU_DEP_1) | instskip(NEXT) | instid1(VALU_DEP_1)
	v_dual_mov_b32 v2, 0 :: v_dual_lshlrev_b32 v3, 20, v1
	v_add_nc_u64_e32 v[2:3], src_flat_scratch_base_lo, v[2:3]
	s_wait_kmcnt 0x0
	s_bitcmp1_b32 s15, 0
	v_mov_b64_e32 v[4:5], s[8:9]
	s_cselect_b32 vcc_lo, -1, 0
	v_mov_b64_e32 v[8:9], s[10:11]
	s_delay_alu instid0(VALU_DEP_3)
	v_cndmask_b32_e32 v3, s9, v3, vcc_lo
	v_cndmask_b32_e32 v2, s8, v2, vcc_lo
	s_and_b32 vcc_lo, exec_lo, vcc_lo
	scratch_store_b64 off, v[4:5], off
	flat_load_b64 v[6:7], v[2:3]
	s_cbranch_vccnz .LBB118_2
; %bb.1:
	v_mov_b32_e32 v1, 0
	flat_load_b64 v[8:9], v1, s[8:9] offset:8
.LBB118_2:
	s_bfe_u32 s2, ttmp6, 0x4000c
	s_wait_xcnt 0x0
	s_and_b32 s8, ttmp6, 15
	s_add_co_i32 s2, s2, 1
	s_getreg_b32 s9, hwreg(HW_REG_IB_STS2, 6, 4)
	s_mul_i32 s2, ttmp9, s2
	s_delay_alu instid0(SALU_CYCLE_1) | instskip(SKIP_3) | instid1(SALU_CYCLE_1)
	s_add_co_i32 s8, s8, s2
	s_cmp_eq_u32 s9, 0
	s_cselect_b32 s2, ttmp9, s8
	s_and_b64 s[8:9], s[4:5], 0xffffffff00000000
	s_cmp_lg_u64 s[8:9], 0
	s_cbranch_scc0 .LBB118_63
; %bb.3:
	s_ashr_i32 s8, s5, 31
	s_delay_alu instid0(SALU_CYCLE_1) | instskip(NEXT) | instid1(SALU_CYCLE_1)
	s_mov_b32 s9, s8
	s_add_nc_u64 s[10:11], s[4:5], s[8:9]
	s_delay_alu instid0(SALU_CYCLE_1) | instskip(NEXT) | instid1(SALU_CYCLE_1)
	s_xor_b64 s[16:17], s[10:11], s[8:9]
	s_cvt_f32_u32 s10, s16
	s_cvt_f32_u32 s11, s17
	s_sub_nc_u64 s[20:21], 0, s[16:17]
	s_delay_alu instid0(SALU_CYCLE_2) | instskip(NEXT) | instid1(SALU_CYCLE_3)
	s_fmamk_f32 s10, s11, 0x4f800000, s10
	v_s_rcp_f32 s10, s10
	s_delay_alu instid0(TRANS32_DEP_1) | instskip(NEXT) | instid1(SALU_CYCLE_3)
	s_mul_f32 s10, s10, 0x5f7ffffc
	s_mul_f32 s11, s10, 0x2f800000
	s_delay_alu instid0(SALU_CYCLE_3) | instskip(NEXT) | instid1(SALU_CYCLE_3)
	s_trunc_f32 s11, s11
	s_fmamk_f32 s10, s11, 0xcf800000, s10
	s_cvt_u32_f32 s19, s11
	s_mov_b32 s11, 0
	s_delay_alu instid0(SALU_CYCLE_1) | instskip(NEXT) | instid1(SALU_CYCLE_3)
	s_cvt_u32_f32 s18, s10
	s_mul_u64 s[22:23], s[20:21], s[18:19]
	s_delay_alu instid0(SALU_CYCLE_1)
	s_mul_hi_u32 s25, s18, s23
	s_mul_i32 s24, s18, s23
	s_mul_hi_u32 s10, s18, s22
	s_mul_i32 s26, s19, s22
	s_add_nc_u64 s[24:25], s[10:11], s[24:25]
	s_mul_hi_u32 s15, s19, s22
	s_mul_hi_u32 s27, s19, s23
	s_add_co_u32 s10, s24, s26
	s_add_co_ci_u32 s10, s25, s15
	s_mul_i32 s22, s19, s23
	s_add_co_ci_u32 s23, s27, 0
	s_delay_alu instid0(SALU_CYCLE_1) | instskip(NEXT) | instid1(SALU_CYCLE_1)
	s_add_nc_u64 s[22:23], s[10:11], s[22:23]
	s_add_co_u32 s18, s18, s22
	s_cselect_b32 s10, -1, 0
	s_delay_alu instid0(SALU_CYCLE_1) | instskip(SKIP_1) | instid1(SALU_CYCLE_1)
	s_cmp_lg_u32 s10, 0
	s_add_co_ci_u32 s19, s19, s23
	s_mul_u64 s[20:21], s[20:21], s[18:19]
	s_delay_alu instid0(SALU_CYCLE_1)
	s_mul_hi_u32 s23, s18, s21
	s_mul_i32 s22, s18, s21
	s_mul_hi_u32 s10, s18, s20
	s_mul_i32 s24, s19, s20
	s_add_nc_u64 s[22:23], s[10:11], s[22:23]
	s_mul_hi_u32 s15, s19, s20
	s_mul_hi_u32 s25, s19, s21
	s_add_co_u32 s10, s22, s24
	s_add_co_ci_u32 s10, s23, s15
	s_mul_i32 s20, s19, s21
	s_add_co_ci_u32 s21, s25, 0
	s_add_nc_u64 s[22:23], s[2:3], 0
	s_add_nc_u64 s[20:21], s[10:11], s[20:21]
	s_delay_alu instid0(SALU_CYCLE_1) | instskip(SKIP_1) | instid1(SALU_CYCLE_1)
	s_add_co_u32 s15, s18, s20
	s_cselect_b32 s10, -1, 0
	s_cmp_lg_u32 s10, 0
	s_add_co_ci_u32 s24, s19, s21
	s_xor_b64 s[18:19], s[22:23], 0
	s_delay_alu instid0(SALU_CYCLE_1)
	s_mul_hi_u32 s21, s18, s24
	s_mul_i32 s20, s18, s24
	s_mul_hi_u32 s10, s18, s15
	s_mul_hi_u32 s25, s19, s15
	s_mul_i32 s15, s19, s15
	s_add_nc_u64 s[20:21], s[10:11], s[20:21]
	s_mul_hi_u32 s23, s19, s24
	s_add_co_u32 s10, s20, s15
	s_add_co_ci_u32 s10, s21, s25
	s_mul_i32 s22, s19, s24
	s_add_co_ci_u32 s23, s23, 0
	s_delay_alu instid0(SALU_CYCLE_1) | instskip(NEXT) | instid1(SALU_CYCLE_1)
	s_add_nc_u64 s[20:21], s[10:11], s[22:23]
	s_and_b64 s[22:23], s[20:21], 0xffffffff00000000
	s_delay_alu instid0(SALU_CYCLE_1) | instskip(NEXT) | instid1(SALU_CYCLE_1)
	s_or_b32 s22, s22, s20
	s_mul_u64 s[20:21], s[16:17], s[22:23]
	s_delay_alu instid0(SALU_CYCLE_1)
	s_sub_co_u32 s10, s18, s20
	s_cselect_b32 s15, -1, 0
	s_sub_co_i32 s18, s19, s21
	s_cmp_lg_u32 s15, 0
	s_sub_co_ci_u32 s18, s18, s17
	s_sub_co_u32 s20, s10, s16
	s_cselect_b32 s24, -1, 0
	s_delay_alu instid0(SALU_CYCLE_1) | instskip(SKIP_2) | instid1(SALU_CYCLE_1)
	s_cmp_lg_u32 s24, 0
	s_add_nc_u64 s[24:25], s[22:23], 1
	s_sub_co_ci_u32 s18, s18, 0
	s_cmp_ge_u32 s18, s17
	s_cselect_b32 s26, -1, 0
	s_cmp_ge_u32 s20, s16
	s_cselect_b32 s20, -1, 0
	s_cmp_eq_u32 s18, s17
	s_cselect_b32 s18, s20, s26
	s_add_nc_u64 s[26:27], s[22:23], 2
	s_cmp_lg_u32 s18, 0
	s_cselect_b32 s18, s26, s24
	s_cselect_b32 s20, s27, s25
	s_cmp_lg_u32 s15, 0
	s_sub_co_ci_u32 s15, s19, s21
	s_delay_alu instid0(SALU_CYCLE_1)
	s_cmp_ge_u32 s15, s17
	s_cselect_b32 s19, -1, 0
	s_cmp_ge_u32 s10, s16
	s_cselect_b32 s10, -1, 0
	s_cmp_eq_u32 s15, s17
	s_cselect_b32 s10, s10, s19
	s_delay_alu instid0(SALU_CYCLE_1) | instskip(SKIP_3) | instid1(SALU_CYCLE_1)
	s_cmp_lg_u32 s10, 0
	s_cselect_b32 s17, s20, s23
	s_cselect_b32 s16, s18, s22
	s_xor_b64 s[8:9], 0, s[8:9]
	s_xor_b64 s[16:17], s[16:17], s[8:9]
	s_delay_alu instid0(SALU_CYCLE_1)
	s_sub_nc_u64 s[22:23], s[16:17], s[8:9]
	s_clause 0x1
	s_load_b64 s[8:9], s[0:1], 0x58
	s_load_b64 s[16:17], s[0:1], 0x28
	s_cbranch_execnz .LBB118_5
.LBB118_4:
	v_cvt_f32_u32_e32 v1, s4
	s_sub_co_i32 s11, 0, s4
	s_mov_b32 s23, 0
	s_delay_alu instid0(VALU_DEP_1) | instskip(SKIP_1) | instid1(TRANS32_DEP_1)
	v_rcp_iflag_f32_e32 v1, v1
	v_nop
	v_mul_f32_e32 v1, 0x4f7ffffe, v1
	s_delay_alu instid0(VALU_DEP_1) | instskip(NEXT) | instid1(VALU_DEP_1)
	v_cvt_u32_f32_e32 v1, v1
	v_readfirstlane_b32 s10, v1
	s_mul_i32 s11, s11, s10
	s_delay_alu instid0(SALU_CYCLE_1) | instskip(NEXT) | instid1(SALU_CYCLE_1)
	s_mul_hi_u32 s11, s10, s11
	s_add_co_i32 s10, s10, s11
	s_delay_alu instid0(SALU_CYCLE_1) | instskip(NEXT) | instid1(SALU_CYCLE_1)
	s_mul_hi_u32 s10, s2, s10
	s_mul_i32 s11, s10, s4
	s_add_co_i32 s15, s10, 1
	s_sub_co_i32 s11, s2, s11
	s_delay_alu instid0(SALU_CYCLE_1)
	s_sub_co_i32 s18, s11, s4
	s_cmp_ge_u32 s11, s4
	s_cselect_b32 s10, s15, s10
	s_cselect_b32 s11, s18, s11
	s_add_co_i32 s15, s10, 1
	s_cmp_ge_u32 s11, s4
	s_cselect_b32 s22, s15, s10
.LBB118_5:
	s_delay_alu instid0(SALU_CYCLE_1)
	s_mul_u64 s[4:5], s[22:23], s[4:5]
	s_load_b32 s15, s[0:1], 0x0
	s_sub_nc_u64 s[2:3], s[2:3], s[4:5]
	v_mov_b32_e32 v1, 0
	s_lshl_b64 s[2:3], s[2:3], 3
	s_wait_kmcnt 0x0
	s_add_nc_u64 s[2:3], s[8:9], s[2:3]
	s_load_b64 s[20:21], s[2:3], 0x0
	s_load_b128 s[8:11], s[0:1], 0x40
	s_wait_kmcnt 0x0
	s_lshl_b64 s[2:3], s[20:21], 3
	s_delay_alu instid0(SALU_CYCLE_1)
	s_add_nc_u64 s[2:3], s[16:17], s[2:3]
	s_load_b128 s[16:19], s[2:3], 0x0
	s_wait_xcnt 0x0
	s_lshl_b64 s[2:3], s[22:23], 8
	s_mul_u64 s[22:23], s[20:21], s[10:11]
	v_dual_mov_b32 v11, s3 :: v_dual_bitop2_b32 v10, s2, v0 bitop3:0x54
	s_cmp_lg_u32 s15, 0x71
	s_delay_alu instid0(VALU_DEP_1)
	v_add_nc_u64_e32 v[12:13], s[22:23], v[10:11]
	v_cmp_gt_i64_e64 s2, s[6:7], v[10:11]
	s_cbranch_scc0 .LBB118_9
; %bb.6:
	v_mov_b64_e32 v[4:5], 0
	v_mov_b64_e32 v[2:3], 0
	s_and_saveexec_b32 s3, s2
	s_cbranch_execz .LBB118_8
; %bb.7:
	v_lshl_add_u64 v[2:3], v[12:13], 4, s[8:9]
	global_load_b128 v[14:17], v[2:3], off
	s_wait_loadcnt_dscnt 0x0
	v_mul_f64_e64 v[2:3], v[16:17], -v[8:9]
	v_mul_f64_e32 v[4:5], v[6:7], v[16:17]
	s_delay_alu instid0(VALU_DEP_2) | instskip(NEXT) | instid1(VALU_DEP_2)
	v_fmac_f64_e32 v[2:3], v[6:7], v[14:15]
	v_fmac_f64_e32 v[4:5], v[8:9], v[14:15]
.LBB118_8:
	s_or_b32 exec_lo, exec_lo, s3
	s_cbranch_execz .LBB118_10
	s_branch .LBB118_13
.LBB118_9:
                                        ; implicit-def: $vgpr4_vgpr5
.LBB118_10:
	v_mov_b64_e32 v[4:5], 0
	v_mov_b64_e32 v[2:3], 0
	s_and_saveexec_b32 s3, s2
	s_cbranch_execz .LBB118_12
; %bb.11:
	v_lshl_add_u64 v[2:3], v[12:13], 4, s[8:9]
	global_load_b128 v[12:15], v[2:3], off
	s_wait_loadcnt_dscnt 0x0
	v_mul_f64_e32 v[2:3], v[8:9], v[14:15]
	v_mul_f64_e64 v[4:5], v[6:7], -v[14:15]
	s_delay_alu instid0(VALU_DEP_2) | instskip(NEXT) | instid1(VALU_DEP_2)
	v_fmac_f64_e32 v[2:3], v[6:7], v[12:13]
	v_fmac_f64_e32 v[4:5], v[8:9], v[12:13]
.LBB118_12:
	s_or_b32 exec_lo, exec_lo, s3
.LBB118_13:
	s_load_b64 s[6:7], s[0:1], 0x50
	s_wait_kmcnt 0x0
	v_cmp_ge_i64_e64 s3, s[16:17], s[18:19]
	v_lshl_add_u64 v[10:11], v[10:11], 4, s[8:9]
	s_and_b32 vcc_lo, exec_lo, s3
	v_cmp_eq_u32_e64 s3, 0, v0
	s_cbranch_vccnz .LBB118_56
; %bb.14:
	s_clause 0x1
	s_load_b128 s[28:31], s[0:1], 0x30
	s_load_b64 s[8:9], s[0:1], 0x60
	v_dual_mov_b32 v13, 0 :: v_dual_lshlrev_b32 v12, 3, v0
	v_lshlrev_b32_e32 v14, 4, v0
	v_mov_b64_e32 v[20:21], 1.0
	v_mov_b64_e32 v[22:23], 0
	s_mov_b32 s25, 0
	v_mov_b32_e32 v15, v13
	s_mov_b32 s24, s12
	s_wait_xcnt 0x0
	s_lshl_b64 s[0:1], s[4:5], 2
	s_sub_nc_u64 s[16:17], s[16:17], s[24:25]
	s_cmp_eq_u32 s14, 0
	s_add_nc_u64 s[26:27], s[6:7], s[0:1]
	s_sub_nc_u64 s[18:19], s[18:19], s[24:25]
	s_cselect_b32 s12, -1, 0
	s_wait_kmcnt 0x0
	v_add_nc_u64_e32 v[16:17], s[28:29], v[12:13]
	v_add_nc_u64_e32 v[18:19], s[30:31], v[14:15]
	v_or_b32_e32 v12, 0x1000, v12
	s_add_nc_u64 s[28:29], s[20:21], s[24:25]
	s_mov_b64 s[30:31], s[16:17]
	s_delay_alu instid0(SALU_CYCLE_1) | instskip(NEXT) | instid1(SALU_CYCLE_1)
	s_sub_co_i32 s0, s30, s16
	s_and_b32 s0, s0, 0xff
	s_delay_alu instid0(SALU_CYCLE_1)
	s_cmp_lg_u32 s0, 0
	s_cbranch_scc1 .LBB118_18
.LBB118_15:
	s_wait_loadcnt_dscnt 0x0
	v_mov_b64_e32 v[6:7], -1.0
	v_mov_b64_e32 v[8:9], 0
	v_mov_b64_e32 v[24:25], -1
	s_sub_nc_u64 s[34:35], s[18:19], s[30:31]
	s_mov_b32 s1, exec_lo
	v_cmpx_gt_i64_e64 s[34:35], v[0:1]
	s_cbranch_execz .LBB118_17
; %bb.16:
	v_lshl_add_u64 v[6:7], s[30:31], 3, v[16:17]
	global_load_b64 v[24:25], v[6:7], off
	s_wait_xcnt 0x0
	v_lshl_add_u64 v[6:7], s[30:31], 4, v[18:19]
	global_load_b128 v[6:9], v[6:7], off
	s_wait_loadcnt 0x1
	v_sub_nc_u64_e64 v[24:25], v[24:25], s[24:25]
.LBB118_17:
	s_wait_xcnt 0x0
	s_or_b32 exec_lo, exec_lo, s1
	ds_store_b64 v12, v[24:25]
	s_wait_loadcnt 0x0
	ds_store_b128 v14, v[6:9]
.LBB118_18:                             ; =>This Loop Header: Depth=1
                                        ;     Child Loop BB118_54 Depth 2
                                        ;       Child Loop BB118_55 Depth 3
	s_lshl_b32 s1, s0, 4
	s_wait_storecnt 0x0
	s_wait_loadcnt_dscnt 0x0
	v_mov_b32_e32 v6, s1
	s_barrier_signal -1
	s_barrier_wait -1
	s_lshl_b32 s1, s0, 3
	ds_load_b128 v[24:27], v6
	v_mov_b32_e32 v6, s1
	ds_load_b64 v[6:7], v6 offset:4096
	s_wait_dscnt 0x1
	v_cmp_eq_f64_e32 vcc_lo, 0, v[24:25]
	v_cmp_eq_f64_e64 s0, 0, v[26:27]
	s_wait_dscnt 0x0
	v_readfirstlane_b32 s34, v6
	v_readfirstlane_b32 s35, v7
	s_and_b32 s1, vcc_lo, s0
	s_cmp_eq_u64 s[34:35], s[20:21]
	s_cselect_b32 s17, -1, 0
	s_cmp_lg_u64 s[34:35], s[20:21]
	s_cselect_b32 s0, -1, 0
	s_and_b32 s1, s1, s17
	s_delay_alu instid0(SALU_CYCLE_1) | instskip(NEXT) | instid1(SALU_CYCLE_1)
	s_and_b32 s1, s12, s1
	v_cndmask_b32_e64 v7, v27, 0, s1
	v_cndmask_b32_e64 v6, v26, 0, s1
	;; [unrolled: 1-line block ×4, first 2 shown]
	s_and_b32 s15, s3, s1
	s_delay_alu instid0(SALU_CYCLE_1)
	s_and_saveexec_b32 s1, s15
	s_cbranch_execz .LBB118_22
; %bb.19:                               ;   in Loop: Header=BB118_18 Depth=1
	v_mbcnt_lo_u32_b32 v6, exec_lo, 0
	s_mov_b32 s15, exec_lo
	s_delay_alu instid0(VALU_DEP_1)
	v_cmpx_eq_u32_e32 0, v6
	s_cbranch_execz .LBB118_21
; %bb.20:                               ;   in Loop: Header=BB118_18 Depth=1
	v_mov_b64_e32 v[6:7], s[28:29]
	global_atomic_min_u64 v13, v[6:7], s[8:9] scope:SCOPE_DEV
.LBB118_21:                             ;   in Loop: Header=BB118_18 Depth=1
	s_wait_xcnt 0x0
	s_or_b32 exec_lo, exec_lo, s15
	v_mov_b64_e32 v[8:9], 1.0
	v_mov_b64_e32 v[6:7], 0
.LBB118_22:                             ;   in Loop: Header=BB118_18 Depth=1
	s_or_b32 exec_lo, exec_lo, s1
	s_mov_b32 s33, -1
	s_mov_b32 s1, 0
	s_cmp_lt_i32 s13, 1
	s_mov_b32 s15, 0
                                        ; implicit-def: $vgpr24_vgpr25
                                        ; implicit-def: $vgpr26_vgpr27
	s_cbranch_scc0 .LBB118_29
; %bb.23:                               ;   in Loop: Header=BB118_18 Depth=1
	s_and_b32 vcc_lo, exec_lo, s33
	s_mov_b32 s17, 4
	s_cbranch_vccnz .LBB118_36
.LBB118_24:                             ;   in Loop: Header=BB118_18 Depth=1
	v_mov_b64_e32 v[30:31], v[4:5]
	v_mov_b64_e32 v[28:29], v[2:3]
	s_and_b32 vcc_lo, exec_lo, s15
	s_cbranch_vccnz .LBB118_41
.LBB118_25:                             ;   in Loop: Header=BB118_18 Depth=1
	s_and_b32 vcc_lo, exec_lo, s1
	s_cbranch_vccnz .LBB118_46
.LBB118_26:                             ;   in Loop: Header=BB118_18 Depth=1
	s_mov_b32 s0, -1
	s_cmp_gt_i32 s17, 3
	s_mov_b32 s1, -1
	s_cbranch_scc0 .LBB118_49
.LBB118_27:                             ;   in Loop: Header=BB118_18 Depth=1
	s_and_not1_b32 vcc_lo, exec_lo, s1
	s_cbranch_vccz .LBB118_50
.LBB118_28:                             ;   in Loop: Header=BB118_18 Depth=1
	s_delay_alu instid0(VALU_DEP_1) | instskip(NEXT) | instid1(VALU_DEP_2)
	v_mov_b64_e32 v[4:5], v[30:31]
	v_mov_b64_e32 v[2:3], v[28:29]
	s_and_not1_b32 vcc_lo, exec_lo, s0
	s_cbranch_vccnz .LBB118_51
	s_branch .LBB118_57
.LBB118_29:                             ;   in Loop: Header=BB118_18 Depth=1
	s_cmp_eq_u32 s13, 1
	s_mov_b32 s15, -1
                                        ; implicit-def: $vgpr24_vgpr25
                                        ; implicit-def: $vgpr26_vgpr27
	s_cbranch_scc0 .LBB118_35
; %bb.30:                               ;   in Loop: Header=BB118_18 Depth=1
	v_cmp_ge_i64_e64 s15, s[34:35], s[20:21]
	v_mov_b64_e32 v[24:25], v[22:23]
	v_mov_b64_e32 v[26:27], v[20:21]
	s_and_b32 vcc_lo, exec_lo, s15
	s_mov_b32 s15, 0
	s_cbranch_vccz .LBB118_35
; %bb.31:                               ;   in Loop: Header=BB118_18 Depth=1
	s_and_b32 vcc_lo, exec_lo, s17
	s_mov_b32 s15, -1
                                        ; implicit-def: $vgpr24_vgpr25
                                        ; implicit-def: $vgpr26_vgpr27
	s_cbranch_vccz .LBB118_35
; %bb.32:                               ;   in Loop: Header=BB118_18 Depth=1
	v_mov_b64_e32 v[24:25], v[22:23]
	v_mov_b64_e32 v[26:27], v[20:21]
	s_and_not1_b32 vcc_lo, exec_lo, s12
	s_cbranch_vccnz .LBB118_34
; %bb.33:                               ;   in Loop: Header=BB118_18 Depth=1
	v_mul_f64_e32 v[24:25], v[6:7], v[6:7]
	s_delay_alu instid0(VALU_DEP_1) | instskip(NEXT) | instid1(VALU_DEP_1)
	v_fmac_f64_e32 v[24:25], v[8:9], v[8:9]
	v_div_scale_f64 v[26:27], null, v[24:25], v[24:25], 1.0
	v_div_scale_f64 v[32:33], vcc_lo, 1.0, v[24:25], 1.0
	s_delay_alu instid0(VALU_DEP_2) | instskip(SKIP_1) | instid1(TRANS32_DEP_1)
	v_rcp_f64_e32 v[28:29], v[26:27]
	v_nop
	v_fma_f64 v[30:31], -v[26:27], v[28:29], 1.0
	s_delay_alu instid0(VALU_DEP_1) | instskip(NEXT) | instid1(VALU_DEP_1)
	v_fmac_f64_e32 v[28:29], v[28:29], v[30:31]
	v_fma_f64 v[30:31], -v[26:27], v[28:29], 1.0
	s_delay_alu instid0(VALU_DEP_1) | instskip(NEXT) | instid1(VALU_DEP_1)
	v_fmac_f64_e32 v[28:29], v[28:29], v[30:31]
	v_mul_f64_e32 v[30:31], v[32:33], v[28:29]
	s_delay_alu instid0(VALU_DEP_1) | instskip(NEXT) | instid1(VALU_DEP_1)
	v_fma_f64 v[26:27], -v[26:27], v[30:31], v[32:33]
	v_div_fmas_f64 v[26:27], v[26:27], v[28:29], v[30:31]
	v_fma_f64 v[28:29], 0, v[6:7], v[8:9]
	v_fma_f64 v[30:31], v[8:9], 0, -v[6:7]
	s_delay_alu instid0(VALU_DEP_3) | instskip(NEXT) | instid1(VALU_DEP_1)
	v_div_fixup_f64 v[24:25], v[26:27], v[24:25], 1.0
	v_mul_f64_e32 v[26:27], v[28:29], v[24:25]
	s_delay_alu instid0(VALU_DEP_3)
	v_mul_f64_e32 v[24:25], v[30:31], v[24:25]
.LBB118_34:                             ;   in Loop: Header=BB118_18 Depth=1
	s_mov_b32 s15, 0
.LBB118_35:                             ;   in Loop: Header=BB118_18 Depth=1
	s_mov_b32 s17, 4
	s_branch .LBB118_24
.LBB118_36:                             ;   in Loop: Header=BB118_18 Depth=1
	s_cmp_eq_u32 s13, 0
	s_cbranch_scc1 .LBB118_38
; %bb.37:                               ;   in Loop: Header=BB118_18 Depth=1
	s_mov_b32 s15, -1
	s_branch .LBB118_40
.LBB118_38:                             ;   in Loop: Header=BB118_18 Depth=1
	v_cmp_le_i64_e64 s15, s[34:35], s[20:21]
	s_and_b32 vcc_lo, exec_lo, s15
	s_mov_b32 s15, 0
	s_cbranch_vccz .LBB118_40
; %bb.39:                               ;   in Loop: Header=BB118_18 Depth=1
	s_mov_b32 s1, -1
	s_mov_b32 s15, s0
.LBB118_40:                             ;   in Loop: Header=BB118_18 Depth=1
	v_mov_b64_e32 v[24:25], v[22:23]
	v_mov_b64_e32 v[26:27], v[20:21]
	s_mov_b32 s17, 2
	v_mov_b64_e32 v[30:31], v[4:5]
	v_mov_b64_e32 v[28:29], v[2:3]
	s_and_b32 vcc_lo, exec_lo, s15
	s_cbranch_vccz .LBB118_25
.LBB118_41:                             ;   in Loop: Header=BB118_18 Depth=1
	s_and_saveexec_b32 s15, s3
	s_cbranch_execz .LBB118_43
; %bb.42:                               ;   in Loop: Header=BB118_18 Depth=1
	s_lshl_b64 s[0:1], s[34:35], 2
	s_delay_alu instid0(SALU_CYCLE_1)
	s_add_nc_u64 s[0:1], s[26:27], s[0:1]
	global_load_b32 v15, v13, s[0:1] scope:SCOPE_DEV
	s_wait_loadcnt 0x0
	v_cmp_ne_u32_e32 vcc_lo, 0, v15
	s_cbranch_vccz .LBB118_52
.LBB118_43:                             ;   in Loop: Header=BB118_18 Depth=1
	s_wait_xcnt 0x0
	s_or_b32 exec_lo, exec_lo, s15
	v_mov_b64_e32 v[30:31], 0
	v_mov_b64_e32 v[28:29], 0
	s_wait_storecnt 0x0
	s_barrier_signal -1
	s_barrier_wait -1
	global_inv scope:SCOPE_DEV
	s_and_saveexec_b32 s0, s2
	s_cbranch_execz .LBB118_45
; %bb.44:                               ;   in Loop: Header=BB118_18 Depth=1
	s_mul_u64 s[34:35], s[34:35], s[10:11]
	s_delay_alu instid0(SALU_CYCLE_1) | instskip(SKIP_4) | instid1(VALU_DEP_2)
	v_lshl_add_u64 v[24:25], s[34:35], 4, v[10:11]
	global_load_b128 v[24:27], v[24:25], off
	s_wait_loadcnt 0x0
	v_fma_f64 v[28:29], -v[8:9], v[24:25], v[2:3]
	v_fma_f64 v[24:25], -v[6:7], v[24:25], v[4:5]
	v_fmac_f64_e32 v[28:29], v[6:7], v[26:27]
	s_delay_alu instid0(VALU_DEP_2)
	v_fma_f64 v[30:31], -v[8:9], v[26:27], v[24:25]
.LBB118_45:                             ;   in Loop: Header=BB118_18 Depth=1
	s_or_b32 exec_lo, exec_lo, s0
	v_mov_b64_e32 v[24:25], v[22:23]
	v_mov_b64_e32 v[26:27], v[20:21]
	s_mov_b32 s17, 0
	s_branch .LBB118_26
.LBB118_46:                             ;   in Loop: Header=BB118_18 Depth=1
	s_and_not1_b32 vcc_lo, exec_lo, s12
	s_cbranch_vccnz .LBB118_48
; %bb.47:                               ;   in Loop: Header=BB118_18 Depth=1
	v_mul_f64_e32 v[20:21], v[6:7], v[6:7]
	s_delay_alu instid0(VALU_DEP_1) | instskip(NEXT) | instid1(VALU_DEP_1)
	v_fmac_f64_e32 v[20:21], v[8:9], v[8:9]
	v_div_scale_f64 v[22:23], null, v[20:21], v[20:21], 1.0
	v_div_scale_f64 v[28:29], vcc_lo, 1.0, v[20:21], 1.0
	s_delay_alu instid0(VALU_DEP_2) | instskip(SKIP_1) | instid1(TRANS32_DEP_1)
	v_rcp_f64_e32 v[24:25], v[22:23]
	v_nop
	v_fma_f64 v[26:27], -v[22:23], v[24:25], 1.0
	s_delay_alu instid0(VALU_DEP_1) | instskip(NEXT) | instid1(VALU_DEP_1)
	v_fmac_f64_e32 v[24:25], v[24:25], v[26:27]
	v_fma_f64 v[26:27], -v[22:23], v[24:25], 1.0
	s_delay_alu instid0(VALU_DEP_1) | instskip(NEXT) | instid1(VALU_DEP_1)
	v_fmac_f64_e32 v[24:25], v[24:25], v[26:27]
	v_mul_f64_e32 v[26:27], v[28:29], v[24:25]
	s_delay_alu instid0(VALU_DEP_1) | instskip(NEXT) | instid1(VALU_DEP_1)
	v_fma_f64 v[22:23], -v[22:23], v[26:27], v[28:29]
	v_div_fmas_f64 v[22:23], v[22:23], v[24:25], v[26:27]
	v_fma_f64 v[24:25], 0, v[6:7], v[8:9]
	v_fma_f64 v[6:7], v[8:9], 0, -v[6:7]
	s_delay_alu instid0(VALU_DEP_3) | instskip(NEXT) | instid1(VALU_DEP_1)
	v_div_fixup_f64 v[22:23], v[22:23], v[20:21], 1.0
	v_mul_f64_e32 v[20:21], v[24:25], v[22:23]
	s_delay_alu instid0(VALU_DEP_3)
	v_mul_f64_e32 v[22:23], v[6:7], v[22:23]
.LBB118_48:                             ;   in Loop: Header=BB118_18 Depth=1
	s_delay_alu instid0(VALU_DEP_2) | instskip(NEXT) | instid1(VALU_DEP_2)
	v_mov_b64_e32 v[26:27], v[20:21]
	v_mov_b64_e32 v[24:25], v[22:23]
	;; [unrolled: 1-line block ×4, first 2 shown]
	s_mov_b32 s17, 2
	s_mov_b32 s0, -1
	s_cmp_gt_i32 s17, 3
	s_mov_b32 s1, -1
	s_cbranch_scc1 .LBB118_27
.LBB118_49:                             ;   in Loop: Header=BB118_18 Depth=1
	s_cmp_eq_u32 s17, 0
	s_cselect_b32 s1, -1, 0
	s_delay_alu instid0(SALU_CYCLE_1)
	s_and_not1_b32 vcc_lo, exec_lo, s1
	s_cbranch_vccnz .LBB118_28
.LBB118_50:                             ;   in Loop: Header=BB118_18 Depth=1
	s_add_nc_u64 s[30:31], s[30:31], 1
	s_delay_alu instid0(SALU_CYCLE_1) | instskip(NEXT) | instid1(VALU_DEP_2)
	v_cmp_ge_i64_e64 s0, s[30:31], s[18:19]
	v_mov_b64_e32 v[4:5], v[30:31]
	s_delay_alu instid0(VALU_DEP_3)
	v_mov_b64_e32 v[2:3], v[28:29]
	s_and_not1_b32 vcc_lo, exec_lo, s0
	s_cbranch_vccz .LBB118_57
.LBB118_51:                             ;   in Loop: Header=BB118_18 Depth=1
	s_delay_alu instid0(VALU_DEP_4) | instskip(NEXT) | instid1(VALU_DEP_4)
	v_mov_b64_e32 v[22:23], v[24:25]
	v_mov_b64_e32 v[20:21], v[26:27]
	s_sub_co_i32 s0, s30, s16
	s_delay_alu instid0(SALU_CYCLE_1) | instskip(NEXT) | instid1(SALU_CYCLE_1)
	s_and_b32 s0, s0, 0xff
	s_cmp_lg_u32 s0, 0
	s_cbranch_scc1 .LBB118_18
	s_branch .LBB118_15
.LBB118_52:                             ;   in Loop: Header=BB118_18 Depth=1
	s_mov_b32 s17, 0
	s_branch .LBB118_54
.LBB118_53:                             ;   in Loop: Header=BB118_54 Depth=2
	global_load_b32 v15, v13, s[0:1] scope:SCOPE_DEV
	s_cmp_lt_u32 s17, 0xf43
	s_cselect_b32 s33, -1, 0
	s_delay_alu instid0(SALU_CYCLE_1)
	s_cmp_lg_u32 s33, 0
	s_add_co_ci_u32 s17, s17, 0
	s_wait_loadcnt 0x0
	v_cmp_ne_u32_e32 vcc_lo, 0, v15
	s_cbranch_vccnz .LBB118_43
.LBB118_54:                             ;   Parent Loop BB118_18 Depth=1
                                        ; =>  This Loop Header: Depth=2
                                        ;       Child Loop BB118_55 Depth 3
	s_cmp_eq_u32 s17, 0
	s_mov_b32 s33, s17
	s_cbranch_scc1 .LBB118_53
.LBB118_55:                             ;   Parent Loop BB118_18 Depth=1
                                        ;     Parent Loop BB118_54 Depth=2
                                        ; =>    This Inner Loop Header: Depth=3
	s_add_co_i32 s33, s33, -1
	s_sleep 1
	s_cmp_eq_u32 s33, 0
	s_cbranch_scc0 .LBB118_55
	s_branch .LBB118_53
.LBB118_56:
	v_mov_b64_e32 v[26:27], 1.0
	v_mov_b64_e32 v[24:25], 0
.LBB118_57:
	s_cmp_lg_u32 s14, 0
	s_cbranch_scc0 .LBB118_64
; %bb.58:
	s_and_saveexec_b32 s0, s2
	s_cbranch_execz .LBB118_60
.LBB118_59:
	s_wait_loadcnt_dscnt 0x0
	v_lshl_add_u64 v[6:7], s[22:23], 4, v[10:11]
	global_store_b128 v[6:7], v[2:5], off
.LBB118_60:
	s_wait_xcnt 0x0
	s_or_b32 exec_lo, exec_lo, s0
	global_wb scope:SCOPE_DEV
	s_wait_storecnt 0x0
	s_wait_loadcnt_dscnt 0x0
	global_inv scope:SCOPE_DEV
	s_wait_loadcnt 0x0
	s_barrier_signal -1
	s_barrier_wait -1
	s_mov_b32 s0, exec_lo
	v_cmpx_eq_u32_e32 0, v0
	s_cbranch_execz .LBB118_62
; %bb.61:
	s_lshl_b64 s[0:1], s[20:21], 2
	v_dual_mov_b32 v0, 0 :: v_dual_mov_b32 v1, 1
	s_add_nc_u64 s[0:1], s[6:7], s[0:1]
	s_lshl_b64 s[2:3], s[4:5], 2
	s_delay_alu instid0(SALU_CYCLE_1)
	s_add_nc_u64 s[0:1], s[0:1], s[2:3]
	global_store_b32 v0, v1, s[0:1] scope:SCOPE_DEV
.LBB118_62:
	s_endpgm
.LBB118_63:
                                        ; implicit-def: $sgpr22_sgpr23
	s_clause 0x1
	s_load_b64 s[8:9], s[0:1], 0x58
	s_load_b64 s[16:17], s[0:1], 0x28
	s_branch .LBB118_4
.LBB118_64:
	s_wait_loadcnt_dscnt 0x0
	s_delay_alu instid0(VALU_DEP_1) | instskip(SKIP_1) | instid1(VALU_DEP_2)
	v_mul_f64_e64 v[6:7], v[24:25], -v[4:5]
	v_mul_f64_e32 v[8:9], v[24:25], v[2:3]
	v_fmac_f64_e32 v[6:7], v[2:3], v[26:27]
	s_delay_alu instid0(VALU_DEP_2) | instskip(NEXT) | instid1(VALU_DEP_2)
	v_fmac_f64_e32 v[8:9], v[4:5], v[26:27]
	v_mov_b64_e32 v[2:3], v[6:7]
	s_delay_alu instid0(VALU_DEP_2)
	v_mov_b64_e32 v[4:5], v[8:9]
	s_and_saveexec_b32 s0, s2
	s_cbranch_execnz .LBB118_59
	s_branch .LBB118_60
	.section	.rodata,"a",@progbits
	.p2align	6, 0x0
	.amdhsa_kernel _ZN9rocsparseL5csrsmILj256ELj64ELb1Ell21rocsparse_complex_numIdEEEv20rocsparse_operation_T3_S4_NS_24const_host_device_scalarIT4_EEPKT2_PKS4_PKS6_PS6_lPiSC_PS4_21rocsparse_index_base_20rocsparse_fill_mode_20rocsparse_diag_type_b
		.amdhsa_group_segment_fixed_size 6144
		.amdhsa_private_segment_fixed_size 16
		.amdhsa_kernarg_size 120
		.amdhsa_user_sgpr_count 2
		.amdhsa_user_sgpr_dispatch_ptr 0
		.amdhsa_user_sgpr_queue_ptr 0
		.amdhsa_user_sgpr_kernarg_segment_ptr 1
		.amdhsa_user_sgpr_dispatch_id 0
		.amdhsa_user_sgpr_kernarg_preload_length 0
		.amdhsa_user_sgpr_kernarg_preload_offset 0
		.amdhsa_user_sgpr_private_segment_size 0
		.amdhsa_wavefront_size32 1
		.amdhsa_uses_dynamic_stack 0
		.amdhsa_enable_private_segment 1
		.amdhsa_system_sgpr_workgroup_id_x 1
		.amdhsa_system_sgpr_workgroup_id_y 0
		.amdhsa_system_sgpr_workgroup_id_z 0
		.amdhsa_system_sgpr_workgroup_info 0
		.amdhsa_system_vgpr_workitem_id 0
		.amdhsa_next_free_vgpr 34
		.amdhsa_next_free_sgpr 36
		.amdhsa_named_barrier_count 0
		.amdhsa_reserve_vcc 1
		.amdhsa_float_round_mode_32 0
		.amdhsa_float_round_mode_16_64 0
		.amdhsa_float_denorm_mode_32 3
		.amdhsa_float_denorm_mode_16_64 3
		.amdhsa_fp16_overflow 0
		.amdhsa_memory_ordered 1
		.amdhsa_forward_progress 1
		.amdhsa_inst_pref_size 22
		.amdhsa_round_robin_scheduling 0
		.amdhsa_exception_fp_ieee_invalid_op 0
		.amdhsa_exception_fp_denorm_src 0
		.amdhsa_exception_fp_ieee_div_zero 0
		.amdhsa_exception_fp_ieee_overflow 0
		.amdhsa_exception_fp_ieee_underflow 0
		.amdhsa_exception_fp_ieee_inexact 0
		.amdhsa_exception_int_div_zero 0
	.end_amdhsa_kernel
	.section	.text._ZN9rocsparseL5csrsmILj256ELj64ELb1Ell21rocsparse_complex_numIdEEEv20rocsparse_operation_T3_S4_NS_24const_host_device_scalarIT4_EEPKT2_PKS4_PKS6_PS6_lPiSC_PS4_21rocsparse_index_base_20rocsparse_fill_mode_20rocsparse_diag_type_b,"axG",@progbits,_ZN9rocsparseL5csrsmILj256ELj64ELb1Ell21rocsparse_complex_numIdEEEv20rocsparse_operation_T3_S4_NS_24const_host_device_scalarIT4_EEPKT2_PKS4_PKS6_PS6_lPiSC_PS4_21rocsparse_index_base_20rocsparse_fill_mode_20rocsparse_diag_type_b,comdat
.Lfunc_end118:
	.size	_ZN9rocsparseL5csrsmILj256ELj64ELb1Ell21rocsparse_complex_numIdEEEv20rocsparse_operation_T3_S4_NS_24const_host_device_scalarIT4_EEPKT2_PKS4_PKS6_PS6_lPiSC_PS4_21rocsparse_index_base_20rocsparse_fill_mode_20rocsparse_diag_type_b, .Lfunc_end118-_ZN9rocsparseL5csrsmILj256ELj64ELb1Ell21rocsparse_complex_numIdEEEv20rocsparse_operation_T3_S4_NS_24const_host_device_scalarIT4_EEPKT2_PKS4_PKS6_PS6_lPiSC_PS4_21rocsparse_index_base_20rocsparse_fill_mode_20rocsparse_diag_type_b
                                        ; -- End function
	.set _ZN9rocsparseL5csrsmILj256ELj64ELb1Ell21rocsparse_complex_numIdEEEv20rocsparse_operation_T3_S4_NS_24const_host_device_scalarIT4_EEPKT2_PKS4_PKS6_PS6_lPiSC_PS4_21rocsparse_index_base_20rocsparse_fill_mode_20rocsparse_diag_type_b.num_vgpr, 34
	.set _ZN9rocsparseL5csrsmILj256ELj64ELb1Ell21rocsparse_complex_numIdEEEv20rocsparse_operation_T3_S4_NS_24const_host_device_scalarIT4_EEPKT2_PKS4_PKS6_PS6_lPiSC_PS4_21rocsparse_index_base_20rocsparse_fill_mode_20rocsparse_diag_type_b.num_agpr, 0
	.set _ZN9rocsparseL5csrsmILj256ELj64ELb1Ell21rocsparse_complex_numIdEEEv20rocsparse_operation_T3_S4_NS_24const_host_device_scalarIT4_EEPKT2_PKS4_PKS6_PS6_lPiSC_PS4_21rocsparse_index_base_20rocsparse_fill_mode_20rocsparse_diag_type_b.numbered_sgpr, 36
	.set _ZN9rocsparseL5csrsmILj256ELj64ELb1Ell21rocsparse_complex_numIdEEEv20rocsparse_operation_T3_S4_NS_24const_host_device_scalarIT4_EEPKT2_PKS4_PKS6_PS6_lPiSC_PS4_21rocsparse_index_base_20rocsparse_fill_mode_20rocsparse_diag_type_b.num_named_barrier, 0
	.set _ZN9rocsparseL5csrsmILj256ELj64ELb1Ell21rocsparse_complex_numIdEEEv20rocsparse_operation_T3_S4_NS_24const_host_device_scalarIT4_EEPKT2_PKS4_PKS6_PS6_lPiSC_PS4_21rocsparse_index_base_20rocsparse_fill_mode_20rocsparse_diag_type_b.private_seg_size, 16
	.set _ZN9rocsparseL5csrsmILj256ELj64ELb1Ell21rocsparse_complex_numIdEEEv20rocsparse_operation_T3_S4_NS_24const_host_device_scalarIT4_EEPKT2_PKS4_PKS6_PS6_lPiSC_PS4_21rocsparse_index_base_20rocsparse_fill_mode_20rocsparse_diag_type_b.uses_vcc, 1
	.set _ZN9rocsparseL5csrsmILj256ELj64ELb1Ell21rocsparse_complex_numIdEEEv20rocsparse_operation_T3_S4_NS_24const_host_device_scalarIT4_EEPKT2_PKS4_PKS6_PS6_lPiSC_PS4_21rocsparse_index_base_20rocsparse_fill_mode_20rocsparse_diag_type_b.uses_flat_scratch, 0
	.set _ZN9rocsparseL5csrsmILj256ELj64ELb1Ell21rocsparse_complex_numIdEEEv20rocsparse_operation_T3_S4_NS_24const_host_device_scalarIT4_EEPKT2_PKS4_PKS6_PS6_lPiSC_PS4_21rocsparse_index_base_20rocsparse_fill_mode_20rocsparse_diag_type_b.has_dyn_sized_stack, 0
	.set _ZN9rocsparseL5csrsmILj256ELj64ELb1Ell21rocsparse_complex_numIdEEEv20rocsparse_operation_T3_S4_NS_24const_host_device_scalarIT4_EEPKT2_PKS4_PKS6_PS6_lPiSC_PS4_21rocsparse_index_base_20rocsparse_fill_mode_20rocsparse_diag_type_b.has_recursion, 0
	.set _ZN9rocsparseL5csrsmILj256ELj64ELb1Ell21rocsparse_complex_numIdEEEv20rocsparse_operation_T3_S4_NS_24const_host_device_scalarIT4_EEPKT2_PKS4_PKS6_PS6_lPiSC_PS4_21rocsparse_index_base_20rocsparse_fill_mode_20rocsparse_diag_type_b.has_indirect_call, 0
	.section	.AMDGPU.csdata,"",@progbits
; Kernel info:
; codeLenInByte = 2800
; TotalNumSgprs: 38
; NumVgprs: 34
; ScratchSize: 16
; MemoryBound: 1
; FloatMode: 240
; IeeeMode: 1
; LDSByteSize: 6144 bytes/workgroup (compile time only)
; SGPRBlocks: 0
; VGPRBlocks: 2
; NumSGPRsForWavesPerEU: 38
; NumVGPRsForWavesPerEU: 34
; NamedBarCnt: 0
; Occupancy: 16
; WaveLimiterHint : 1
; COMPUTE_PGM_RSRC2:SCRATCH_EN: 1
; COMPUTE_PGM_RSRC2:USER_SGPR: 2
; COMPUTE_PGM_RSRC2:TRAP_HANDLER: 0
; COMPUTE_PGM_RSRC2:TGID_X_EN: 1
; COMPUTE_PGM_RSRC2:TGID_Y_EN: 0
; COMPUTE_PGM_RSRC2:TGID_Z_EN: 0
; COMPUTE_PGM_RSRC2:TIDIG_COMP_CNT: 0
	.section	.text._ZN9rocsparseL5csrsmILj256ELj64ELb0Ell21rocsparse_complex_numIdEEEv20rocsparse_operation_T3_S4_NS_24const_host_device_scalarIT4_EEPKT2_PKS4_PKS6_PS6_lPiSC_PS4_21rocsparse_index_base_20rocsparse_fill_mode_20rocsparse_diag_type_b,"axG",@progbits,_ZN9rocsparseL5csrsmILj256ELj64ELb0Ell21rocsparse_complex_numIdEEEv20rocsparse_operation_T3_S4_NS_24const_host_device_scalarIT4_EEPKT2_PKS4_PKS6_PS6_lPiSC_PS4_21rocsparse_index_base_20rocsparse_fill_mode_20rocsparse_diag_type_b,comdat
	.globl	_ZN9rocsparseL5csrsmILj256ELj64ELb0Ell21rocsparse_complex_numIdEEEv20rocsparse_operation_T3_S4_NS_24const_host_device_scalarIT4_EEPKT2_PKS4_PKS6_PS6_lPiSC_PS4_21rocsparse_index_base_20rocsparse_fill_mode_20rocsparse_diag_type_b ; -- Begin function _ZN9rocsparseL5csrsmILj256ELj64ELb0Ell21rocsparse_complex_numIdEEEv20rocsparse_operation_T3_S4_NS_24const_host_device_scalarIT4_EEPKT2_PKS4_PKS6_PS6_lPiSC_PS4_21rocsparse_index_base_20rocsparse_fill_mode_20rocsparse_diag_type_b
	.p2align	8
	.type	_ZN9rocsparseL5csrsmILj256ELj64ELb0Ell21rocsparse_complex_numIdEEEv20rocsparse_operation_T3_S4_NS_24const_host_device_scalarIT4_EEPKT2_PKS4_PKS6_PS6_lPiSC_PS4_21rocsparse_index_base_20rocsparse_fill_mode_20rocsparse_diag_type_b,@function
_ZN9rocsparseL5csrsmILj256ELj64ELb0Ell21rocsparse_complex_numIdEEEv20rocsparse_operation_T3_S4_NS_24const_host_device_scalarIT4_EEPKT2_PKS4_PKS6_PS6_lPiSC_PS4_21rocsparse_index_base_20rocsparse_fill_mode_20rocsparse_diag_type_b: ; @_ZN9rocsparseL5csrsmILj256ELj64ELb0Ell21rocsparse_complex_numIdEEEv20rocsparse_operation_T3_S4_NS_24const_host_device_scalarIT4_EEPKT2_PKS4_PKS6_PS6_lPiSC_PS4_21rocsparse_index_base_20rocsparse_fill_mode_20rocsparse_diag_type_b
; %bb.0:
	s_clause 0x1
	s_load_b128 s[12:15], s[0:1], 0x68
	s_load_b256 s[4:11], s[0:1], 0x8
	v_mbcnt_lo_u32_b32 v1, -1, 0
	s_mov_b32 s3, 0
	s_delay_alu instid0(VALU_DEP_1) | instskip(NEXT) | instid1(VALU_DEP_1)
	v_dual_mov_b32 v2, 0 :: v_dual_lshlrev_b32 v3, 20, v1
	v_add_nc_u64_e32 v[2:3], src_flat_scratch_base_lo, v[2:3]
	s_wait_kmcnt 0x0
	s_bitcmp1_b32 s15, 0
	v_mov_b64_e32 v[4:5], s[8:9]
	s_cselect_b32 vcc_lo, -1, 0
	v_mov_b64_e32 v[8:9], s[10:11]
	s_delay_alu instid0(VALU_DEP_3)
	v_cndmask_b32_e32 v3, s9, v3, vcc_lo
	v_cndmask_b32_e32 v2, s8, v2, vcc_lo
	s_and_b32 vcc_lo, exec_lo, vcc_lo
	scratch_store_b64 off, v[4:5], off
	flat_load_b64 v[6:7], v[2:3]
	s_cbranch_vccnz .LBB119_2
; %bb.1:
	v_mov_b32_e32 v1, 0
	flat_load_b64 v[8:9], v1, s[8:9] offset:8
.LBB119_2:
	s_bfe_u32 s2, ttmp6, 0x4000c
	s_wait_xcnt 0x0
	s_and_b32 s8, ttmp6, 15
	s_add_co_i32 s2, s2, 1
	s_getreg_b32 s9, hwreg(HW_REG_IB_STS2, 6, 4)
	s_mul_i32 s2, ttmp9, s2
	s_delay_alu instid0(SALU_CYCLE_1) | instskip(SKIP_3) | instid1(SALU_CYCLE_1)
	s_add_co_i32 s8, s8, s2
	s_cmp_eq_u32 s9, 0
	s_cselect_b32 s2, ttmp9, s8
	s_and_b64 s[8:9], s[4:5], 0xffffffff00000000
	s_cmp_lg_u64 s[8:9], 0
	s_cbranch_scc0 .LBB119_60
; %bb.3:
	s_ashr_i32 s8, s5, 31
	s_delay_alu instid0(SALU_CYCLE_1) | instskip(NEXT) | instid1(SALU_CYCLE_1)
	s_mov_b32 s9, s8
	s_add_nc_u64 s[10:11], s[4:5], s[8:9]
	s_delay_alu instid0(SALU_CYCLE_1) | instskip(NEXT) | instid1(SALU_CYCLE_1)
	s_xor_b64 s[16:17], s[10:11], s[8:9]
	s_cvt_f32_u32 s10, s16
	s_cvt_f32_u32 s11, s17
	s_sub_nc_u64 s[20:21], 0, s[16:17]
	s_delay_alu instid0(SALU_CYCLE_2) | instskip(NEXT) | instid1(SALU_CYCLE_3)
	s_fmamk_f32 s10, s11, 0x4f800000, s10
	v_s_rcp_f32 s10, s10
	s_delay_alu instid0(TRANS32_DEP_1) | instskip(NEXT) | instid1(SALU_CYCLE_3)
	s_mul_f32 s10, s10, 0x5f7ffffc
	s_mul_f32 s11, s10, 0x2f800000
	s_delay_alu instid0(SALU_CYCLE_3) | instskip(NEXT) | instid1(SALU_CYCLE_3)
	s_trunc_f32 s11, s11
	s_fmamk_f32 s10, s11, 0xcf800000, s10
	s_cvt_u32_f32 s19, s11
	s_mov_b32 s11, 0
	s_delay_alu instid0(SALU_CYCLE_1) | instskip(NEXT) | instid1(SALU_CYCLE_3)
	s_cvt_u32_f32 s18, s10
	s_mul_u64 s[22:23], s[20:21], s[18:19]
	s_delay_alu instid0(SALU_CYCLE_1)
	s_mul_hi_u32 s25, s18, s23
	s_mul_i32 s24, s18, s23
	s_mul_hi_u32 s10, s18, s22
	s_mul_i32 s26, s19, s22
	s_add_nc_u64 s[24:25], s[10:11], s[24:25]
	s_mul_hi_u32 s15, s19, s22
	s_mul_hi_u32 s27, s19, s23
	s_add_co_u32 s10, s24, s26
	s_add_co_ci_u32 s10, s25, s15
	s_mul_i32 s22, s19, s23
	s_add_co_ci_u32 s23, s27, 0
	s_delay_alu instid0(SALU_CYCLE_1) | instskip(NEXT) | instid1(SALU_CYCLE_1)
	s_add_nc_u64 s[22:23], s[10:11], s[22:23]
	s_add_co_u32 s18, s18, s22
	s_cselect_b32 s10, -1, 0
	s_delay_alu instid0(SALU_CYCLE_1) | instskip(SKIP_1) | instid1(SALU_CYCLE_1)
	s_cmp_lg_u32 s10, 0
	s_add_co_ci_u32 s19, s19, s23
	s_mul_u64 s[20:21], s[20:21], s[18:19]
	s_delay_alu instid0(SALU_CYCLE_1)
	s_mul_hi_u32 s23, s18, s21
	s_mul_i32 s22, s18, s21
	s_mul_hi_u32 s10, s18, s20
	s_mul_i32 s24, s19, s20
	s_add_nc_u64 s[22:23], s[10:11], s[22:23]
	s_mul_hi_u32 s15, s19, s20
	s_mul_hi_u32 s25, s19, s21
	s_add_co_u32 s10, s22, s24
	s_add_co_ci_u32 s10, s23, s15
	s_mul_i32 s20, s19, s21
	s_add_co_ci_u32 s21, s25, 0
	s_add_nc_u64 s[22:23], s[2:3], 0
	s_add_nc_u64 s[20:21], s[10:11], s[20:21]
	s_delay_alu instid0(SALU_CYCLE_1) | instskip(SKIP_1) | instid1(SALU_CYCLE_1)
	s_add_co_u32 s15, s18, s20
	s_cselect_b32 s10, -1, 0
	s_cmp_lg_u32 s10, 0
	s_add_co_ci_u32 s24, s19, s21
	s_xor_b64 s[18:19], s[22:23], 0
	s_delay_alu instid0(SALU_CYCLE_1)
	s_mul_hi_u32 s21, s18, s24
	s_mul_i32 s20, s18, s24
	s_mul_hi_u32 s10, s18, s15
	s_mul_hi_u32 s25, s19, s15
	s_mul_i32 s15, s19, s15
	s_add_nc_u64 s[20:21], s[10:11], s[20:21]
	s_mul_hi_u32 s23, s19, s24
	s_add_co_u32 s10, s20, s15
	s_add_co_ci_u32 s10, s21, s25
	s_mul_i32 s22, s19, s24
	s_add_co_ci_u32 s23, s23, 0
	s_delay_alu instid0(SALU_CYCLE_1) | instskip(NEXT) | instid1(SALU_CYCLE_1)
	s_add_nc_u64 s[20:21], s[10:11], s[22:23]
	s_and_b64 s[22:23], s[20:21], 0xffffffff00000000
	s_delay_alu instid0(SALU_CYCLE_1) | instskip(NEXT) | instid1(SALU_CYCLE_1)
	s_or_b32 s22, s22, s20
	s_mul_u64 s[20:21], s[16:17], s[22:23]
	s_delay_alu instid0(SALU_CYCLE_1)
	s_sub_co_u32 s10, s18, s20
	s_cselect_b32 s15, -1, 0
	s_sub_co_i32 s18, s19, s21
	s_cmp_lg_u32 s15, 0
	s_sub_co_ci_u32 s18, s18, s17
	s_sub_co_u32 s20, s10, s16
	s_cselect_b32 s24, -1, 0
	s_delay_alu instid0(SALU_CYCLE_1) | instskip(SKIP_2) | instid1(SALU_CYCLE_1)
	s_cmp_lg_u32 s24, 0
	s_add_nc_u64 s[24:25], s[22:23], 1
	s_sub_co_ci_u32 s18, s18, 0
	s_cmp_ge_u32 s18, s17
	s_cselect_b32 s26, -1, 0
	s_cmp_ge_u32 s20, s16
	s_cselect_b32 s20, -1, 0
	s_cmp_eq_u32 s18, s17
	s_cselect_b32 s18, s20, s26
	s_add_nc_u64 s[26:27], s[22:23], 2
	s_cmp_lg_u32 s18, 0
	s_cselect_b32 s18, s26, s24
	s_cselect_b32 s20, s27, s25
	s_cmp_lg_u32 s15, 0
	s_sub_co_ci_u32 s15, s19, s21
	s_delay_alu instid0(SALU_CYCLE_1)
	s_cmp_ge_u32 s15, s17
	s_cselect_b32 s19, -1, 0
	s_cmp_ge_u32 s10, s16
	s_cselect_b32 s10, -1, 0
	s_cmp_eq_u32 s15, s17
	s_cselect_b32 s10, s10, s19
	s_delay_alu instid0(SALU_CYCLE_1) | instskip(SKIP_3) | instid1(SALU_CYCLE_1)
	s_cmp_lg_u32 s10, 0
	s_cselect_b32 s17, s20, s23
	s_cselect_b32 s16, s18, s22
	s_xor_b64 s[8:9], 0, s[8:9]
	s_xor_b64 s[16:17], s[16:17], s[8:9]
	s_delay_alu instid0(SALU_CYCLE_1)
	s_sub_nc_u64 s[22:23], s[16:17], s[8:9]
	s_clause 0x1
	s_load_b64 s[8:9], s[0:1], 0x58
	s_load_b64 s[16:17], s[0:1], 0x28
	s_cbranch_execnz .LBB119_5
.LBB119_4:
	v_cvt_f32_u32_e32 v1, s4
	s_sub_co_i32 s11, 0, s4
	s_mov_b32 s23, 0
	s_delay_alu instid0(VALU_DEP_1) | instskip(SKIP_1) | instid1(TRANS32_DEP_1)
	v_rcp_iflag_f32_e32 v1, v1
	v_nop
	v_mul_f32_e32 v1, 0x4f7ffffe, v1
	s_delay_alu instid0(VALU_DEP_1) | instskip(NEXT) | instid1(VALU_DEP_1)
	v_cvt_u32_f32_e32 v1, v1
	v_readfirstlane_b32 s10, v1
	s_mul_i32 s11, s11, s10
	s_delay_alu instid0(SALU_CYCLE_1) | instskip(NEXT) | instid1(SALU_CYCLE_1)
	s_mul_hi_u32 s11, s10, s11
	s_add_co_i32 s10, s10, s11
	s_delay_alu instid0(SALU_CYCLE_1) | instskip(NEXT) | instid1(SALU_CYCLE_1)
	s_mul_hi_u32 s10, s2, s10
	s_mul_i32 s11, s10, s4
	s_add_co_i32 s15, s10, 1
	s_sub_co_i32 s11, s2, s11
	s_delay_alu instid0(SALU_CYCLE_1)
	s_sub_co_i32 s18, s11, s4
	s_cmp_ge_u32 s11, s4
	s_cselect_b32 s10, s15, s10
	s_cselect_b32 s11, s18, s11
	s_add_co_i32 s15, s10, 1
	s_cmp_ge_u32 s11, s4
	s_cselect_b32 s22, s15, s10
.LBB119_5:
	s_delay_alu instid0(SALU_CYCLE_1)
	s_mul_u64 s[4:5], s[22:23], s[4:5]
	s_load_b32 s15, s[0:1], 0x0
	s_sub_nc_u64 s[2:3], s[2:3], s[4:5]
	v_mov_b32_e32 v1, 0
	s_lshl_b64 s[2:3], s[2:3], 3
	s_wait_kmcnt 0x0
	s_add_nc_u64 s[2:3], s[8:9], s[2:3]
	s_load_b64 s[20:21], s[2:3], 0x0
	s_load_b128 s[8:11], s[0:1], 0x40
	s_wait_kmcnt 0x0
	s_lshl_b64 s[2:3], s[20:21], 3
	s_delay_alu instid0(SALU_CYCLE_1)
	s_add_nc_u64 s[2:3], s[16:17], s[2:3]
	s_load_b128 s[16:19], s[2:3], 0x0
	s_wait_xcnt 0x0
	s_lshl_b64 s[2:3], s[22:23], 8
	s_mul_u64 s[22:23], s[20:21], s[10:11]
	v_dual_mov_b32 v11, s3 :: v_dual_bitop2_b32 v10, s2, v0 bitop3:0x54
	s_cmp_lg_u32 s15, 0x71
	s_delay_alu instid0(VALU_DEP_1)
	v_add_nc_u64_e32 v[12:13], s[22:23], v[10:11]
	v_cmp_gt_i64_e64 s2, s[6:7], v[10:11]
	s_cbranch_scc0 .LBB119_9
; %bb.6:
	v_mov_b64_e32 v[4:5], 0
	v_mov_b64_e32 v[2:3], 0
	s_and_saveexec_b32 s3, s2
	s_cbranch_execz .LBB119_8
; %bb.7:
	v_lshl_add_u64 v[2:3], v[12:13], 4, s[8:9]
	global_load_b128 v[14:17], v[2:3], off
	s_wait_loadcnt_dscnt 0x0
	v_mul_f64_e64 v[2:3], v[16:17], -v[8:9]
	v_mul_f64_e32 v[4:5], v[6:7], v[16:17]
	s_delay_alu instid0(VALU_DEP_2) | instskip(NEXT) | instid1(VALU_DEP_2)
	v_fmac_f64_e32 v[2:3], v[6:7], v[14:15]
	v_fmac_f64_e32 v[4:5], v[8:9], v[14:15]
.LBB119_8:
	s_or_b32 exec_lo, exec_lo, s3
	s_cbranch_execz .LBB119_10
	s_branch .LBB119_13
.LBB119_9:
                                        ; implicit-def: $vgpr4_vgpr5
.LBB119_10:
	v_mov_b64_e32 v[4:5], 0
	v_mov_b64_e32 v[2:3], 0
	s_and_saveexec_b32 s3, s2
	s_cbranch_execz .LBB119_12
; %bb.11:
	v_lshl_add_u64 v[2:3], v[12:13], 4, s[8:9]
	global_load_b128 v[12:15], v[2:3], off
	s_wait_loadcnt_dscnt 0x0
	v_mul_f64_e32 v[2:3], v[8:9], v[14:15]
	v_mul_f64_e64 v[4:5], v[6:7], -v[14:15]
	s_delay_alu instid0(VALU_DEP_2) | instskip(NEXT) | instid1(VALU_DEP_2)
	v_fmac_f64_e32 v[2:3], v[6:7], v[12:13]
	v_fmac_f64_e32 v[4:5], v[8:9], v[12:13]
.LBB119_12:
	s_or_b32 exec_lo, exec_lo, s3
.LBB119_13:
	s_load_b64 s[6:7], s[0:1], 0x50
	s_wait_kmcnt 0x0
	v_cmp_ge_i64_e64 s3, s[16:17], s[18:19]
	v_lshl_add_u64 v[10:11], v[10:11], 4, s[8:9]
	s_and_b32 vcc_lo, exec_lo, s3
	v_cmp_eq_u32_e64 s3, 0, v0
	s_cbranch_vccnz .LBB119_53
; %bb.14:
	s_clause 0x1
	s_load_b128 s[28:31], s[0:1], 0x30
	s_load_b64 s[8:9], s[0:1], 0x60
	v_dual_mov_b32 v13, 0 :: v_dual_lshlrev_b32 v12, 3, v0
	v_lshlrev_b32_e32 v14, 4, v0
	v_mov_b64_e32 v[20:21], 1.0
	v_mov_b64_e32 v[22:23], 0
	s_mov_b32 s25, 0
	v_mov_b32_e32 v15, v13
	s_mov_b32 s24, s12
	s_wait_xcnt 0x0
	s_lshl_b64 s[0:1], s[4:5], 2
	s_sub_nc_u64 s[16:17], s[16:17], s[24:25]
	s_cmp_eq_u32 s14, 0
	s_add_nc_u64 s[26:27], s[6:7], s[0:1]
	s_sub_nc_u64 s[18:19], s[18:19], s[24:25]
	s_cselect_b32 s12, -1, 0
	s_wait_kmcnt 0x0
	v_add_nc_u64_e32 v[16:17], s[28:29], v[12:13]
	v_add_nc_u64_e32 v[18:19], s[30:31], v[14:15]
	v_or_b32_e32 v12, 0x1000, v12
	s_add_nc_u64 s[28:29], s[20:21], s[24:25]
	s_mov_b64 s[30:31], s[16:17]
	s_delay_alu instid0(SALU_CYCLE_1) | instskip(NEXT) | instid1(SALU_CYCLE_1)
	s_sub_co_i32 s0, s30, s16
	s_and_b32 s0, s0, 0xff
	s_delay_alu instid0(SALU_CYCLE_1)
	s_cmp_lg_u32 s0, 0
	s_cbranch_scc1 .LBB119_18
.LBB119_15:
	s_wait_loadcnt_dscnt 0x0
	v_mov_b64_e32 v[6:7], -1.0
	v_mov_b64_e32 v[8:9], 0
	v_mov_b64_e32 v[24:25], -1
	s_sub_nc_u64 s[34:35], s[18:19], s[30:31]
	s_mov_b32 s1, exec_lo
	v_cmpx_gt_i64_e64 s[34:35], v[0:1]
	s_cbranch_execz .LBB119_17
; %bb.16:
	v_lshl_add_u64 v[6:7], s[30:31], 3, v[16:17]
	global_load_b64 v[24:25], v[6:7], off
	s_wait_xcnt 0x0
	v_lshl_add_u64 v[6:7], s[30:31], 4, v[18:19]
	global_load_b128 v[6:9], v[6:7], off
	s_wait_loadcnt 0x1
	v_sub_nc_u64_e64 v[24:25], v[24:25], s[24:25]
.LBB119_17:
	s_wait_xcnt 0x0
	s_or_b32 exec_lo, exec_lo, s1
	ds_store_b64 v12, v[24:25]
	s_wait_loadcnt 0x0
	ds_store_b128 v14, v[6:9]
.LBB119_18:                             ; =>This Loop Header: Depth=1
                                        ;     Child Loop BB119_43 Depth 2
	s_lshl_b32 s1, s0, 4
	s_wait_storecnt 0x0
	s_wait_loadcnt_dscnt 0x0
	v_mov_b32_e32 v6, s1
	s_barrier_signal -1
	s_barrier_wait -1
	s_lshl_b32 s1, s0, 3
	ds_load_b128 v[24:27], v6
	v_mov_b32_e32 v6, s1
	ds_load_b64 v[6:7], v6 offset:4096
	s_wait_dscnt 0x1
	v_cmp_eq_f64_e32 vcc_lo, 0, v[24:25]
	v_cmp_eq_f64_e64 s0, 0, v[26:27]
	s_wait_dscnt 0x0
	v_readfirstlane_b32 s34, v6
	v_readfirstlane_b32 s35, v7
	s_and_b32 s1, vcc_lo, s0
	s_cmp_eq_u64 s[34:35], s[20:21]
	s_cselect_b32 s17, -1, 0
	s_cmp_lg_u64 s[34:35], s[20:21]
	s_cselect_b32 s0, -1, 0
	s_and_b32 s1, s1, s17
	s_delay_alu instid0(SALU_CYCLE_1) | instskip(NEXT) | instid1(SALU_CYCLE_1)
	s_and_b32 s1, s12, s1
	v_cndmask_b32_e64 v7, v27, 0, s1
	v_cndmask_b32_e64 v6, v26, 0, s1
	;; [unrolled: 1-line block ×4, first 2 shown]
	s_and_b32 s15, s3, s1
	s_delay_alu instid0(SALU_CYCLE_1)
	s_and_saveexec_b32 s1, s15
	s_cbranch_execz .LBB119_22
; %bb.19:                               ;   in Loop: Header=BB119_18 Depth=1
	v_mbcnt_lo_u32_b32 v6, exec_lo, 0
	s_mov_b32 s15, exec_lo
	s_delay_alu instid0(VALU_DEP_1)
	v_cmpx_eq_u32_e32 0, v6
	s_cbranch_execz .LBB119_21
; %bb.20:                               ;   in Loop: Header=BB119_18 Depth=1
	v_mov_b64_e32 v[6:7], s[28:29]
	global_atomic_min_u64 v13, v[6:7], s[8:9] scope:SCOPE_DEV
.LBB119_21:                             ;   in Loop: Header=BB119_18 Depth=1
	s_wait_xcnt 0x0
	s_or_b32 exec_lo, exec_lo, s15
	v_mov_b64_e32 v[8:9], 1.0
	v_mov_b64_e32 v[6:7], 0
.LBB119_22:                             ;   in Loop: Header=BB119_18 Depth=1
	s_or_b32 exec_lo, exec_lo, s1
	s_mov_b32 s33, -1
	s_mov_b32 s1, 0
	s_cmp_lt_i32 s13, 1
	s_mov_b32 s15, 0
                                        ; implicit-def: $vgpr24_vgpr25
                                        ; implicit-def: $vgpr26_vgpr27
	s_cbranch_scc0 .LBB119_29
; %bb.23:                               ;   in Loop: Header=BB119_18 Depth=1
	s_and_b32 vcc_lo, exec_lo, s33
	s_mov_b32 s17, 4
	s_cbranch_vccnz .LBB119_36
.LBB119_24:                             ;   in Loop: Header=BB119_18 Depth=1
	v_mov_b64_e32 v[30:31], v[4:5]
	v_mov_b64_e32 v[28:29], v[2:3]
	s_and_b32 vcc_lo, exec_lo, s15
	s_cbranch_vccnz .LBB119_41
.LBB119_25:                             ;   in Loop: Header=BB119_18 Depth=1
	s_and_b32 vcc_lo, exec_lo, s1
	s_cbranch_vccnz .LBB119_47
.LBB119_26:                             ;   in Loop: Header=BB119_18 Depth=1
	s_mov_b32 s0, -1
	s_cmp_gt_i32 s17, 3
	s_mov_b32 s1, -1
	s_cbranch_scc0 .LBB119_50
.LBB119_27:                             ;   in Loop: Header=BB119_18 Depth=1
	s_and_not1_b32 vcc_lo, exec_lo, s1
	s_cbranch_vccz .LBB119_51
.LBB119_28:                             ;   in Loop: Header=BB119_18 Depth=1
	s_delay_alu instid0(VALU_DEP_1) | instskip(NEXT) | instid1(VALU_DEP_2)
	v_mov_b64_e32 v[4:5], v[30:31]
	v_mov_b64_e32 v[2:3], v[28:29]
	s_and_not1_b32 vcc_lo, exec_lo, s0
	s_cbranch_vccnz .LBB119_52
	s_branch .LBB119_54
.LBB119_29:                             ;   in Loop: Header=BB119_18 Depth=1
	s_cmp_eq_u32 s13, 1
	s_mov_b32 s15, -1
                                        ; implicit-def: $vgpr24_vgpr25
                                        ; implicit-def: $vgpr26_vgpr27
	s_cbranch_scc0 .LBB119_35
; %bb.30:                               ;   in Loop: Header=BB119_18 Depth=1
	v_cmp_ge_i64_e64 s15, s[34:35], s[20:21]
	v_mov_b64_e32 v[24:25], v[22:23]
	v_mov_b64_e32 v[26:27], v[20:21]
	s_and_b32 vcc_lo, exec_lo, s15
	s_mov_b32 s15, 0
	s_cbranch_vccz .LBB119_35
; %bb.31:                               ;   in Loop: Header=BB119_18 Depth=1
	s_and_b32 vcc_lo, exec_lo, s17
	s_mov_b32 s15, -1
                                        ; implicit-def: $vgpr24_vgpr25
                                        ; implicit-def: $vgpr26_vgpr27
	s_cbranch_vccz .LBB119_35
; %bb.32:                               ;   in Loop: Header=BB119_18 Depth=1
	v_mov_b64_e32 v[24:25], v[22:23]
	v_mov_b64_e32 v[26:27], v[20:21]
	s_and_not1_b32 vcc_lo, exec_lo, s12
	s_cbranch_vccnz .LBB119_34
; %bb.33:                               ;   in Loop: Header=BB119_18 Depth=1
	v_mul_f64_e32 v[24:25], v[6:7], v[6:7]
	s_delay_alu instid0(VALU_DEP_1) | instskip(NEXT) | instid1(VALU_DEP_1)
	v_fmac_f64_e32 v[24:25], v[8:9], v[8:9]
	v_div_scale_f64 v[26:27], null, v[24:25], v[24:25], 1.0
	v_div_scale_f64 v[32:33], vcc_lo, 1.0, v[24:25], 1.0
	s_delay_alu instid0(VALU_DEP_2) | instskip(SKIP_1) | instid1(TRANS32_DEP_1)
	v_rcp_f64_e32 v[28:29], v[26:27]
	v_nop
	v_fma_f64 v[30:31], -v[26:27], v[28:29], 1.0
	s_delay_alu instid0(VALU_DEP_1) | instskip(NEXT) | instid1(VALU_DEP_1)
	v_fmac_f64_e32 v[28:29], v[28:29], v[30:31]
	v_fma_f64 v[30:31], -v[26:27], v[28:29], 1.0
	s_delay_alu instid0(VALU_DEP_1) | instskip(NEXT) | instid1(VALU_DEP_1)
	v_fmac_f64_e32 v[28:29], v[28:29], v[30:31]
	v_mul_f64_e32 v[30:31], v[32:33], v[28:29]
	s_delay_alu instid0(VALU_DEP_1) | instskip(NEXT) | instid1(VALU_DEP_1)
	v_fma_f64 v[26:27], -v[26:27], v[30:31], v[32:33]
	v_div_fmas_f64 v[26:27], v[26:27], v[28:29], v[30:31]
	v_fma_f64 v[28:29], 0, v[6:7], v[8:9]
	v_fma_f64 v[30:31], v[8:9], 0, -v[6:7]
	s_delay_alu instid0(VALU_DEP_3) | instskip(NEXT) | instid1(VALU_DEP_1)
	v_div_fixup_f64 v[24:25], v[26:27], v[24:25], 1.0
	v_mul_f64_e32 v[26:27], v[28:29], v[24:25]
	s_delay_alu instid0(VALU_DEP_3)
	v_mul_f64_e32 v[24:25], v[30:31], v[24:25]
.LBB119_34:                             ;   in Loop: Header=BB119_18 Depth=1
	s_mov_b32 s15, 0
.LBB119_35:                             ;   in Loop: Header=BB119_18 Depth=1
	s_mov_b32 s17, 4
	s_branch .LBB119_24
.LBB119_36:                             ;   in Loop: Header=BB119_18 Depth=1
	s_cmp_eq_u32 s13, 0
	s_cbranch_scc1 .LBB119_38
; %bb.37:                               ;   in Loop: Header=BB119_18 Depth=1
	s_mov_b32 s15, -1
	s_branch .LBB119_40
.LBB119_38:                             ;   in Loop: Header=BB119_18 Depth=1
	v_cmp_le_i64_e64 s15, s[34:35], s[20:21]
	s_and_b32 vcc_lo, exec_lo, s15
	s_mov_b32 s15, 0
	s_cbranch_vccz .LBB119_40
; %bb.39:                               ;   in Loop: Header=BB119_18 Depth=1
	s_mov_b32 s1, -1
	s_mov_b32 s15, s0
.LBB119_40:                             ;   in Loop: Header=BB119_18 Depth=1
	v_mov_b64_e32 v[24:25], v[22:23]
	v_mov_b64_e32 v[26:27], v[20:21]
	s_mov_b32 s17, 2
	v_mov_b64_e32 v[30:31], v[4:5]
	v_mov_b64_e32 v[28:29], v[2:3]
	s_and_b32 vcc_lo, exec_lo, s15
	s_cbranch_vccz .LBB119_25
.LBB119_41:                             ;   in Loop: Header=BB119_18 Depth=1
	s_and_saveexec_b32 s15, s3
	s_cbranch_execz .LBB119_44
; %bb.42:                               ;   in Loop: Header=BB119_18 Depth=1
	s_lshl_b64 s[0:1], s[34:35], 2
	s_delay_alu instid0(SALU_CYCLE_1)
	s_add_nc_u64 s[0:1], s[26:27], s[0:1]
	global_load_b32 v15, v13, s[0:1] scope:SCOPE_DEV
	s_wait_loadcnt 0x0
	v_cmp_ne_u32_e32 vcc_lo, 0, v15
	s_cbranch_vccnz .LBB119_44
.LBB119_43:                             ;   Parent Loop BB119_18 Depth=1
                                        ; =>  This Inner Loop Header: Depth=2
	global_load_b32 v15, v13, s[0:1] scope:SCOPE_DEV
	s_wait_loadcnt 0x0
	v_cmp_eq_u32_e32 vcc_lo, 0, v15
	s_cbranch_vccnz .LBB119_43
.LBB119_44:                             ;   in Loop: Header=BB119_18 Depth=1
	s_wait_xcnt 0x0
	s_or_b32 exec_lo, exec_lo, s15
	v_mov_b64_e32 v[30:31], 0
	v_mov_b64_e32 v[28:29], 0
	s_wait_storecnt 0x0
	s_barrier_signal -1
	s_barrier_wait -1
	global_inv scope:SCOPE_DEV
	s_and_saveexec_b32 s0, s2
	s_cbranch_execz .LBB119_46
; %bb.45:                               ;   in Loop: Header=BB119_18 Depth=1
	s_mul_u64 s[34:35], s[34:35], s[10:11]
	s_delay_alu instid0(SALU_CYCLE_1) | instskip(SKIP_4) | instid1(VALU_DEP_2)
	v_lshl_add_u64 v[24:25], s[34:35], 4, v[10:11]
	global_load_b128 v[24:27], v[24:25], off
	s_wait_loadcnt 0x0
	v_fma_f64 v[28:29], -v[8:9], v[24:25], v[2:3]
	v_fma_f64 v[24:25], -v[6:7], v[24:25], v[4:5]
	v_fmac_f64_e32 v[28:29], v[6:7], v[26:27]
	s_delay_alu instid0(VALU_DEP_2)
	v_fma_f64 v[30:31], -v[8:9], v[26:27], v[24:25]
.LBB119_46:                             ;   in Loop: Header=BB119_18 Depth=1
	s_or_b32 exec_lo, exec_lo, s0
	v_mov_b64_e32 v[24:25], v[22:23]
	v_mov_b64_e32 v[26:27], v[20:21]
	s_mov_b32 s17, 0
	s_branch .LBB119_26
.LBB119_47:                             ;   in Loop: Header=BB119_18 Depth=1
	s_and_not1_b32 vcc_lo, exec_lo, s12
	s_cbranch_vccnz .LBB119_49
; %bb.48:                               ;   in Loop: Header=BB119_18 Depth=1
	v_mul_f64_e32 v[20:21], v[6:7], v[6:7]
	s_delay_alu instid0(VALU_DEP_1) | instskip(NEXT) | instid1(VALU_DEP_1)
	v_fmac_f64_e32 v[20:21], v[8:9], v[8:9]
	v_div_scale_f64 v[22:23], null, v[20:21], v[20:21], 1.0
	v_div_scale_f64 v[28:29], vcc_lo, 1.0, v[20:21], 1.0
	s_delay_alu instid0(VALU_DEP_2) | instskip(SKIP_1) | instid1(TRANS32_DEP_1)
	v_rcp_f64_e32 v[24:25], v[22:23]
	v_nop
	v_fma_f64 v[26:27], -v[22:23], v[24:25], 1.0
	s_delay_alu instid0(VALU_DEP_1) | instskip(NEXT) | instid1(VALU_DEP_1)
	v_fmac_f64_e32 v[24:25], v[24:25], v[26:27]
	v_fma_f64 v[26:27], -v[22:23], v[24:25], 1.0
	s_delay_alu instid0(VALU_DEP_1) | instskip(NEXT) | instid1(VALU_DEP_1)
	v_fmac_f64_e32 v[24:25], v[24:25], v[26:27]
	v_mul_f64_e32 v[26:27], v[28:29], v[24:25]
	s_delay_alu instid0(VALU_DEP_1) | instskip(NEXT) | instid1(VALU_DEP_1)
	v_fma_f64 v[22:23], -v[22:23], v[26:27], v[28:29]
	v_div_fmas_f64 v[22:23], v[22:23], v[24:25], v[26:27]
	v_fma_f64 v[24:25], 0, v[6:7], v[8:9]
	v_fma_f64 v[6:7], v[8:9], 0, -v[6:7]
	s_delay_alu instid0(VALU_DEP_3) | instskip(NEXT) | instid1(VALU_DEP_1)
	v_div_fixup_f64 v[22:23], v[22:23], v[20:21], 1.0
	v_mul_f64_e32 v[20:21], v[24:25], v[22:23]
	s_delay_alu instid0(VALU_DEP_3)
	v_mul_f64_e32 v[22:23], v[6:7], v[22:23]
.LBB119_49:                             ;   in Loop: Header=BB119_18 Depth=1
	s_delay_alu instid0(VALU_DEP_2) | instskip(NEXT) | instid1(VALU_DEP_2)
	v_mov_b64_e32 v[26:27], v[20:21]
	v_mov_b64_e32 v[24:25], v[22:23]
	;; [unrolled: 1-line block ×4, first 2 shown]
	s_mov_b32 s17, 2
	s_mov_b32 s0, -1
	s_cmp_gt_i32 s17, 3
	s_mov_b32 s1, -1
	s_cbranch_scc1 .LBB119_27
.LBB119_50:                             ;   in Loop: Header=BB119_18 Depth=1
	s_cmp_eq_u32 s17, 0
	s_cselect_b32 s1, -1, 0
	s_delay_alu instid0(SALU_CYCLE_1)
	s_and_not1_b32 vcc_lo, exec_lo, s1
	s_cbranch_vccnz .LBB119_28
.LBB119_51:                             ;   in Loop: Header=BB119_18 Depth=1
	s_add_nc_u64 s[30:31], s[30:31], 1
	s_delay_alu instid0(SALU_CYCLE_1) | instskip(NEXT) | instid1(VALU_DEP_2)
	v_cmp_ge_i64_e64 s0, s[30:31], s[18:19]
	v_mov_b64_e32 v[4:5], v[30:31]
	s_delay_alu instid0(VALU_DEP_3)
	v_mov_b64_e32 v[2:3], v[28:29]
	s_and_not1_b32 vcc_lo, exec_lo, s0
	s_cbranch_vccz .LBB119_54
.LBB119_52:                             ;   in Loop: Header=BB119_18 Depth=1
	s_delay_alu instid0(VALU_DEP_4) | instskip(NEXT) | instid1(VALU_DEP_4)
	v_mov_b64_e32 v[22:23], v[24:25]
	v_mov_b64_e32 v[20:21], v[26:27]
	s_sub_co_i32 s0, s30, s16
	s_delay_alu instid0(SALU_CYCLE_1) | instskip(NEXT) | instid1(SALU_CYCLE_1)
	s_and_b32 s0, s0, 0xff
	s_cmp_lg_u32 s0, 0
	s_cbranch_scc1 .LBB119_18
	s_branch .LBB119_15
.LBB119_53:
	v_mov_b64_e32 v[26:27], 1.0
	v_mov_b64_e32 v[24:25], 0
.LBB119_54:
	s_cmp_lg_u32 s14, 0
	s_cbranch_scc0 .LBB119_61
; %bb.55:
	s_and_saveexec_b32 s0, s2
	s_cbranch_execz .LBB119_57
.LBB119_56:
	s_wait_loadcnt_dscnt 0x0
	v_lshl_add_u64 v[6:7], s[22:23], 4, v[10:11]
	global_store_b128 v[6:7], v[2:5], off
.LBB119_57:
	s_wait_xcnt 0x0
	s_or_b32 exec_lo, exec_lo, s0
	global_wb scope:SCOPE_DEV
	s_wait_storecnt 0x0
	s_wait_loadcnt_dscnt 0x0
	global_inv scope:SCOPE_DEV
	s_wait_loadcnt 0x0
	s_barrier_signal -1
	s_barrier_wait -1
	s_mov_b32 s0, exec_lo
	v_cmpx_eq_u32_e32 0, v0
	s_cbranch_execz .LBB119_59
; %bb.58:
	s_lshl_b64 s[0:1], s[20:21], 2
	v_dual_mov_b32 v0, 0 :: v_dual_mov_b32 v1, 1
	s_add_nc_u64 s[0:1], s[6:7], s[0:1]
	s_lshl_b64 s[2:3], s[4:5], 2
	s_delay_alu instid0(SALU_CYCLE_1)
	s_add_nc_u64 s[0:1], s[0:1], s[2:3]
	global_store_b32 v0, v1, s[0:1] scope:SCOPE_DEV
.LBB119_59:
	s_endpgm
.LBB119_60:
                                        ; implicit-def: $sgpr22_sgpr23
	s_clause 0x1
	s_load_b64 s[8:9], s[0:1], 0x58
	s_load_b64 s[16:17], s[0:1], 0x28
	s_branch .LBB119_4
.LBB119_61:
	s_wait_loadcnt_dscnt 0x0
	s_delay_alu instid0(VALU_DEP_1) | instskip(SKIP_1) | instid1(VALU_DEP_2)
	v_mul_f64_e64 v[6:7], v[24:25], -v[4:5]
	v_mul_f64_e32 v[8:9], v[24:25], v[2:3]
	v_fmac_f64_e32 v[6:7], v[2:3], v[26:27]
	s_delay_alu instid0(VALU_DEP_2) | instskip(NEXT) | instid1(VALU_DEP_2)
	v_fmac_f64_e32 v[8:9], v[4:5], v[26:27]
	v_mov_b64_e32 v[2:3], v[6:7]
	s_delay_alu instid0(VALU_DEP_2)
	v_mov_b64_e32 v[4:5], v[8:9]
	s_and_saveexec_b32 s0, s2
	s_cbranch_execnz .LBB119_56
	s_branch .LBB119_57
	.section	.rodata,"a",@progbits
	.p2align	6, 0x0
	.amdhsa_kernel _ZN9rocsparseL5csrsmILj256ELj64ELb0Ell21rocsparse_complex_numIdEEEv20rocsparse_operation_T3_S4_NS_24const_host_device_scalarIT4_EEPKT2_PKS4_PKS6_PS6_lPiSC_PS4_21rocsparse_index_base_20rocsparse_fill_mode_20rocsparse_diag_type_b
		.amdhsa_group_segment_fixed_size 6144
		.amdhsa_private_segment_fixed_size 16
		.amdhsa_kernarg_size 120
		.amdhsa_user_sgpr_count 2
		.amdhsa_user_sgpr_dispatch_ptr 0
		.amdhsa_user_sgpr_queue_ptr 0
		.amdhsa_user_sgpr_kernarg_segment_ptr 1
		.amdhsa_user_sgpr_dispatch_id 0
		.amdhsa_user_sgpr_kernarg_preload_length 0
		.amdhsa_user_sgpr_kernarg_preload_offset 0
		.amdhsa_user_sgpr_private_segment_size 0
		.amdhsa_wavefront_size32 1
		.amdhsa_uses_dynamic_stack 0
		.amdhsa_enable_private_segment 1
		.amdhsa_system_sgpr_workgroup_id_x 1
		.amdhsa_system_sgpr_workgroup_id_y 0
		.amdhsa_system_sgpr_workgroup_id_z 0
		.amdhsa_system_sgpr_workgroup_info 0
		.amdhsa_system_vgpr_workitem_id 0
		.amdhsa_next_free_vgpr 34
		.amdhsa_next_free_sgpr 36
		.amdhsa_named_barrier_count 0
		.amdhsa_reserve_vcc 1
		.amdhsa_float_round_mode_32 0
		.amdhsa_float_round_mode_16_64 0
		.amdhsa_float_denorm_mode_32 3
		.amdhsa_float_denorm_mode_16_64 3
		.amdhsa_fp16_overflow 0
		.amdhsa_memory_ordered 1
		.amdhsa_forward_progress 1
		.amdhsa_inst_pref_size 22
		.amdhsa_round_robin_scheduling 0
		.amdhsa_exception_fp_ieee_invalid_op 0
		.amdhsa_exception_fp_denorm_src 0
		.amdhsa_exception_fp_ieee_div_zero 0
		.amdhsa_exception_fp_ieee_overflow 0
		.amdhsa_exception_fp_ieee_underflow 0
		.amdhsa_exception_fp_ieee_inexact 0
		.amdhsa_exception_int_div_zero 0
	.end_amdhsa_kernel
	.section	.text._ZN9rocsparseL5csrsmILj256ELj64ELb0Ell21rocsparse_complex_numIdEEEv20rocsparse_operation_T3_S4_NS_24const_host_device_scalarIT4_EEPKT2_PKS4_PKS6_PS6_lPiSC_PS4_21rocsparse_index_base_20rocsparse_fill_mode_20rocsparse_diag_type_b,"axG",@progbits,_ZN9rocsparseL5csrsmILj256ELj64ELb0Ell21rocsparse_complex_numIdEEEv20rocsparse_operation_T3_S4_NS_24const_host_device_scalarIT4_EEPKT2_PKS4_PKS6_PS6_lPiSC_PS4_21rocsparse_index_base_20rocsparse_fill_mode_20rocsparse_diag_type_b,comdat
.Lfunc_end119:
	.size	_ZN9rocsparseL5csrsmILj256ELj64ELb0Ell21rocsparse_complex_numIdEEEv20rocsparse_operation_T3_S4_NS_24const_host_device_scalarIT4_EEPKT2_PKS4_PKS6_PS6_lPiSC_PS4_21rocsparse_index_base_20rocsparse_fill_mode_20rocsparse_diag_type_b, .Lfunc_end119-_ZN9rocsparseL5csrsmILj256ELj64ELb0Ell21rocsparse_complex_numIdEEEv20rocsparse_operation_T3_S4_NS_24const_host_device_scalarIT4_EEPKT2_PKS4_PKS6_PS6_lPiSC_PS4_21rocsparse_index_base_20rocsparse_fill_mode_20rocsparse_diag_type_b
                                        ; -- End function
	.set _ZN9rocsparseL5csrsmILj256ELj64ELb0Ell21rocsparse_complex_numIdEEEv20rocsparse_operation_T3_S4_NS_24const_host_device_scalarIT4_EEPKT2_PKS4_PKS6_PS6_lPiSC_PS4_21rocsparse_index_base_20rocsparse_fill_mode_20rocsparse_diag_type_b.num_vgpr, 34
	.set _ZN9rocsparseL5csrsmILj256ELj64ELb0Ell21rocsparse_complex_numIdEEEv20rocsparse_operation_T3_S4_NS_24const_host_device_scalarIT4_EEPKT2_PKS4_PKS6_PS6_lPiSC_PS4_21rocsparse_index_base_20rocsparse_fill_mode_20rocsparse_diag_type_b.num_agpr, 0
	.set _ZN9rocsparseL5csrsmILj256ELj64ELb0Ell21rocsparse_complex_numIdEEEv20rocsparse_operation_T3_S4_NS_24const_host_device_scalarIT4_EEPKT2_PKS4_PKS6_PS6_lPiSC_PS4_21rocsparse_index_base_20rocsparse_fill_mode_20rocsparse_diag_type_b.numbered_sgpr, 36
	.set _ZN9rocsparseL5csrsmILj256ELj64ELb0Ell21rocsparse_complex_numIdEEEv20rocsparse_operation_T3_S4_NS_24const_host_device_scalarIT4_EEPKT2_PKS4_PKS6_PS6_lPiSC_PS4_21rocsparse_index_base_20rocsparse_fill_mode_20rocsparse_diag_type_b.num_named_barrier, 0
	.set _ZN9rocsparseL5csrsmILj256ELj64ELb0Ell21rocsparse_complex_numIdEEEv20rocsparse_operation_T3_S4_NS_24const_host_device_scalarIT4_EEPKT2_PKS4_PKS6_PS6_lPiSC_PS4_21rocsparse_index_base_20rocsparse_fill_mode_20rocsparse_diag_type_b.private_seg_size, 16
	.set _ZN9rocsparseL5csrsmILj256ELj64ELb0Ell21rocsparse_complex_numIdEEEv20rocsparse_operation_T3_S4_NS_24const_host_device_scalarIT4_EEPKT2_PKS4_PKS6_PS6_lPiSC_PS4_21rocsparse_index_base_20rocsparse_fill_mode_20rocsparse_diag_type_b.uses_vcc, 1
	.set _ZN9rocsparseL5csrsmILj256ELj64ELb0Ell21rocsparse_complex_numIdEEEv20rocsparse_operation_T3_S4_NS_24const_host_device_scalarIT4_EEPKT2_PKS4_PKS6_PS6_lPiSC_PS4_21rocsparse_index_base_20rocsparse_fill_mode_20rocsparse_diag_type_b.uses_flat_scratch, 0
	.set _ZN9rocsparseL5csrsmILj256ELj64ELb0Ell21rocsparse_complex_numIdEEEv20rocsparse_operation_T3_S4_NS_24const_host_device_scalarIT4_EEPKT2_PKS4_PKS6_PS6_lPiSC_PS4_21rocsparse_index_base_20rocsparse_fill_mode_20rocsparse_diag_type_b.has_dyn_sized_stack, 0
	.set _ZN9rocsparseL5csrsmILj256ELj64ELb0Ell21rocsparse_complex_numIdEEEv20rocsparse_operation_T3_S4_NS_24const_host_device_scalarIT4_EEPKT2_PKS4_PKS6_PS6_lPiSC_PS4_21rocsparse_index_base_20rocsparse_fill_mode_20rocsparse_diag_type_b.has_recursion, 0
	.set _ZN9rocsparseL5csrsmILj256ELj64ELb0Ell21rocsparse_complex_numIdEEEv20rocsparse_operation_T3_S4_NS_24const_host_device_scalarIT4_EEPKT2_PKS4_PKS6_PS6_lPiSC_PS4_21rocsparse_index_base_20rocsparse_fill_mode_20rocsparse_diag_type_b.has_indirect_call, 0
	.section	.AMDGPU.csdata,"",@progbits
; Kernel info:
; codeLenInByte = 2736
; TotalNumSgprs: 38
; NumVgprs: 34
; ScratchSize: 16
; MemoryBound: 1
; FloatMode: 240
; IeeeMode: 1
; LDSByteSize: 6144 bytes/workgroup (compile time only)
; SGPRBlocks: 0
; VGPRBlocks: 2
; NumSGPRsForWavesPerEU: 38
; NumVGPRsForWavesPerEU: 34
; NamedBarCnt: 0
; Occupancy: 16
; WaveLimiterHint : 1
; COMPUTE_PGM_RSRC2:SCRATCH_EN: 1
; COMPUTE_PGM_RSRC2:USER_SGPR: 2
; COMPUTE_PGM_RSRC2:TRAP_HANDLER: 0
; COMPUTE_PGM_RSRC2:TGID_X_EN: 1
; COMPUTE_PGM_RSRC2:TGID_Y_EN: 0
; COMPUTE_PGM_RSRC2:TGID_Z_EN: 0
; COMPUTE_PGM_RSRC2:TIDIG_COMP_CNT: 0
	.section	.text._ZN9rocsparseL5csrsmILj512ELj64ELb1Ell21rocsparse_complex_numIdEEEv20rocsparse_operation_T3_S4_NS_24const_host_device_scalarIT4_EEPKT2_PKS4_PKS6_PS6_lPiSC_PS4_21rocsparse_index_base_20rocsparse_fill_mode_20rocsparse_diag_type_b,"axG",@progbits,_ZN9rocsparseL5csrsmILj512ELj64ELb1Ell21rocsparse_complex_numIdEEEv20rocsparse_operation_T3_S4_NS_24const_host_device_scalarIT4_EEPKT2_PKS4_PKS6_PS6_lPiSC_PS4_21rocsparse_index_base_20rocsparse_fill_mode_20rocsparse_diag_type_b,comdat
	.globl	_ZN9rocsparseL5csrsmILj512ELj64ELb1Ell21rocsparse_complex_numIdEEEv20rocsparse_operation_T3_S4_NS_24const_host_device_scalarIT4_EEPKT2_PKS4_PKS6_PS6_lPiSC_PS4_21rocsparse_index_base_20rocsparse_fill_mode_20rocsparse_diag_type_b ; -- Begin function _ZN9rocsparseL5csrsmILj512ELj64ELb1Ell21rocsparse_complex_numIdEEEv20rocsparse_operation_T3_S4_NS_24const_host_device_scalarIT4_EEPKT2_PKS4_PKS6_PS6_lPiSC_PS4_21rocsparse_index_base_20rocsparse_fill_mode_20rocsparse_diag_type_b
	.p2align	8
	.type	_ZN9rocsparseL5csrsmILj512ELj64ELb1Ell21rocsparse_complex_numIdEEEv20rocsparse_operation_T3_S4_NS_24const_host_device_scalarIT4_EEPKT2_PKS4_PKS6_PS6_lPiSC_PS4_21rocsparse_index_base_20rocsparse_fill_mode_20rocsparse_diag_type_b,@function
_ZN9rocsparseL5csrsmILj512ELj64ELb1Ell21rocsparse_complex_numIdEEEv20rocsparse_operation_T3_S4_NS_24const_host_device_scalarIT4_EEPKT2_PKS4_PKS6_PS6_lPiSC_PS4_21rocsparse_index_base_20rocsparse_fill_mode_20rocsparse_diag_type_b: ; @_ZN9rocsparseL5csrsmILj512ELj64ELb1Ell21rocsparse_complex_numIdEEEv20rocsparse_operation_T3_S4_NS_24const_host_device_scalarIT4_EEPKT2_PKS4_PKS6_PS6_lPiSC_PS4_21rocsparse_index_base_20rocsparse_fill_mode_20rocsparse_diag_type_b
; %bb.0:
	s_clause 0x1
	s_load_b128 s[12:15], s[0:1], 0x68
	s_load_b256 s[4:11], s[0:1], 0x8
	v_mbcnt_lo_u32_b32 v1, -1, 0
	s_mov_b32 s3, 0
	s_delay_alu instid0(VALU_DEP_1) | instskip(NEXT) | instid1(VALU_DEP_1)
	v_dual_mov_b32 v2, 0 :: v_dual_lshlrev_b32 v3, 20, v1
	v_add_nc_u64_e32 v[2:3], src_flat_scratch_base_lo, v[2:3]
	s_wait_kmcnt 0x0
	s_bitcmp1_b32 s15, 0
	v_mov_b64_e32 v[4:5], s[8:9]
	s_cselect_b32 vcc_lo, -1, 0
	v_mov_b64_e32 v[8:9], s[10:11]
	s_delay_alu instid0(VALU_DEP_3)
	v_cndmask_b32_e32 v3, s9, v3, vcc_lo
	v_cndmask_b32_e32 v2, s8, v2, vcc_lo
	s_and_b32 vcc_lo, exec_lo, vcc_lo
	scratch_store_b64 off, v[4:5], off
	flat_load_b64 v[6:7], v[2:3]
	s_cbranch_vccnz .LBB120_2
; %bb.1:
	v_mov_b32_e32 v1, 0
	flat_load_b64 v[8:9], v1, s[8:9] offset:8
.LBB120_2:
	s_bfe_u32 s2, ttmp6, 0x4000c
	s_wait_xcnt 0x0
	s_and_b32 s8, ttmp6, 15
	s_add_co_i32 s2, s2, 1
	s_getreg_b32 s9, hwreg(HW_REG_IB_STS2, 6, 4)
	s_mul_i32 s2, ttmp9, s2
	s_delay_alu instid0(SALU_CYCLE_1) | instskip(SKIP_3) | instid1(SALU_CYCLE_1)
	s_add_co_i32 s8, s8, s2
	s_cmp_eq_u32 s9, 0
	s_cselect_b32 s2, ttmp9, s8
	s_and_b64 s[8:9], s[4:5], 0xffffffff00000000
	s_cmp_lg_u64 s[8:9], 0
	s_cbranch_scc0 .LBB120_63
; %bb.3:
	s_ashr_i32 s8, s5, 31
	s_delay_alu instid0(SALU_CYCLE_1) | instskip(NEXT) | instid1(SALU_CYCLE_1)
	s_mov_b32 s9, s8
	s_add_nc_u64 s[10:11], s[4:5], s[8:9]
	s_delay_alu instid0(SALU_CYCLE_1) | instskip(NEXT) | instid1(SALU_CYCLE_1)
	s_xor_b64 s[16:17], s[10:11], s[8:9]
	s_cvt_f32_u32 s10, s16
	s_cvt_f32_u32 s11, s17
	s_sub_nc_u64 s[20:21], 0, s[16:17]
	s_delay_alu instid0(SALU_CYCLE_2) | instskip(NEXT) | instid1(SALU_CYCLE_3)
	s_fmamk_f32 s10, s11, 0x4f800000, s10
	v_s_rcp_f32 s10, s10
	s_delay_alu instid0(TRANS32_DEP_1) | instskip(NEXT) | instid1(SALU_CYCLE_3)
	s_mul_f32 s10, s10, 0x5f7ffffc
	s_mul_f32 s11, s10, 0x2f800000
	s_delay_alu instid0(SALU_CYCLE_3) | instskip(NEXT) | instid1(SALU_CYCLE_3)
	s_trunc_f32 s11, s11
	s_fmamk_f32 s10, s11, 0xcf800000, s10
	s_cvt_u32_f32 s19, s11
	s_mov_b32 s11, 0
	s_delay_alu instid0(SALU_CYCLE_1) | instskip(NEXT) | instid1(SALU_CYCLE_3)
	s_cvt_u32_f32 s18, s10
	s_mul_u64 s[22:23], s[20:21], s[18:19]
	s_delay_alu instid0(SALU_CYCLE_1)
	s_mul_hi_u32 s25, s18, s23
	s_mul_i32 s24, s18, s23
	s_mul_hi_u32 s10, s18, s22
	s_mul_i32 s26, s19, s22
	s_add_nc_u64 s[24:25], s[10:11], s[24:25]
	s_mul_hi_u32 s15, s19, s22
	s_mul_hi_u32 s27, s19, s23
	s_add_co_u32 s10, s24, s26
	s_add_co_ci_u32 s10, s25, s15
	s_mul_i32 s22, s19, s23
	s_add_co_ci_u32 s23, s27, 0
	s_delay_alu instid0(SALU_CYCLE_1) | instskip(NEXT) | instid1(SALU_CYCLE_1)
	s_add_nc_u64 s[22:23], s[10:11], s[22:23]
	s_add_co_u32 s18, s18, s22
	s_cselect_b32 s10, -1, 0
	s_delay_alu instid0(SALU_CYCLE_1) | instskip(SKIP_1) | instid1(SALU_CYCLE_1)
	s_cmp_lg_u32 s10, 0
	s_add_co_ci_u32 s19, s19, s23
	s_mul_u64 s[20:21], s[20:21], s[18:19]
	s_delay_alu instid0(SALU_CYCLE_1)
	s_mul_hi_u32 s23, s18, s21
	s_mul_i32 s22, s18, s21
	s_mul_hi_u32 s10, s18, s20
	s_mul_i32 s24, s19, s20
	s_add_nc_u64 s[22:23], s[10:11], s[22:23]
	s_mul_hi_u32 s15, s19, s20
	s_mul_hi_u32 s25, s19, s21
	s_add_co_u32 s10, s22, s24
	s_add_co_ci_u32 s10, s23, s15
	s_mul_i32 s20, s19, s21
	s_add_co_ci_u32 s21, s25, 0
	s_add_nc_u64 s[22:23], s[2:3], 0
	s_add_nc_u64 s[20:21], s[10:11], s[20:21]
	s_delay_alu instid0(SALU_CYCLE_1) | instskip(SKIP_1) | instid1(SALU_CYCLE_1)
	s_add_co_u32 s15, s18, s20
	s_cselect_b32 s10, -1, 0
	s_cmp_lg_u32 s10, 0
	s_add_co_ci_u32 s24, s19, s21
	s_xor_b64 s[18:19], s[22:23], 0
	s_delay_alu instid0(SALU_CYCLE_1)
	s_mul_hi_u32 s21, s18, s24
	s_mul_i32 s20, s18, s24
	s_mul_hi_u32 s10, s18, s15
	s_mul_hi_u32 s25, s19, s15
	s_mul_i32 s15, s19, s15
	s_add_nc_u64 s[20:21], s[10:11], s[20:21]
	s_mul_hi_u32 s23, s19, s24
	s_add_co_u32 s10, s20, s15
	s_add_co_ci_u32 s10, s21, s25
	s_mul_i32 s22, s19, s24
	s_add_co_ci_u32 s23, s23, 0
	s_delay_alu instid0(SALU_CYCLE_1) | instskip(NEXT) | instid1(SALU_CYCLE_1)
	s_add_nc_u64 s[20:21], s[10:11], s[22:23]
	s_and_b64 s[22:23], s[20:21], 0xffffffff00000000
	s_delay_alu instid0(SALU_CYCLE_1) | instskip(NEXT) | instid1(SALU_CYCLE_1)
	s_or_b32 s22, s22, s20
	s_mul_u64 s[20:21], s[16:17], s[22:23]
	s_delay_alu instid0(SALU_CYCLE_1)
	s_sub_co_u32 s10, s18, s20
	s_cselect_b32 s15, -1, 0
	s_sub_co_i32 s18, s19, s21
	s_cmp_lg_u32 s15, 0
	s_sub_co_ci_u32 s18, s18, s17
	s_sub_co_u32 s20, s10, s16
	s_cselect_b32 s24, -1, 0
	s_delay_alu instid0(SALU_CYCLE_1) | instskip(SKIP_2) | instid1(SALU_CYCLE_1)
	s_cmp_lg_u32 s24, 0
	s_add_nc_u64 s[24:25], s[22:23], 1
	s_sub_co_ci_u32 s18, s18, 0
	s_cmp_ge_u32 s18, s17
	s_cselect_b32 s26, -1, 0
	s_cmp_ge_u32 s20, s16
	s_cselect_b32 s20, -1, 0
	s_cmp_eq_u32 s18, s17
	s_cselect_b32 s18, s20, s26
	s_add_nc_u64 s[26:27], s[22:23], 2
	s_cmp_lg_u32 s18, 0
	s_cselect_b32 s18, s26, s24
	s_cselect_b32 s20, s27, s25
	s_cmp_lg_u32 s15, 0
	s_sub_co_ci_u32 s15, s19, s21
	s_delay_alu instid0(SALU_CYCLE_1)
	s_cmp_ge_u32 s15, s17
	s_cselect_b32 s19, -1, 0
	s_cmp_ge_u32 s10, s16
	s_cselect_b32 s10, -1, 0
	s_cmp_eq_u32 s15, s17
	s_cselect_b32 s10, s10, s19
	s_delay_alu instid0(SALU_CYCLE_1) | instskip(SKIP_3) | instid1(SALU_CYCLE_1)
	s_cmp_lg_u32 s10, 0
	s_cselect_b32 s17, s20, s23
	s_cselect_b32 s16, s18, s22
	s_xor_b64 s[8:9], 0, s[8:9]
	s_xor_b64 s[16:17], s[16:17], s[8:9]
	s_delay_alu instid0(SALU_CYCLE_1)
	s_sub_nc_u64 s[22:23], s[16:17], s[8:9]
	s_clause 0x1
	s_load_b64 s[8:9], s[0:1], 0x58
	s_load_b64 s[16:17], s[0:1], 0x28
	s_cbranch_execnz .LBB120_5
.LBB120_4:
	v_cvt_f32_u32_e32 v1, s4
	s_sub_co_i32 s11, 0, s4
	s_mov_b32 s23, 0
	s_delay_alu instid0(VALU_DEP_1) | instskip(SKIP_1) | instid1(TRANS32_DEP_1)
	v_rcp_iflag_f32_e32 v1, v1
	v_nop
	v_mul_f32_e32 v1, 0x4f7ffffe, v1
	s_delay_alu instid0(VALU_DEP_1) | instskip(NEXT) | instid1(VALU_DEP_1)
	v_cvt_u32_f32_e32 v1, v1
	v_readfirstlane_b32 s10, v1
	s_mul_i32 s11, s11, s10
	s_delay_alu instid0(SALU_CYCLE_1) | instskip(NEXT) | instid1(SALU_CYCLE_1)
	s_mul_hi_u32 s11, s10, s11
	s_add_co_i32 s10, s10, s11
	s_delay_alu instid0(SALU_CYCLE_1) | instskip(NEXT) | instid1(SALU_CYCLE_1)
	s_mul_hi_u32 s10, s2, s10
	s_mul_i32 s11, s10, s4
	s_add_co_i32 s15, s10, 1
	s_sub_co_i32 s11, s2, s11
	s_delay_alu instid0(SALU_CYCLE_1)
	s_sub_co_i32 s18, s11, s4
	s_cmp_ge_u32 s11, s4
	s_cselect_b32 s10, s15, s10
	s_cselect_b32 s11, s18, s11
	s_add_co_i32 s15, s10, 1
	s_cmp_ge_u32 s11, s4
	s_cselect_b32 s22, s15, s10
.LBB120_5:
	s_delay_alu instid0(SALU_CYCLE_1)
	s_mul_u64 s[4:5], s[22:23], s[4:5]
	s_load_b32 s15, s[0:1], 0x0
	s_sub_nc_u64 s[2:3], s[2:3], s[4:5]
	v_mov_b32_e32 v1, 0
	s_lshl_b64 s[2:3], s[2:3], 3
	s_wait_kmcnt 0x0
	s_add_nc_u64 s[2:3], s[8:9], s[2:3]
	s_load_b64 s[20:21], s[2:3], 0x0
	s_load_b128 s[8:11], s[0:1], 0x40
	s_wait_kmcnt 0x0
	s_lshl_b64 s[2:3], s[20:21], 3
	s_delay_alu instid0(SALU_CYCLE_1)
	s_add_nc_u64 s[2:3], s[16:17], s[2:3]
	s_load_b128 s[16:19], s[2:3], 0x0
	s_wait_xcnt 0x0
	s_lshl_b64 s[2:3], s[22:23], 9
	s_mul_u64 s[22:23], s[20:21], s[10:11]
	v_dual_mov_b32 v11, s3 :: v_dual_bitop2_b32 v10, s2, v0 bitop3:0x54
	s_cmp_lg_u32 s15, 0x71
	s_delay_alu instid0(VALU_DEP_1)
	v_add_nc_u64_e32 v[12:13], s[22:23], v[10:11]
	v_cmp_gt_i64_e64 s2, s[6:7], v[10:11]
	s_cbranch_scc0 .LBB120_9
; %bb.6:
	v_mov_b64_e32 v[4:5], 0
	v_mov_b64_e32 v[2:3], 0
	s_and_saveexec_b32 s3, s2
	s_cbranch_execz .LBB120_8
; %bb.7:
	v_lshl_add_u64 v[2:3], v[12:13], 4, s[8:9]
	global_load_b128 v[14:17], v[2:3], off
	s_wait_loadcnt_dscnt 0x0
	v_mul_f64_e64 v[2:3], v[16:17], -v[8:9]
	v_mul_f64_e32 v[4:5], v[6:7], v[16:17]
	s_delay_alu instid0(VALU_DEP_2) | instskip(NEXT) | instid1(VALU_DEP_2)
	v_fmac_f64_e32 v[2:3], v[6:7], v[14:15]
	v_fmac_f64_e32 v[4:5], v[8:9], v[14:15]
.LBB120_8:
	s_or_b32 exec_lo, exec_lo, s3
	s_cbranch_execz .LBB120_10
	s_branch .LBB120_13
.LBB120_9:
                                        ; implicit-def: $vgpr4_vgpr5
.LBB120_10:
	v_mov_b64_e32 v[4:5], 0
	v_mov_b64_e32 v[2:3], 0
	s_and_saveexec_b32 s3, s2
	s_cbranch_execz .LBB120_12
; %bb.11:
	v_lshl_add_u64 v[2:3], v[12:13], 4, s[8:9]
	global_load_b128 v[12:15], v[2:3], off
	s_wait_loadcnt_dscnt 0x0
	v_mul_f64_e32 v[2:3], v[8:9], v[14:15]
	v_mul_f64_e64 v[4:5], v[6:7], -v[14:15]
	s_delay_alu instid0(VALU_DEP_2) | instskip(NEXT) | instid1(VALU_DEP_2)
	v_fmac_f64_e32 v[2:3], v[6:7], v[12:13]
	v_fmac_f64_e32 v[4:5], v[8:9], v[12:13]
.LBB120_12:
	s_or_b32 exec_lo, exec_lo, s3
.LBB120_13:
	s_load_b64 s[6:7], s[0:1], 0x50
	s_wait_kmcnt 0x0
	v_cmp_ge_i64_e64 s3, s[16:17], s[18:19]
	v_lshl_add_u64 v[10:11], v[10:11], 4, s[8:9]
	s_and_b32 vcc_lo, exec_lo, s3
	v_cmp_eq_u32_e64 s3, 0, v0
	s_cbranch_vccnz .LBB120_56
; %bb.14:
	s_clause 0x1
	s_load_b128 s[28:31], s[0:1], 0x30
	s_load_b64 s[8:9], s[0:1], 0x60
	v_dual_mov_b32 v13, 0 :: v_dual_lshlrev_b32 v12, 3, v0
	v_lshlrev_b32_e32 v14, 4, v0
	v_mov_b64_e32 v[20:21], 1.0
	v_mov_b64_e32 v[22:23], 0
	s_mov_b32 s25, 0
	v_mov_b32_e32 v15, v13
	s_mov_b32 s24, s12
	s_wait_xcnt 0x0
	s_lshl_b64 s[0:1], s[4:5], 2
	v_or_b32_e32 v32, 0x2000, v12
	s_cmp_eq_u32 s14, 0
	s_sub_nc_u64 s[16:17], s[16:17], s[24:25]
	s_add_nc_u64 s[26:27], s[6:7], s[0:1]
	s_cselect_b32 s12, -1, 0
	s_sub_nc_u64 s[18:19], s[18:19], s[24:25]
	s_wait_kmcnt 0x0
	v_add_nc_u64_e32 v[16:17], s[28:29], v[12:13]
	v_add_nc_u64_e32 v[18:19], s[30:31], v[14:15]
	s_add_nc_u64 s[28:29], s[20:21], s[24:25]
	s_mov_b64 s[30:31], s[16:17]
	s_delay_alu instid0(SALU_CYCLE_1) | instskip(NEXT) | instid1(SALU_CYCLE_1)
	s_sub_co_i32 s0, s30, s16
	s_and_b32 s0, s0, 0x1ff
	s_delay_alu instid0(SALU_CYCLE_1)
	s_cmp_lg_u32 s0, 0
	s_cbranch_scc1 .LBB120_18
.LBB120_15:
	s_wait_loadcnt_dscnt 0x0
	v_mov_b64_e32 v[6:7], -1.0
	v_mov_b64_e32 v[8:9], 0
	v_mov_b64_e32 v[24:25], -1
	s_sub_nc_u64 s[34:35], s[18:19], s[30:31]
	s_mov_b32 s1, exec_lo
	v_cmpx_gt_i64_e64 s[34:35], v[0:1]
	s_cbranch_execz .LBB120_17
; %bb.16:
	v_lshl_add_u64 v[6:7], s[30:31], 3, v[16:17]
	global_load_b64 v[24:25], v[6:7], off
	s_wait_xcnt 0x0
	v_lshl_add_u64 v[6:7], s[30:31], 4, v[18:19]
	global_load_b128 v[6:9], v[6:7], off
	s_wait_loadcnt 0x1
	v_sub_nc_u64_e64 v[24:25], v[24:25], s[24:25]
.LBB120_17:
	s_wait_xcnt 0x0
	s_or_b32 exec_lo, exec_lo, s1
	ds_store_b64 v32, v[24:25]
	s_wait_loadcnt 0x0
	ds_store_b128 v14, v[6:9]
.LBB120_18:                             ; =>This Loop Header: Depth=1
                                        ;     Child Loop BB120_54 Depth 2
                                        ;       Child Loop BB120_55 Depth 3
	s_lshl_b32 s1, s0, 4
	s_wait_storecnt 0x0
	s_wait_loadcnt_dscnt 0x0
	v_mov_b32_e32 v6, s1
	s_barrier_signal -1
	s_barrier_wait -1
	s_lshl_b32 s1, s0, 3
	ds_load_b128 v[24:27], v6
	v_mov_b32_e32 v6, s1
	ds_load_b64 v[6:7], v6 offset:8192
	s_wait_dscnt 0x1
	v_cmp_eq_f64_e32 vcc_lo, 0, v[24:25]
	v_cmp_eq_f64_e64 s0, 0, v[26:27]
	s_wait_dscnt 0x0
	v_readfirstlane_b32 s34, v6
	v_readfirstlane_b32 s35, v7
	s_and_b32 s1, vcc_lo, s0
	s_cmp_eq_u64 s[34:35], s[20:21]
	s_cselect_b32 s17, -1, 0
	s_cmp_lg_u64 s[34:35], s[20:21]
	s_cselect_b32 s0, -1, 0
	s_and_b32 s1, s1, s17
	s_delay_alu instid0(SALU_CYCLE_1) | instskip(NEXT) | instid1(SALU_CYCLE_1)
	s_and_b32 s1, s12, s1
	v_cndmask_b32_e64 v7, v27, 0, s1
	v_cndmask_b32_e64 v6, v26, 0, s1
	;; [unrolled: 1-line block ×4, first 2 shown]
	s_and_b32 s15, s3, s1
	s_delay_alu instid0(SALU_CYCLE_1)
	s_and_saveexec_b32 s1, s15
	s_cbranch_execz .LBB120_22
; %bb.19:                               ;   in Loop: Header=BB120_18 Depth=1
	v_mbcnt_lo_u32_b32 v6, exec_lo, 0
	s_mov_b32 s15, exec_lo
	s_delay_alu instid0(VALU_DEP_1)
	v_cmpx_eq_u32_e32 0, v6
	s_cbranch_execz .LBB120_21
; %bb.20:                               ;   in Loop: Header=BB120_18 Depth=1
	v_mov_b64_e32 v[6:7], s[28:29]
	global_atomic_min_u64 v13, v[6:7], s[8:9] scope:SCOPE_DEV
.LBB120_21:                             ;   in Loop: Header=BB120_18 Depth=1
	s_wait_xcnt 0x0
	s_or_b32 exec_lo, exec_lo, s15
	v_mov_b64_e32 v[8:9], 1.0
	v_mov_b64_e32 v[6:7], 0
.LBB120_22:                             ;   in Loop: Header=BB120_18 Depth=1
	s_or_b32 exec_lo, exec_lo, s1
	s_mov_b32 s33, -1
	s_mov_b32 s1, 0
	s_cmp_lt_i32 s13, 1
	s_mov_b32 s15, 0
                                        ; implicit-def: $vgpr24_vgpr25
                                        ; implicit-def: $vgpr26_vgpr27
	s_cbranch_scc0 .LBB120_29
; %bb.23:                               ;   in Loop: Header=BB120_18 Depth=1
	s_and_b32 vcc_lo, exec_lo, s33
	s_mov_b32 s17, 4
	s_cbranch_vccnz .LBB120_36
.LBB120_24:                             ;   in Loop: Header=BB120_18 Depth=1
	v_mov_b64_e32 v[30:31], v[4:5]
	v_mov_b64_e32 v[28:29], v[2:3]
	s_and_b32 vcc_lo, exec_lo, s15
	s_cbranch_vccnz .LBB120_41
.LBB120_25:                             ;   in Loop: Header=BB120_18 Depth=1
	s_and_b32 vcc_lo, exec_lo, s1
	s_cbranch_vccnz .LBB120_46
.LBB120_26:                             ;   in Loop: Header=BB120_18 Depth=1
	s_mov_b32 s0, -1
	s_cmp_gt_i32 s17, 3
	s_mov_b32 s1, -1
	s_cbranch_scc0 .LBB120_49
.LBB120_27:                             ;   in Loop: Header=BB120_18 Depth=1
	s_and_not1_b32 vcc_lo, exec_lo, s1
	s_cbranch_vccz .LBB120_50
.LBB120_28:                             ;   in Loop: Header=BB120_18 Depth=1
	s_delay_alu instid0(VALU_DEP_1) | instskip(NEXT) | instid1(VALU_DEP_2)
	v_mov_b64_e32 v[4:5], v[30:31]
	v_mov_b64_e32 v[2:3], v[28:29]
	s_and_not1_b32 vcc_lo, exec_lo, s0
	s_cbranch_vccnz .LBB120_51
	s_branch .LBB120_57
.LBB120_29:                             ;   in Loop: Header=BB120_18 Depth=1
	s_cmp_eq_u32 s13, 1
	s_mov_b32 s15, -1
                                        ; implicit-def: $vgpr24_vgpr25
                                        ; implicit-def: $vgpr26_vgpr27
	s_cbranch_scc0 .LBB120_35
; %bb.30:                               ;   in Loop: Header=BB120_18 Depth=1
	v_cmp_ge_i64_e64 s15, s[34:35], s[20:21]
	v_mov_b64_e32 v[24:25], v[22:23]
	v_mov_b64_e32 v[26:27], v[20:21]
	s_and_b32 vcc_lo, exec_lo, s15
	s_mov_b32 s15, 0
	s_cbranch_vccz .LBB120_35
; %bb.31:                               ;   in Loop: Header=BB120_18 Depth=1
	s_and_b32 vcc_lo, exec_lo, s17
	s_mov_b32 s15, -1
                                        ; implicit-def: $vgpr24_vgpr25
                                        ; implicit-def: $vgpr26_vgpr27
	s_cbranch_vccz .LBB120_35
; %bb.32:                               ;   in Loop: Header=BB120_18 Depth=1
	v_mov_b64_e32 v[24:25], v[22:23]
	v_mov_b64_e32 v[26:27], v[20:21]
	s_and_not1_b32 vcc_lo, exec_lo, s12
	s_cbranch_vccnz .LBB120_34
; %bb.33:                               ;   in Loop: Header=BB120_18 Depth=1
	v_mul_f64_e32 v[24:25], v[6:7], v[6:7]
	s_delay_alu instid0(VALU_DEP_1) | instskip(NEXT) | instid1(VALU_DEP_1)
	v_fmac_f64_e32 v[24:25], v[8:9], v[8:9]
	v_div_scale_f64 v[26:27], null, v[24:25], v[24:25], 1.0
	v_div_scale_f64 v[34:35], vcc_lo, 1.0, v[24:25], 1.0
	s_delay_alu instid0(VALU_DEP_2) | instskip(SKIP_1) | instid1(TRANS32_DEP_1)
	v_rcp_f64_e32 v[28:29], v[26:27]
	v_nop
	v_fma_f64 v[30:31], -v[26:27], v[28:29], 1.0
	s_delay_alu instid0(VALU_DEP_1) | instskip(NEXT) | instid1(VALU_DEP_1)
	v_fmac_f64_e32 v[28:29], v[28:29], v[30:31]
	v_fma_f64 v[30:31], -v[26:27], v[28:29], 1.0
	s_delay_alu instid0(VALU_DEP_1) | instskip(NEXT) | instid1(VALU_DEP_1)
	v_fmac_f64_e32 v[28:29], v[28:29], v[30:31]
	v_mul_f64_e32 v[30:31], v[34:35], v[28:29]
	s_delay_alu instid0(VALU_DEP_1) | instskip(NEXT) | instid1(VALU_DEP_1)
	v_fma_f64 v[26:27], -v[26:27], v[30:31], v[34:35]
	v_div_fmas_f64 v[26:27], v[26:27], v[28:29], v[30:31]
	v_fma_f64 v[28:29], 0, v[6:7], v[8:9]
	v_fma_f64 v[30:31], v[8:9], 0, -v[6:7]
	s_delay_alu instid0(VALU_DEP_3) | instskip(NEXT) | instid1(VALU_DEP_1)
	v_div_fixup_f64 v[24:25], v[26:27], v[24:25], 1.0
	v_mul_f64_e32 v[26:27], v[28:29], v[24:25]
	s_delay_alu instid0(VALU_DEP_3)
	v_mul_f64_e32 v[24:25], v[30:31], v[24:25]
.LBB120_34:                             ;   in Loop: Header=BB120_18 Depth=1
	s_mov_b32 s15, 0
.LBB120_35:                             ;   in Loop: Header=BB120_18 Depth=1
	s_mov_b32 s17, 4
	s_branch .LBB120_24
.LBB120_36:                             ;   in Loop: Header=BB120_18 Depth=1
	s_cmp_eq_u32 s13, 0
	s_cbranch_scc1 .LBB120_38
; %bb.37:                               ;   in Loop: Header=BB120_18 Depth=1
	s_mov_b32 s15, -1
	s_branch .LBB120_40
.LBB120_38:                             ;   in Loop: Header=BB120_18 Depth=1
	v_cmp_le_i64_e64 s15, s[34:35], s[20:21]
	s_and_b32 vcc_lo, exec_lo, s15
	s_mov_b32 s15, 0
	s_cbranch_vccz .LBB120_40
; %bb.39:                               ;   in Loop: Header=BB120_18 Depth=1
	s_mov_b32 s1, -1
	s_mov_b32 s15, s0
.LBB120_40:                             ;   in Loop: Header=BB120_18 Depth=1
	v_mov_b64_e32 v[24:25], v[22:23]
	v_mov_b64_e32 v[26:27], v[20:21]
	s_mov_b32 s17, 2
	v_mov_b64_e32 v[30:31], v[4:5]
	v_mov_b64_e32 v[28:29], v[2:3]
	s_and_b32 vcc_lo, exec_lo, s15
	s_cbranch_vccz .LBB120_25
.LBB120_41:                             ;   in Loop: Header=BB120_18 Depth=1
	s_and_saveexec_b32 s15, s3
	s_cbranch_execz .LBB120_43
; %bb.42:                               ;   in Loop: Header=BB120_18 Depth=1
	s_lshl_b64 s[0:1], s[34:35], 2
	s_delay_alu instid0(SALU_CYCLE_1)
	s_add_nc_u64 s[0:1], s[26:27], s[0:1]
	global_load_b32 v12, v13, s[0:1] scope:SCOPE_DEV
	s_wait_loadcnt 0x0
	v_cmp_ne_u32_e32 vcc_lo, 0, v12
	s_cbranch_vccz .LBB120_52
.LBB120_43:                             ;   in Loop: Header=BB120_18 Depth=1
	s_wait_xcnt 0x0
	s_or_b32 exec_lo, exec_lo, s15
	v_mov_b64_e32 v[30:31], 0
	v_mov_b64_e32 v[28:29], 0
	s_wait_storecnt 0x0
	s_barrier_signal -1
	s_barrier_wait -1
	global_inv scope:SCOPE_DEV
	s_and_saveexec_b32 s0, s2
	s_cbranch_execz .LBB120_45
; %bb.44:                               ;   in Loop: Header=BB120_18 Depth=1
	s_mul_u64 s[34:35], s[34:35], s[10:11]
	s_delay_alu instid0(SALU_CYCLE_1) | instskip(SKIP_4) | instid1(VALU_DEP_2)
	v_lshl_add_u64 v[24:25], s[34:35], 4, v[10:11]
	global_load_b128 v[24:27], v[24:25], off
	s_wait_loadcnt 0x0
	v_fma_f64 v[28:29], -v[8:9], v[24:25], v[2:3]
	v_fma_f64 v[24:25], -v[6:7], v[24:25], v[4:5]
	v_fmac_f64_e32 v[28:29], v[6:7], v[26:27]
	s_delay_alu instid0(VALU_DEP_2)
	v_fma_f64 v[30:31], -v[8:9], v[26:27], v[24:25]
.LBB120_45:                             ;   in Loop: Header=BB120_18 Depth=1
	s_or_b32 exec_lo, exec_lo, s0
	v_mov_b64_e32 v[24:25], v[22:23]
	v_mov_b64_e32 v[26:27], v[20:21]
	s_mov_b32 s17, 0
	s_branch .LBB120_26
.LBB120_46:                             ;   in Loop: Header=BB120_18 Depth=1
	s_and_not1_b32 vcc_lo, exec_lo, s12
	s_cbranch_vccnz .LBB120_48
; %bb.47:                               ;   in Loop: Header=BB120_18 Depth=1
	v_mul_f64_e32 v[20:21], v[6:7], v[6:7]
	s_delay_alu instid0(VALU_DEP_1) | instskip(NEXT) | instid1(VALU_DEP_1)
	v_fmac_f64_e32 v[20:21], v[8:9], v[8:9]
	v_div_scale_f64 v[22:23], null, v[20:21], v[20:21], 1.0
	v_div_scale_f64 v[28:29], vcc_lo, 1.0, v[20:21], 1.0
	s_delay_alu instid0(VALU_DEP_2) | instskip(SKIP_1) | instid1(TRANS32_DEP_1)
	v_rcp_f64_e32 v[24:25], v[22:23]
	v_nop
	v_fma_f64 v[26:27], -v[22:23], v[24:25], 1.0
	s_delay_alu instid0(VALU_DEP_1) | instskip(NEXT) | instid1(VALU_DEP_1)
	v_fmac_f64_e32 v[24:25], v[24:25], v[26:27]
	v_fma_f64 v[26:27], -v[22:23], v[24:25], 1.0
	s_delay_alu instid0(VALU_DEP_1) | instskip(NEXT) | instid1(VALU_DEP_1)
	v_fmac_f64_e32 v[24:25], v[24:25], v[26:27]
	v_mul_f64_e32 v[26:27], v[28:29], v[24:25]
	s_delay_alu instid0(VALU_DEP_1) | instskip(NEXT) | instid1(VALU_DEP_1)
	v_fma_f64 v[22:23], -v[22:23], v[26:27], v[28:29]
	v_div_fmas_f64 v[22:23], v[22:23], v[24:25], v[26:27]
	v_fma_f64 v[24:25], 0, v[6:7], v[8:9]
	v_fma_f64 v[6:7], v[8:9], 0, -v[6:7]
	s_delay_alu instid0(VALU_DEP_3) | instskip(NEXT) | instid1(VALU_DEP_1)
	v_div_fixup_f64 v[22:23], v[22:23], v[20:21], 1.0
	v_mul_f64_e32 v[20:21], v[24:25], v[22:23]
	s_delay_alu instid0(VALU_DEP_3)
	v_mul_f64_e32 v[22:23], v[6:7], v[22:23]
.LBB120_48:                             ;   in Loop: Header=BB120_18 Depth=1
	s_delay_alu instid0(VALU_DEP_2) | instskip(NEXT) | instid1(VALU_DEP_2)
	v_mov_b64_e32 v[26:27], v[20:21]
	v_mov_b64_e32 v[24:25], v[22:23]
	v_mov_b64_e32 v[28:29], v[2:3]
	v_mov_b64_e32 v[30:31], v[4:5]
	s_mov_b32 s17, 2
	s_mov_b32 s0, -1
	s_cmp_gt_i32 s17, 3
	s_mov_b32 s1, -1
	s_cbranch_scc1 .LBB120_27
.LBB120_49:                             ;   in Loop: Header=BB120_18 Depth=1
	s_cmp_eq_u32 s17, 0
	s_cselect_b32 s1, -1, 0
	s_delay_alu instid0(SALU_CYCLE_1)
	s_and_not1_b32 vcc_lo, exec_lo, s1
	s_cbranch_vccnz .LBB120_28
.LBB120_50:                             ;   in Loop: Header=BB120_18 Depth=1
	s_add_nc_u64 s[30:31], s[30:31], 1
	s_delay_alu instid0(SALU_CYCLE_1) | instskip(NEXT) | instid1(VALU_DEP_2)
	v_cmp_ge_i64_e64 s0, s[30:31], s[18:19]
	v_mov_b64_e32 v[4:5], v[30:31]
	s_delay_alu instid0(VALU_DEP_3)
	v_mov_b64_e32 v[2:3], v[28:29]
	s_and_not1_b32 vcc_lo, exec_lo, s0
	s_cbranch_vccz .LBB120_57
.LBB120_51:                             ;   in Loop: Header=BB120_18 Depth=1
	s_delay_alu instid0(VALU_DEP_4) | instskip(NEXT) | instid1(VALU_DEP_4)
	v_mov_b64_e32 v[22:23], v[24:25]
	v_mov_b64_e32 v[20:21], v[26:27]
	s_sub_co_i32 s0, s30, s16
	s_delay_alu instid0(SALU_CYCLE_1) | instskip(NEXT) | instid1(SALU_CYCLE_1)
	s_and_b32 s0, s0, 0x1ff
	s_cmp_lg_u32 s0, 0
	s_cbranch_scc1 .LBB120_18
	s_branch .LBB120_15
.LBB120_52:                             ;   in Loop: Header=BB120_18 Depth=1
	s_mov_b32 s17, 0
	s_branch .LBB120_54
.LBB120_53:                             ;   in Loop: Header=BB120_54 Depth=2
	global_load_b32 v12, v13, s[0:1] scope:SCOPE_DEV
	s_cmp_lt_u32 s17, 0xf43
	s_cselect_b32 s33, -1, 0
	s_delay_alu instid0(SALU_CYCLE_1)
	s_cmp_lg_u32 s33, 0
	s_add_co_ci_u32 s17, s17, 0
	s_wait_loadcnt 0x0
	v_cmp_ne_u32_e32 vcc_lo, 0, v12
	s_cbranch_vccnz .LBB120_43
.LBB120_54:                             ;   Parent Loop BB120_18 Depth=1
                                        ; =>  This Loop Header: Depth=2
                                        ;       Child Loop BB120_55 Depth 3
	s_cmp_eq_u32 s17, 0
	s_mov_b32 s33, s17
	s_cbranch_scc1 .LBB120_53
.LBB120_55:                             ;   Parent Loop BB120_18 Depth=1
                                        ;     Parent Loop BB120_54 Depth=2
                                        ; =>    This Inner Loop Header: Depth=3
	s_add_co_i32 s33, s33, -1
	s_sleep 1
	s_cmp_eq_u32 s33, 0
	s_cbranch_scc0 .LBB120_55
	s_branch .LBB120_53
.LBB120_56:
	v_mov_b64_e32 v[26:27], 1.0
	v_mov_b64_e32 v[24:25], 0
.LBB120_57:
	s_cmp_lg_u32 s14, 0
	s_cbranch_scc0 .LBB120_64
; %bb.58:
	s_and_saveexec_b32 s0, s2
	s_cbranch_execz .LBB120_60
.LBB120_59:
	s_wait_loadcnt_dscnt 0x0
	v_lshl_add_u64 v[6:7], s[22:23], 4, v[10:11]
	global_store_b128 v[6:7], v[2:5], off
.LBB120_60:
	s_wait_xcnt 0x0
	s_or_b32 exec_lo, exec_lo, s0
	global_wb scope:SCOPE_DEV
	s_wait_storecnt 0x0
	s_wait_loadcnt_dscnt 0x0
	global_inv scope:SCOPE_DEV
	s_wait_loadcnt 0x0
	s_barrier_signal -1
	s_barrier_wait -1
	s_mov_b32 s0, exec_lo
	v_cmpx_eq_u32_e32 0, v0
	s_cbranch_execz .LBB120_62
; %bb.61:
	s_lshl_b64 s[0:1], s[20:21], 2
	v_dual_mov_b32 v0, 0 :: v_dual_mov_b32 v1, 1
	s_add_nc_u64 s[0:1], s[6:7], s[0:1]
	s_lshl_b64 s[2:3], s[4:5], 2
	s_delay_alu instid0(SALU_CYCLE_1)
	s_add_nc_u64 s[0:1], s[0:1], s[2:3]
	global_store_b32 v0, v1, s[0:1] scope:SCOPE_DEV
.LBB120_62:
	s_endpgm
.LBB120_63:
                                        ; implicit-def: $sgpr22_sgpr23
	s_clause 0x1
	s_load_b64 s[8:9], s[0:1], 0x58
	s_load_b64 s[16:17], s[0:1], 0x28
	s_branch .LBB120_4
.LBB120_64:
	s_wait_loadcnt_dscnt 0x0
	s_delay_alu instid0(VALU_DEP_1) | instskip(SKIP_1) | instid1(VALU_DEP_2)
	v_mul_f64_e64 v[6:7], v[24:25], -v[4:5]
	v_mul_f64_e32 v[8:9], v[24:25], v[2:3]
	v_fmac_f64_e32 v[6:7], v[2:3], v[26:27]
	s_delay_alu instid0(VALU_DEP_2) | instskip(NEXT) | instid1(VALU_DEP_2)
	v_fmac_f64_e32 v[8:9], v[4:5], v[26:27]
	v_mov_b64_e32 v[2:3], v[6:7]
	s_delay_alu instid0(VALU_DEP_2)
	v_mov_b64_e32 v[4:5], v[8:9]
	s_and_saveexec_b32 s0, s2
	s_cbranch_execnz .LBB120_59
	s_branch .LBB120_60
	.section	.rodata,"a",@progbits
	.p2align	6, 0x0
	.amdhsa_kernel _ZN9rocsparseL5csrsmILj512ELj64ELb1Ell21rocsparse_complex_numIdEEEv20rocsparse_operation_T3_S4_NS_24const_host_device_scalarIT4_EEPKT2_PKS4_PKS6_PS6_lPiSC_PS4_21rocsparse_index_base_20rocsparse_fill_mode_20rocsparse_diag_type_b
		.amdhsa_group_segment_fixed_size 12288
		.amdhsa_private_segment_fixed_size 16
		.amdhsa_kernarg_size 120
		.amdhsa_user_sgpr_count 2
		.amdhsa_user_sgpr_dispatch_ptr 0
		.amdhsa_user_sgpr_queue_ptr 0
		.amdhsa_user_sgpr_kernarg_segment_ptr 1
		.amdhsa_user_sgpr_dispatch_id 0
		.amdhsa_user_sgpr_kernarg_preload_length 0
		.amdhsa_user_sgpr_kernarg_preload_offset 0
		.amdhsa_user_sgpr_private_segment_size 0
		.amdhsa_wavefront_size32 1
		.amdhsa_uses_dynamic_stack 0
		.amdhsa_enable_private_segment 1
		.amdhsa_system_sgpr_workgroup_id_x 1
		.amdhsa_system_sgpr_workgroup_id_y 0
		.amdhsa_system_sgpr_workgroup_id_z 0
		.amdhsa_system_sgpr_workgroup_info 0
		.amdhsa_system_vgpr_workitem_id 0
		.amdhsa_next_free_vgpr 36
		.amdhsa_next_free_sgpr 36
		.amdhsa_named_barrier_count 0
		.amdhsa_reserve_vcc 1
		.amdhsa_float_round_mode_32 0
		.amdhsa_float_round_mode_16_64 0
		.amdhsa_float_denorm_mode_32 3
		.amdhsa_float_denorm_mode_16_64 3
		.amdhsa_fp16_overflow 0
		.amdhsa_memory_ordered 1
		.amdhsa_forward_progress 1
		.amdhsa_inst_pref_size 22
		.amdhsa_round_robin_scheduling 0
		.amdhsa_exception_fp_ieee_invalid_op 0
		.amdhsa_exception_fp_denorm_src 0
		.amdhsa_exception_fp_ieee_div_zero 0
		.amdhsa_exception_fp_ieee_overflow 0
		.amdhsa_exception_fp_ieee_underflow 0
		.amdhsa_exception_fp_ieee_inexact 0
		.amdhsa_exception_int_div_zero 0
	.end_amdhsa_kernel
	.section	.text._ZN9rocsparseL5csrsmILj512ELj64ELb1Ell21rocsparse_complex_numIdEEEv20rocsparse_operation_T3_S4_NS_24const_host_device_scalarIT4_EEPKT2_PKS4_PKS6_PS6_lPiSC_PS4_21rocsparse_index_base_20rocsparse_fill_mode_20rocsparse_diag_type_b,"axG",@progbits,_ZN9rocsparseL5csrsmILj512ELj64ELb1Ell21rocsparse_complex_numIdEEEv20rocsparse_operation_T3_S4_NS_24const_host_device_scalarIT4_EEPKT2_PKS4_PKS6_PS6_lPiSC_PS4_21rocsparse_index_base_20rocsparse_fill_mode_20rocsparse_diag_type_b,comdat
.Lfunc_end120:
	.size	_ZN9rocsparseL5csrsmILj512ELj64ELb1Ell21rocsparse_complex_numIdEEEv20rocsparse_operation_T3_S4_NS_24const_host_device_scalarIT4_EEPKT2_PKS4_PKS6_PS6_lPiSC_PS4_21rocsparse_index_base_20rocsparse_fill_mode_20rocsparse_diag_type_b, .Lfunc_end120-_ZN9rocsparseL5csrsmILj512ELj64ELb1Ell21rocsparse_complex_numIdEEEv20rocsparse_operation_T3_S4_NS_24const_host_device_scalarIT4_EEPKT2_PKS4_PKS6_PS6_lPiSC_PS4_21rocsparse_index_base_20rocsparse_fill_mode_20rocsparse_diag_type_b
                                        ; -- End function
	.set _ZN9rocsparseL5csrsmILj512ELj64ELb1Ell21rocsparse_complex_numIdEEEv20rocsparse_operation_T3_S4_NS_24const_host_device_scalarIT4_EEPKT2_PKS4_PKS6_PS6_lPiSC_PS4_21rocsparse_index_base_20rocsparse_fill_mode_20rocsparse_diag_type_b.num_vgpr, 36
	.set _ZN9rocsparseL5csrsmILj512ELj64ELb1Ell21rocsparse_complex_numIdEEEv20rocsparse_operation_T3_S4_NS_24const_host_device_scalarIT4_EEPKT2_PKS4_PKS6_PS6_lPiSC_PS4_21rocsparse_index_base_20rocsparse_fill_mode_20rocsparse_diag_type_b.num_agpr, 0
	.set _ZN9rocsparseL5csrsmILj512ELj64ELb1Ell21rocsparse_complex_numIdEEEv20rocsparse_operation_T3_S4_NS_24const_host_device_scalarIT4_EEPKT2_PKS4_PKS6_PS6_lPiSC_PS4_21rocsparse_index_base_20rocsparse_fill_mode_20rocsparse_diag_type_b.numbered_sgpr, 36
	.set _ZN9rocsparseL5csrsmILj512ELj64ELb1Ell21rocsparse_complex_numIdEEEv20rocsparse_operation_T3_S4_NS_24const_host_device_scalarIT4_EEPKT2_PKS4_PKS6_PS6_lPiSC_PS4_21rocsparse_index_base_20rocsparse_fill_mode_20rocsparse_diag_type_b.num_named_barrier, 0
	.set _ZN9rocsparseL5csrsmILj512ELj64ELb1Ell21rocsparse_complex_numIdEEEv20rocsparse_operation_T3_S4_NS_24const_host_device_scalarIT4_EEPKT2_PKS4_PKS6_PS6_lPiSC_PS4_21rocsparse_index_base_20rocsparse_fill_mode_20rocsparse_diag_type_b.private_seg_size, 16
	.set _ZN9rocsparseL5csrsmILj512ELj64ELb1Ell21rocsparse_complex_numIdEEEv20rocsparse_operation_T3_S4_NS_24const_host_device_scalarIT4_EEPKT2_PKS4_PKS6_PS6_lPiSC_PS4_21rocsparse_index_base_20rocsparse_fill_mode_20rocsparse_diag_type_b.uses_vcc, 1
	.set _ZN9rocsparseL5csrsmILj512ELj64ELb1Ell21rocsparse_complex_numIdEEEv20rocsparse_operation_T3_S4_NS_24const_host_device_scalarIT4_EEPKT2_PKS4_PKS6_PS6_lPiSC_PS4_21rocsparse_index_base_20rocsparse_fill_mode_20rocsparse_diag_type_b.uses_flat_scratch, 0
	.set _ZN9rocsparseL5csrsmILj512ELj64ELb1Ell21rocsparse_complex_numIdEEEv20rocsparse_operation_T3_S4_NS_24const_host_device_scalarIT4_EEPKT2_PKS4_PKS6_PS6_lPiSC_PS4_21rocsparse_index_base_20rocsparse_fill_mode_20rocsparse_diag_type_b.has_dyn_sized_stack, 0
	.set _ZN9rocsparseL5csrsmILj512ELj64ELb1Ell21rocsparse_complex_numIdEEEv20rocsparse_operation_T3_S4_NS_24const_host_device_scalarIT4_EEPKT2_PKS4_PKS6_PS6_lPiSC_PS4_21rocsparse_index_base_20rocsparse_fill_mode_20rocsparse_diag_type_b.has_recursion, 0
	.set _ZN9rocsparseL5csrsmILj512ELj64ELb1Ell21rocsparse_complex_numIdEEEv20rocsparse_operation_T3_S4_NS_24const_host_device_scalarIT4_EEPKT2_PKS4_PKS6_PS6_lPiSC_PS4_21rocsparse_index_base_20rocsparse_fill_mode_20rocsparse_diag_type_b.has_indirect_call, 0
	.section	.AMDGPU.csdata,"",@progbits
; Kernel info:
; codeLenInByte = 2800
; TotalNumSgprs: 38
; NumVgprs: 36
; ScratchSize: 16
; MemoryBound: 1
; FloatMode: 240
; IeeeMode: 1
; LDSByteSize: 12288 bytes/workgroup (compile time only)
; SGPRBlocks: 0
; VGPRBlocks: 2
; NumSGPRsForWavesPerEU: 38
; NumVGPRsForWavesPerEU: 36
; NamedBarCnt: 0
; Occupancy: 16
; WaveLimiterHint : 1
; COMPUTE_PGM_RSRC2:SCRATCH_EN: 1
; COMPUTE_PGM_RSRC2:USER_SGPR: 2
; COMPUTE_PGM_RSRC2:TRAP_HANDLER: 0
; COMPUTE_PGM_RSRC2:TGID_X_EN: 1
; COMPUTE_PGM_RSRC2:TGID_Y_EN: 0
; COMPUTE_PGM_RSRC2:TGID_Z_EN: 0
; COMPUTE_PGM_RSRC2:TIDIG_COMP_CNT: 0
	.section	.text._ZN9rocsparseL5csrsmILj512ELj64ELb0Ell21rocsparse_complex_numIdEEEv20rocsparse_operation_T3_S4_NS_24const_host_device_scalarIT4_EEPKT2_PKS4_PKS6_PS6_lPiSC_PS4_21rocsparse_index_base_20rocsparse_fill_mode_20rocsparse_diag_type_b,"axG",@progbits,_ZN9rocsparseL5csrsmILj512ELj64ELb0Ell21rocsparse_complex_numIdEEEv20rocsparse_operation_T3_S4_NS_24const_host_device_scalarIT4_EEPKT2_PKS4_PKS6_PS6_lPiSC_PS4_21rocsparse_index_base_20rocsparse_fill_mode_20rocsparse_diag_type_b,comdat
	.globl	_ZN9rocsparseL5csrsmILj512ELj64ELb0Ell21rocsparse_complex_numIdEEEv20rocsparse_operation_T3_S4_NS_24const_host_device_scalarIT4_EEPKT2_PKS4_PKS6_PS6_lPiSC_PS4_21rocsparse_index_base_20rocsparse_fill_mode_20rocsparse_diag_type_b ; -- Begin function _ZN9rocsparseL5csrsmILj512ELj64ELb0Ell21rocsparse_complex_numIdEEEv20rocsparse_operation_T3_S4_NS_24const_host_device_scalarIT4_EEPKT2_PKS4_PKS6_PS6_lPiSC_PS4_21rocsparse_index_base_20rocsparse_fill_mode_20rocsparse_diag_type_b
	.p2align	8
	.type	_ZN9rocsparseL5csrsmILj512ELj64ELb0Ell21rocsparse_complex_numIdEEEv20rocsparse_operation_T3_S4_NS_24const_host_device_scalarIT4_EEPKT2_PKS4_PKS6_PS6_lPiSC_PS4_21rocsparse_index_base_20rocsparse_fill_mode_20rocsparse_diag_type_b,@function
_ZN9rocsparseL5csrsmILj512ELj64ELb0Ell21rocsparse_complex_numIdEEEv20rocsparse_operation_T3_S4_NS_24const_host_device_scalarIT4_EEPKT2_PKS4_PKS6_PS6_lPiSC_PS4_21rocsparse_index_base_20rocsparse_fill_mode_20rocsparse_diag_type_b: ; @_ZN9rocsparseL5csrsmILj512ELj64ELb0Ell21rocsparse_complex_numIdEEEv20rocsparse_operation_T3_S4_NS_24const_host_device_scalarIT4_EEPKT2_PKS4_PKS6_PS6_lPiSC_PS4_21rocsparse_index_base_20rocsparse_fill_mode_20rocsparse_diag_type_b
; %bb.0:
	s_clause 0x1
	s_load_b128 s[12:15], s[0:1], 0x68
	s_load_b256 s[4:11], s[0:1], 0x8
	v_mbcnt_lo_u32_b32 v1, -1, 0
	s_mov_b32 s3, 0
	s_delay_alu instid0(VALU_DEP_1) | instskip(NEXT) | instid1(VALU_DEP_1)
	v_dual_mov_b32 v2, 0 :: v_dual_lshlrev_b32 v3, 20, v1
	v_add_nc_u64_e32 v[2:3], src_flat_scratch_base_lo, v[2:3]
	s_wait_kmcnt 0x0
	s_bitcmp1_b32 s15, 0
	v_mov_b64_e32 v[4:5], s[8:9]
	s_cselect_b32 vcc_lo, -1, 0
	v_mov_b64_e32 v[8:9], s[10:11]
	s_delay_alu instid0(VALU_DEP_3)
	v_cndmask_b32_e32 v3, s9, v3, vcc_lo
	v_cndmask_b32_e32 v2, s8, v2, vcc_lo
	s_and_b32 vcc_lo, exec_lo, vcc_lo
	scratch_store_b64 off, v[4:5], off
	flat_load_b64 v[6:7], v[2:3]
	s_cbranch_vccnz .LBB121_2
; %bb.1:
	v_mov_b32_e32 v1, 0
	flat_load_b64 v[8:9], v1, s[8:9] offset:8
.LBB121_2:
	s_bfe_u32 s2, ttmp6, 0x4000c
	s_wait_xcnt 0x0
	s_and_b32 s8, ttmp6, 15
	s_add_co_i32 s2, s2, 1
	s_getreg_b32 s9, hwreg(HW_REG_IB_STS2, 6, 4)
	s_mul_i32 s2, ttmp9, s2
	s_delay_alu instid0(SALU_CYCLE_1) | instskip(SKIP_3) | instid1(SALU_CYCLE_1)
	s_add_co_i32 s8, s8, s2
	s_cmp_eq_u32 s9, 0
	s_cselect_b32 s2, ttmp9, s8
	s_and_b64 s[8:9], s[4:5], 0xffffffff00000000
	s_cmp_lg_u64 s[8:9], 0
	s_cbranch_scc0 .LBB121_60
; %bb.3:
	s_ashr_i32 s8, s5, 31
	s_delay_alu instid0(SALU_CYCLE_1) | instskip(NEXT) | instid1(SALU_CYCLE_1)
	s_mov_b32 s9, s8
	s_add_nc_u64 s[10:11], s[4:5], s[8:9]
	s_delay_alu instid0(SALU_CYCLE_1) | instskip(NEXT) | instid1(SALU_CYCLE_1)
	s_xor_b64 s[16:17], s[10:11], s[8:9]
	s_cvt_f32_u32 s10, s16
	s_cvt_f32_u32 s11, s17
	s_sub_nc_u64 s[20:21], 0, s[16:17]
	s_delay_alu instid0(SALU_CYCLE_2) | instskip(NEXT) | instid1(SALU_CYCLE_3)
	s_fmamk_f32 s10, s11, 0x4f800000, s10
	v_s_rcp_f32 s10, s10
	s_delay_alu instid0(TRANS32_DEP_1) | instskip(NEXT) | instid1(SALU_CYCLE_3)
	s_mul_f32 s10, s10, 0x5f7ffffc
	s_mul_f32 s11, s10, 0x2f800000
	s_delay_alu instid0(SALU_CYCLE_3) | instskip(NEXT) | instid1(SALU_CYCLE_3)
	s_trunc_f32 s11, s11
	s_fmamk_f32 s10, s11, 0xcf800000, s10
	s_cvt_u32_f32 s19, s11
	s_mov_b32 s11, 0
	s_delay_alu instid0(SALU_CYCLE_1) | instskip(NEXT) | instid1(SALU_CYCLE_3)
	s_cvt_u32_f32 s18, s10
	s_mul_u64 s[22:23], s[20:21], s[18:19]
	s_delay_alu instid0(SALU_CYCLE_1)
	s_mul_hi_u32 s25, s18, s23
	s_mul_i32 s24, s18, s23
	s_mul_hi_u32 s10, s18, s22
	s_mul_i32 s26, s19, s22
	s_add_nc_u64 s[24:25], s[10:11], s[24:25]
	s_mul_hi_u32 s15, s19, s22
	s_mul_hi_u32 s27, s19, s23
	s_add_co_u32 s10, s24, s26
	s_add_co_ci_u32 s10, s25, s15
	s_mul_i32 s22, s19, s23
	s_add_co_ci_u32 s23, s27, 0
	s_delay_alu instid0(SALU_CYCLE_1) | instskip(NEXT) | instid1(SALU_CYCLE_1)
	s_add_nc_u64 s[22:23], s[10:11], s[22:23]
	s_add_co_u32 s18, s18, s22
	s_cselect_b32 s10, -1, 0
	s_delay_alu instid0(SALU_CYCLE_1) | instskip(SKIP_1) | instid1(SALU_CYCLE_1)
	s_cmp_lg_u32 s10, 0
	s_add_co_ci_u32 s19, s19, s23
	s_mul_u64 s[20:21], s[20:21], s[18:19]
	s_delay_alu instid0(SALU_CYCLE_1)
	s_mul_hi_u32 s23, s18, s21
	s_mul_i32 s22, s18, s21
	s_mul_hi_u32 s10, s18, s20
	s_mul_i32 s24, s19, s20
	s_add_nc_u64 s[22:23], s[10:11], s[22:23]
	s_mul_hi_u32 s15, s19, s20
	s_mul_hi_u32 s25, s19, s21
	s_add_co_u32 s10, s22, s24
	s_add_co_ci_u32 s10, s23, s15
	s_mul_i32 s20, s19, s21
	s_add_co_ci_u32 s21, s25, 0
	s_add_nc_u64 s[22:23], s[2:3], 0
	s_add_nc_u64 s[20:21], s[10:11], s[20:21]
	s_delay_alu instid0(SALU_CYCLE_1) | instskip(SKIP_1) | instid1(SALU_CYCLE_1)
	s_add_co_u32 s15, s18, s20
	s_cselect_b32 s10, -1, 0
	s_cmp_lg_u32 s10, 0
	s_add_co_ci_u32 s24, s19, s21
	s_xor_b64 s[18:19], s[22:23], 0
	s_delay_alu instid0(SALU_CYCLE_1)
	s_mul_hi_u32 s21, s18, s24
	s_mul_i32 s20, s18, s24
	s_mul_hi_u32 s10, s18, s15
	s_mul_hi_u32 s25, s19, s15
	s_mul_i32 s15, s19, s15
	s_add_nc_u64 s[20:21], s[10:11], s[20:21]
	s_mul_hi_u32 s23, s19, s24
	s_add_co_u32 s10, s20, s15
	s_add_co_ci_u32 s10, s21, s25
	s_mul_i32 s22, s19, s24
	s_add_co_ci_u32 s23, s23, 0
	s_delay_alu instid0(SALU_CYCLE_1) | instskip(NEXT) | instid1(SALU_CYCLE_1)
	s_add_nc_u64 s[20:21], s[10:11], s[22:23]
	s_and_b64 s[22:23], s[20:21], 0xffffffff00000000
	s_delay_alu instid0(SALU_CYCLE_1) | instskip(NEXT) | instid1(SALU_CYCLE_1)
	s_or_b32 s22, s22, s20
	s_mul_u64 s[20:21], s[16:17], s[22:23]
	s_delay_alu instid0(SALU_CYCLE_1)
	s_sub_co_u32 s10, s18, s20
	s_cselect_b32 s15, -1, 0
	s_sub_co_i32 s18, s19, s21
	s_cmp_lg_u32 s15, 0
	s_sub_co_ci_u32 s18, s18, s17
	s_sub_co_u32 s20, s10, s16
	s_cselect_b32 s24, -1, 0
	s_delay_alu instid0(SALU_CYCLE_1) | instskip(SKIP_2) | instid1(SALU_CYCLE_1)
	s_cmp_lg_u32 s24, 0
	s_add_nc_u64 s[24:25], s[22:23], 1
	s_sub_co_ci_u32 s18, s18, 0
	s_cmp_ge_u32 s18, s17
	s_cselect_b32 s26, -1, 0
	s_cmp_ge_u32 s20, s16
	s_cselect_b32 s20, -1, 0
	s_cmp_eq_u32 s18, s17
	s_cselect_b32 s18, s20, s26
	s_add_nc_u64 s[26:27], s[22:23], 2
	s_cmp_lg_u32 s18, 0
	s_cselect_b32 s18, s26, s24
	s_cselect_b32 s20, s27, s25
	s_cmp_lg_u32 s15, 0
	s_sub_co_ci_u32 s15, s19, s21
	s_delay_alu instid0(SALU_CYCLE_1)
	s_cmp_ge_u32 s15, s17
	s_cselect_b32 s19, -1, 0
	s_cmp_ge_u32 s10, s16
	s_cselect_b32 s10, -1, 0
	s_cmp_eq_u32 s15, s17
	s_cselect_b32 s10, s10, s19
	s_delay_alu instid0(SALU_CYCLE_1) | instskip(SKIP_3) | instid1(SALU_CYCLE_1)
	s_cmp_lg_u32 s10, 0
	s_cselect_b32 s17, s20, s23
	s_cselect_b32 s16, s18, s22
	s_xor_b64 s[8:9], 0, s[8:9]
	s_xor_b64 s[16:17], s[16:17], s[8:9]
	s_delay_alu instid0(SALU_CYCLE_1)
	s_sub_nc_u64 s[22:23], s[16:17], s[8:9]
	s_clause 0x1
	s_load_b64 s[8:9], s[0:1], 0x58
	s_load_b64 s[16:17], s[0:1], 0x28
	s_cbranch_execnz .LBB121_5
.LBB121_4:
	v_cvt_f32_u32_e32 v1, s4
	s_sub_co_i32 s11, 0, s4
	s_mov_b32 s23, 0
	s_delay_alu instid0(VALU_DEP_1) | instskip(SKIP_1) | instid1(TRANS32_DEP_1)
	v_rcp_iflag_f32_e32 v1, v1
	v_nop
	v_mul_f32_e32 v1, 0x4f7ffffe, v1
	s_delay_alu instid0(VALU_DEP_1) | instskip(NEXT) | instid1(VALU_DEP_1)
	v_cvt_u32_f32_e32 v1, v1
	v_readfirstlane_b32 s10, v1
	s_mul_i32 s11, s11, s10
	s_delay_alu instid0(SALU_CYCLE_1) | instskip(NEXT) | instid1(SALU_CYCLE_1)
	s_mul_hi_u32 s11, s10, s11
	s_add_co_i32 s10, s10, s11
	s_delay_alu instid0(SALU_CYCLE_1) | instskip(NEXT) | instid1(SALU_CYCLE_1)
	s_mul_hi_u32 s10, s2, s10
	s_mul_i32 s11, s10, s4
	s_add_co_i32 s15, s10, 1
	s_sub_co_i32 s11, s2, s11
	s_delay_alu instid0(SALU_CYCLE_1)
	s_sub_co_i32 s18, s11, s4
	s_cmp_ge_u32 s11, s4
	s_cselect_b32 s10, s15, s10
	s_cselect_b32 s11, s18, s11
	s_add_co_i32 s15, s10, 1
	s_cmp_ge_u32 s11, s4
	s_cselect_b32 s22, s15, s10
.LBB121_5:
	s_delay_alu instid0(SALU_CYCLE_1)
	s_mul_u64 s[4:5], s[22:23], s[4:5]
	s_load_b32 s15, s[0:1], 0x0
	s_sub_nc_u64 s[2:3], s[2:3], s[4:5]
	v_mov_b32_e32 v1, 0
	s_lshl_b64 s[2:3], s[2:3], 3
	s_wait_kmcnt 0x0
	s_add_nc_u64 s[2:3], s[8:9], s[2:3]
	s_load_b64 s[20:21], s[2:3], 0x0
	s_load_b128 s[8:11], s[0:1], 0x40
	s_wait_kmcnt 0x0
	s_lshl_b64 s[2:3], s[20:21], 3
	s_delay_alu instid0(SALU_CYCLE_1)
	s_add_nc_u64 s[2:3], s[16:17], s[2:3]
	s_load_b128 s[16:19], s[2:3], 0x0
	s_wait_xcnt 0x0
	s_lshl_b64 s[2:3], s[22:23], 9
	s_mul_u64 s[22:23], s[20:21], s[10:11]
	v_dual_mov_b32 v11, s3 :: v_dual_bitop2_b32 v10, s2, v0 bitop3:0x54
	s_cmp_lg_u32 s15, 0x71
	s_delay_alu instid0(VALU_DEP_1)
	v_add_nc_u64_e32 v[12:13], s[22:23], v[10:11]
	v_cmp_gt_i64_e64 s2, s[6:7], v[10:11]
	s_cbranch_scc0 .LBB121_9
; %bb.6:
	v_mov_b64_e32 v[4:5], 0
	v_mov_b64_e32 v[2:3], 0
	s_and_saveexec_b32 s3, s2
	s_cbranch_execz .LBB121_8
; %bb.7:
	v_lshl_add_u64 v[2:3], v[12:13], 4, s[8:9]
	global_load_b128 v[14:17], v[2:3], off
	s_wait_loadcnt_dscnt 0x0
	v_mul_f64_e64 v[2:3], v[16:17], -v[8:9]
	v_mul_f64_e32 v[4:5], v[6:7], v[16:17]
	s_delay_alu instid0(VALU_DEP_2) | instskip(NEXT) | instid1(VALU_DEP_2)
	v_fmac_f64_e32 v[2:3], v[6:7], v[14:15]
	v_fmac_f64_e32 v[4:5], v[8:9], v[14:15]
.LBB121_8:
	s_or_b32 exec_lo, exec_lo, s3
	s_cbranch_execz .LBB121_10
	s_branch .LBB121_13
.LBB121_9:
                                        ; implicit-def: $vgpr4_vgpr5
.LBB121_10:
	v_mov_b64_e32 v[4:5], 0
	v_mov_b64_e32 v[2:3], 0
	s_and_saveexec_b32 s3, s2
	s_cbranch_execz .LBB121_12
; %bb.11:
	v_lshl_add_u64 v[2:3], v[12:13], 4, s[8:9]
	global_load_b128 v[12:15], v[2:3], off
	s_wait_loadcnt_dscnt 0x0
	v_mul_f64_e32 v[2:3], v[8:9], v[14:15]
	v_mul_f64_e64 v[4:5], v[6:7], -v[14:15]
	s_delay_alu instid0(VALU_DEP_2) | instskip(NEXT) | instid1(VALU_DEP_2)
	v_fmac_f64_e32 v[2:3], v[6:7], v[12:13]
	v_fmac_f64_e32 v[4:5], v[8:9], v[12:13]
.LBB121_12:
	s_or_b32 exec_lo, exec_lo, s3
.LBB121_13:
	s_load_b64 s[6:7], s[0:1], 0x50
	s_wait_kmcnt 0x0
	v_cmp_ge_i64_e64 s3, s[16:17], s[18:19]
	v_lshl_add_u64 v[10:11], v[10:11], 4, s[8:9]
	s_and_b32 vcc_lo, exec_lo, s3
	v_cmp_eq_u32_e64 s3, 0, v0
	s_cbranch_vccnz .LBB121_53
; %bb.14:
	s_clause 0x1
	s_load_b128 s[28:31], s[0:1], 0x30
	s_load_b64 s[8:9], s[0:1], 0x60
	v_dual_mov_b32 v13, 0 :: v_dual_lshlrev_b32 v12, 3, v0
	v_lshlrev_b32_e32 v14, 4, v0
	v_mov_b64_e32 v[20:21], 1.0
	v_mov_b64_e32 v[22:23], 0
	s_mov_b32 s25, 0
	v_mov_b32_e32 v15, v13
	s_mov_b32 s24, s12
	s_wait_xcnt 0x0
	s_lshl_b64 s[0:1], s[4:5], 2
	v_or_b32_e32 v32, 0x2000, v12
	s_cmp_eq_u32 s14, 0
	s_sub_nc_u64 s[16:17], s[16:17], s[24:25]
	s_add_nc_u64 s[26:27], s[6:7], s[0:1]
	s_cselect_b32 s12, -1, 0
	s_sub_nc_u64 s[18:19], s[18:19], s[24:25]
	s_wait_kmcnt 0x0
	v_add_nc_u64_e32 v[16:17], s[28:29], v[12:13]
	v_add_nc_u64_e32 v[18:19], s[30:31], v[14:15]
	s_add_nc_u64 s[28:29], s[20:21], s[24:25]
	s_mov_b64 s[30:31], s[16:17]
	s_delay_alu instid0(SALU_CYCLE_1) | instskip(NEXT) | instid1(SALU_CYCLE_1)
	s_sub_co_i32 s0, s30, s16
	s_and_b32 s0, s0, 0x1ff
	s_delay_alu instid0(SALU_CYCLE_1)
	s_cmp_lg_u32 s0, 0
	s_cbranch_scc1 .LBB121_18
.LBB121_15:
	s_wait_loadcnt_dscnt 0x0
	v_mov_b64_e32 v[6:7], -1.0
	v_mov_b64_e32 v[8:9], 0
	v_mov_b64_e32 v[24:25], -1
	s_sub_nc_u64 s[34:35], s[18:19], s[30:31]
	s_mov_b32 s1, exec_lo
	v_cmpx_gt_i64_e64 s[34:35], v[0:1]
	s_cbranch_execz .LBB121_17
; %bb.16:
	v_lshl_add_u64 v[6:7], s[30:31], 3, v[16:17]
	global_load_b64 v[24:25], v[6:7], off
	s_wait_xcnt 0x0
	v_lshl_add_u64 v[6:7], s[30:31], 4, v[18:19]
	global_load_b128 v[6:9], v[6:7], off
	s_wait_loadcnt 0x1
	v_sub_nc_u64_e64 v[24:25], v[24:25], s[24:25]
.LBB121_17:
	s_wait_xcnt 0x0
	s_or_b32 exec_lo, exec_lo, s1
	ds_store_b64 v32, v[24:25]
	s_wait_loadcnt 0x0
	ds_store_b128 v14, v[6:9]
.LBB121_18:                             ; =>This Loop Header: Depth=1
                                        ;     Child Loop BB121_43 Depth 2
	s_lshl_b32 s1, s0, 4
	s_wait_storecnt 0x0
	s_wait_loadcnt_dscnt 0x0
	v_mov_b32_e32 v6, s1
	s_barrier_signal -1
	s_barrier_wait -1
	s_lshl_b32 s1, s0, 3
	ds_load_b128 v[24:27], v6
	v_mov_b32_e32 v6, s1
	ds_load_b64 v[6:7], v6 offset:8192
	s_wait_dscnt 0x1
	v_cmp_eq_f64_e32 vcc_lo, 0, v[24:25]
	v_cmp_eq_f64_e64 s0, 0, v[26:27]
	s_wait_dscnt 0x0
	v_readfirstlane_b32 s34, v6
	v_readfirstlane_b32 s35, v7
	s_and_b32 s1, vcc_lo, s0
	s_cmp_eq_u64 s[34:35], s[20:21]
	s_cselect_b32 s17, -1, 0
	s_cmp_lg_u64 s[34:35], s[20:21]
	s_cselect_b32 s0, -1, 0
	s_and_b32 s1, s1, s17
	s_delay_alu instid0(SALU_CYCLE_1) | instskip(NEXT) | instid1(SALU_CYCLE_1)
	s_and_b32 s1, s12, s1
	v_cndmask_b32_e64 v7, v27, 0, s1
	v_cndmask_b32_e64 v6, v26, 0, s1
	;; [unrolled: 1-line block ×4, first 2 shown]
	s_and_b32 s15, s3, s1
	s_delay_alu instid0(SALU_CYCLE_1)
	s_and_saveexec_b32 s1, s15
	s_cbranch_execz .LBB121_22
; %bb.19:                               ;   in Loop: Header=BB121_18 Depth=1
	v_mbcnt_lo_u32_b32 v6, exec_lo, 0
	s_mov_b32 s15, exec_lo
	s_delay_alu instid0(VALU_DEP_1)
	v_cmpx_eq_u32_e32 0, v6
	s_cbranch_execz .LBB121_21
; %bb.20:                               ;   in Loop: Header=BB121_18 Depth=1
	v_mov_b64_e32 v[6:7], s[28:29]
	global_atomic_min_u64 v13, v[6:7], s[8:9] scope:SCOPE_DEV
.LBB121_21:                             ;   in Loop: Header=BB121_18 Depth=1
	s_wait_xcnt 0x0
	s_or_b32 exec_lo, exec_lo, s15
	v_mov_b64_e32 v[8:9], 1.0
	v_mov_b64_e32 v[6:7], 0
.LBB121_22:                             ;   in Loop: Header=BB121_18 Depth=1
	s_or_b32 exec_lo, exec_lo, s1
	s_mov_b32 s33, -1
	s_mov_b32 s1, 0
	s_cmp_lt_i32 s13, 1
	s_mov_b32 s15, 0
                                        ; implicit-def: $vgpr24_vgpr25
                                        ; implicit-def: $vgpr26_vgpr27
	s_cbranch_scc0 .LBB121_29
; %bb.23:                               ;   in Loop: Header=BB121_18 Depth=1
	s_and_b32 vcc_lo, exec_lo, s33
	s_mov_b32 s17, 4
	s_cbranch_vccnz .LBB121_36
.LBB121_24:                             ;   in Loop: Header=BB121_18 Depth=1
	v_mov_b64_e32 v[30:31], v[4:5]
	v_mov_b64_e32 v[28:29], v[2:3]
	s_and_b32 vcc_lo, exec_lo, s15
	s_cbranch_vccnz .LBB121_41
.LBB121_25:                             ;   in Loop: Header=BB121_18 Depth=1
	s_and_b32 vcc_lo, exec_lo, s1
	s_cbranch_vccnz .LBB121_47
.LBB121_26:                             ;   in Loop: Header=BB121_18 Depth=1
	s_mov_b32 s0, -1
	s_cmp_gt_i32 s17, 3
	s_mov_b32 s1, -1
	s_cbranch_scc0 .LBB121_50
.LBB121_27:                             ;   in Loop: Header=BB121_18 Depth=1
	s_and_not1_b32 vcc_lo, exec_lo, s1
	s_cbranch_vccz .LBB121_51
.LBB121_28:                             ;   in Loop: Header=BB121_18 Depth=1
	s_delay_alu instid0(VALU_DEP_1) | instskip(NEXT) | instid1(VALU_DEP_2)
	v_mov_b64_e32 v[4:5], v[30:31]
	v_mov_b64_e32 v[2:3], v[28:29]
	s_and_not1_b32 vcc_lo, exec_lo, s0
	s_cbranch_vccnz .LBB121_52
	s_branch .LBB121_54
.LBB121_29:                             ;   in Loop: Header=BB121_18 Depth=1
	s_cmp_eq_u32 s13, 1
	s_mov_b32 s15, -1
                                        ; implicit-def: $vgpr24_vgpr25
                                        ; implicit-def: $vgpr26_vgpr27
	s_cbranch_scc0 .LBB121_35
; %bb.30:                               ;   in Loop: Header=BB121_18 Depth=1
	v_cmp_ge_i64_e64 s15, s[34:35], s[20:21]
	v_mov_b64_e32 v[24:25], v[22:23]
	v_mov_b64_e32 v[26:27], v[20:21]
	s_and_b32 vcc_lo, exec_lo, s15
	s_mov_b32 s15, 0
	s_cbranch_vccz .LBB121_35
; %bb.31:                               ;   in Loop: Header=BB121_18 Depth=1
	s_and_b32 vcc_lo, exec_lo, s17
	s_mov_b32 s15, -1
                                        ; implicit-def: $vgpr24_vgpr25
                                        ; implicit-def: $vgpr26_vgpr27
	s_cbranch_vccz .LBB121_35
; %bb.32:                               ;   in Loop: Header=BB121_18 Depth=1
	v_mov_b64_e32 v[24:25], v[22:23]
	v_mov_b64_e32 v[26:27], v[20:21]
	s_and_not1_b32 vcc_lo, exec_lo, s12
	s_cbranch_vccnz .LBB121_34
; %bb.33:                               ;   in Loop: Header=BB121_18 Depth=1
	v_mul_f64_e32 v[24:25], v[6:7], v[6:7]
	s_delay_alu instid0(VALU_DEP_1) | instskip(NEXT) | instid1(VALU_DEP_1)
	v_fmac_f64_e32 v[24:25], v[8:9], v[8:9]
	v_div_scale_f64 v[26:27], null, v[24:25], v[24:25], 1.0
	v_div_scale_f64 v[34:35], vcc_lo, 1.0, v[24:25], 1.0
	s_delay_alu instid0(VALU_DEP_2) | instskip(SKIP_1) | instid1(TRANS32_DEP_1)
	v_rcp_f64_e32 v[28:29], v[26:27]
	v_nop
	v_fma_f64 v[30:31], -v[26:27], v[28:29], 1.0
	s_delay_alu instid0(VALU_DEP_1) | instskip(NEXT) | instid1(VALU_DEP_1)
	v_fmac_f64_e32 v[28:29], v[28:29], v[30:31]
	v_fma_f64 v[30:31], -v[26:27], v[28:29], 1.0
	s_delay_alu instid0(VALU_DEP_1) | instskip(NEXT) | instid1(VALU_DEP_1)
	v_fmac_f64_e32 v[28:29], v[28:29], v[30:31]
	v_mul_f64_e32 v[30:31], v[34:35], v[28:29]
	s_delay_alu instid0(VALU_DEP_1) | instskip(NEXT) | instid1(VALU_DEP_1)
	v_fma_f64 v[26:27], -v[26:27], v[30:31], v[34:35]
	v_div_fmas_f64 v[26:27], v[26:27], v[28:29], v[30:31]
	v_fma_f64 v[28:29], 0, v[6:7], v[8:9]
	v_fma_f64 v[30:31], v[8:9], 0, -v[6:7]
	s_delay_alu instid0(VALU_DEP_3) | instskip(NEXT) | instid1(VALU_DEP_1)
	v_div_fixup_f64 v[24:25], v[26:27], v[24:25], 1.0
	v_mul_f64_e32 v[26:27], v[28:29], v[24:25]
	s_delay_alu instid0(VALU_DEP_3)
	v_mul_f64_e32 v[24:25], v[30:31], v[24:25]
.LBB121_34:                             ;   in Loop: Header=BB121_18 Depth=1
	s_mov_b32 s15, 0
.LBB121_35:                             ;   in Loop: Header=BB121_18 Depth=1
	s_mov_b32 s17, 4
	s_branch .LBB121_24
.LBB121_36:                             ;   in Loop: Header=BB121_18 Depth=1
	s_cmp_eq_u32 s13, 0
	s_cbranch_scc1 .LBB121_38
; %bb.37:                               ;   in Loop: Header=BB121_18 Depth=1
	s_mov_b32 s15, -1
	s_branch .LBB121_40
.LBB121_38:                             ;   in Loop: Header=BB121_18 Depth=1
	v_cmp_le_i64_e64 s15, s[34:35], s[20:21]
	s_and_b32 vcc_lo, exec_lo, s15
	s_mov_b32 s15, 0
	s_cbranch_vccz .LBB121_40
; %bb.39:                               ;   in Loop: Header=BB121_18 Depth=1
	s_mov_b32 s1, -1
	s_mov_b32 s15, s0
.LBB121_40:                             ;   in Loop: Header=BB121_18 Depth=1
	v_mov_b64_e32 v[24:25], v[22:23]
	v_mov_b64_e32 v[26:27], v[20:21]
	s_mov_b32 s17, 2
	v_mov_b64_e32 v[30:31], v[4:5]
	v_mov_b64_e32 v[28:29], v[2:3]
	s_and_b32 vcc_lo, exec_lo, s15
	s_cbranch_vccz .LBB121_25
.LBB121_41:                             ;   in Loop: Header=BB121_18 Depth=1
	s_and_saveexec_b32 s15, s3
	s_cbranch_execz .LBB121_44
; %bb.42:                               ;   in Loop: Header=BB121_18 Depth=1
	s_lshl_b64 s[0:1], s[34:35], 2
	s_delay_alu instid0(SALU_CYCLE_1)
	s_add_nc_u64 s[0:1], s[26:27], s[0:1]
	global_load_b32 v12, v13, s[0:1] scope:SCOPE_DEV
	s_wait_loadcnt 0x0
	v_cmp_ne_u32_e32 vcc_lo, 0, v12
	s_cbranch_vccnz .LBB121_44
.LBB121_43:                             ;   Parent Loop BB121_18 Depth=1
                                        ; =>  This Inner Loop Header: Depth=2
	global_load_b32 v12, v13, s[0:1] scope:SCOPE_DEV
	s_wait_loadcnt 0x0
	v_cmp_eq_u32_e32 vcc_lo, 0, v12
	s_cbranch_vccnz .LBB121_43
.LBB121_44:                             ;   in Loop: Header=BB121_18 Depth=1
	s_wait_xcnt 0x0
	s_or_b32 exec_lo, exec_lo, s15
	v_mov_b64_e32 v[30:31], 0
	v_mov_b64_e32 v[28:29], 0
	s_wait_storecnt 0x0
	s_barrier_signal -1
	s_barrier_wait -1
	global_inv scope:SCOPE_DEV
	s_and_saveexec_b32 s0, s2
	s_cbranch_execz .LBB121_46
; %bb.45:                               ;   in Loop: Header=BB121_18 Depth=1
	s_mul_u64 s[34:35], s[34:35], s[10:11]
	s_delay_alu instid0(SALU_CYCLE_1) | instskip(SKIP_4) | instid1(VALU_DEP_2)
	v_lshl_add_u64 v[24:25], s[34:35], 4, v[10:11]
	global_load_b128 v[24:27], v[24:25], off
	s_wait_loadcnt 0x0
	v_fma_f64 v[28:29], -v[8:9], v[24:25], v[2:3]
	v_fma_f64 v[24:25], -v[6:7], v[24:25], v[4:5]
	v_fmac_f64_e32 v[28:29], v[6:7], v[26:27]
	s_delay_alu instid0(VALU_DEP_2)
	v_fma_f64 v[30:31], -v[8:9], v[26:27], v[24:25]
.LBB121_46:                             ;   in Loop: Header=BB121_18 Depth=1
	s_or_b32 exec_lo, exec_lo, s0
	v_mov_b64_e32 v[24:25], v[22:23]
	v_mov_b64_e32 v[26:27], v[20:21]
	s_mov_b32 s17, 0
	s_branch .LBB121_26
.LBB121_47:                             ;   in Loop: Header=BB121_18 Depth=1
	s_and_not1_b32 vcc_lo, exec_lo, s12
	s_cbranch_vccnz .LBB121_49
; %bb.48:                               ;   in Loop: Header=BB121_18 Depth=1
	v_mul_f64_e32 v[20:21], v[6:7], v[6:7]
	s_delay_alu instid0(VALU_DEP_1) | instskip(NEXT) | instid1(VALU_DEP_1)
	v_fmac_f64_e32 v[20:21], v[8:9], v[8:9]
	v_div_scale_f64 v[22:23], null, v[20:21], v[20:21], 1.0
	v_div_scale_f64 v[28:29], vcc_lo, 1.0, v[20:21], 1.0
	s_delay_alu instid0(VALU_DEP_2) | instskip(SKIP_1) | instid1(TRANS32_DEP_1)
	v_rcp_f64_e32 v[24:25], v[22:23]
	v_nop
	v_fma_f64 v[26:27], -v[22:23], v[24:25], 1.0
	s_delay_alu instid0(VALU_DEP_1) | instskip(NEXT) | instid1(VALU_DEP_1)
	v_fmac_f64_e32 v[24:25], v[24:25], v[26:27]
	v_fma_f64 v[26:27], -v[22:23], v[24:25], 1.0
	s_delay_alu instid0(VALU_DEP_1) | instskip(NEXT) | instid1(VALU_DEP_1)
	v_fmac_f64_e32 v[24:25], v[24:25], v[26:27]
	v_mul_f64_e32 v[26:27], v[28:29], v[24:25]
	s_delay_alu instid0(VALU_DEP_1) | instskip(NEXT) | instid1(VALU_DEP_1)
	v_fma_f64 v[22:23], -v[22:23], v[26:27], v[28:29]
	v_div_fmas_f64 v[22:23], v[22:23], v[24:25], v[26:27]
	v_fma_f64 v[24:25], 0, v[6:7], v[8:9]
	v_fma_f64 v[6:7], v[8:9], 0, -v[6:7]
	s_delay_alu instid0(VALU_DEP_3) | instskip(NEXT) | instid1(VALU_DEP_1)
	v_div_fixup_f64 v[22:23], v[22:23], v[20:21], 1.0
	v_mul_f64_e32 v[20:21], v[24:25], v[22:23]
	s_delay_alu instid0(VALU_DEP_3)
	v_mul_f64_e32 v[22:23], v[6:7], v[22:23]
.LBB121_49:                             ;   in Loop: Header=BB121_18 Depth=1
	s_delay_alu instid0(VALU_DEP_2) | instskip(NEXT) | instid1(VALU_DEP_2)
	v_mov_b64_e32 v[26:27], v[20:21]
	v_mov_b64_e32 v[24:25], v[22:23]
	;; [unrolled: 1-line block ×4, first 2 shown]
	s_mov_b32 s17, 2
	s_mov_b32 s0, -1
	s_cmp_gt_i32 s17, 3
	s_mov_b32 s1, -1
	s_cbranch_scc1 .LBB121_27
.LBB121_50:                             ;   in Loop: Header=BB121_18 Depth=1
	s_cmp_eq_u32 s17, 0
	s_cselect_b32 s1, -1, 0
	s_delay_alu instid0(SALU_CYCLE_1)
	s_and_not1_b32 vcc_lo, exec_lo, s1
	s_cbranch_vccnz .LBB121_28
.LBB121_51:                             ;   in Loop: Header=BB121_18 Depth=1
	s_add_nc_u64 s[30:31], s[30:31], 1
	s_delay_alu instid0(SALU_CYCLE_1) | instskip(NEXT) | instid1(VALU_DEP_2)
	v_cmp_ge_i64_e64 s0, s[30:31], s[18:19]
	v_mov_b64_e32 v[4:5], v[30:31]
	s_delay_alu instid0(VALU_DEP_3)
	v_mov_b64_e32 v[2:3], v[28:29]
	s_and_not1_b32 vcc_lo, exec_lo, s0
	s_cbranch_vccz .LBB121_54
.LBB121_52:                             ;   in Loop: Header=BB121_18 Depth=1
	s_delay_alu instid0(VALU_DEP_4) | instskip(NEXT) | instid1(VALU_DEP_4)
	v_mov_b64_e32 v[22:23], v[24:25]
	v_mov_b64_e32 v[20:21], v[26:27]
	s_sub_co_i32 s0, s30, s16
	s_delay_alu instid0(SALU_CYCLE_1) | instskip(NEXT) | instid1(SALU_CYCLE_1)
	s_and_b32 s0, s0, 0x1ff
	s_cmp_lg_u32 s0, 0
	s_cbranch_scc1 .LBB121_18
	s_branch .LBB121_15
.LBB121_53:
	v_mov_b64_e32 v[26:27], 1.0
	v_mov_b64_e32 v[24:25], 0
.LBB121_54:
	s_cmp_lg_u32 s14, 0
	s_cbranch_scc0 .LBB121_61
; %bb.55:
	s_and_saveexec_b32 s0, s2
	s_cbranch_execz .LBB121_57
.LBB121_56:
	s_wait_loadcnt_dscnt 0x0
	v_lshl_add_u64 v[6:7], s[22:23], 4, v[10:11]
	global_store_b128 v[6:7], v[2:5], off
.LBB121_57:
	s_wait_xcnt 0x0
	s_or_b32 exec_lo, exec_lo, s0
	global_wb scope:SCOPE_DEV
	s_wait_storecnt 0x0
	s_wait_loadcnt_dscnt 0x0
	global_inv scope:SCOPE_DEV
	s_wait_loadcnt 0x0
	s_barrier_signal -1
	s_barrier_wait -1
	s_mov_b32 s0, exec_lo
	v_cmpx_eq_u32_e32 0, v0
	s_cbranch_execz .LBB121_59
; %bb.58:
	s_lshl_b64 s[0:1], s[20:21], 2
	v_dual_mov_b32 v0, 0 :: v_dual_mov_b32 v1, 1
	s_add_nc_u64 s[0:1], s[6:7], s[0:1]
	s_lshl_b64 s[2:3], s[4:5], 2
	s_delay_alu instid0(SALU_CYCLE_1)
	s_add_nc_u64 s[0:1], s[0:1], s[2:3]
	global_store_b32 v0, v1, s[0:1] scope:SCOPE_DEV
.LBB121_59:
	s_endpgm
.LBB121_60:
                                        ; implicit-def: $sgpr22_sgpr23
	s_clause 0x1
	s_load_b64 s[8:9], s[0:1], 0x58
	s_load_b64 s[16:17], s[0:1], 0x28
	s_branch .LBB121_4
.LBB121_61:
	s_wait_loadcnt_dscnt 0x0
	s_delay_alu instid0(VALU_DEP_1) | instskip(SKIP_1) | instid1(VALU_DEP_2)
	v_mul_f64_e64 v[6:7], v[24:25], -v[4:5]
	v_mul_f64_e32 v[8:9], v[24:25], v[2:3]
	v_fmac_f64_e32 v[6:7], v[2:3], v[26:27]
	s_delay_alu instid0(VALU_DEP_2) | instskip(NEXT) | instid1(VALU_DEP_2)
	v_fmac_f64_e32 v[8:9], v[4:5], v[26:27]
	v_mov_b64_e32 v[2:3], v[6:7]
	s_delay_alu instid0(VALU_DEP_2)
	v_mov_b64_e32 v[4:5], v[8:9]
	s_and_saveexec_b32 s0, s2
	s_cbranch_execnz .LBB121_56
	s_branch .LBB121_57
	.section	.rodata,"a",@progbits
	.p2align	6, 0x0
	.amdhsa_kernel _ZN9rocsparseL5csrsmILj512ELj64ELb0Ell21rocsparse_complex_numIdEEEv20rocsparse_operation_T3_S4_NS_24const_host_device_scalarIT4_EEPKT2_PKS4_PKS6_PS6_lPiSC_PS4_21rocsparse_index_base_20rocsparse_fill_mode_20rocsparse_diag_type_b
		.amdhsa_group_segment_fixed_size 12288
		.amdhsa_private_segment_fixed_size 16
		.amdhsa_kernarg_size 120
		.amdhsa_user_sgpr_count 2
		.amdhsa_user_sgpr_dispatch_ptr 0
		.amdhsa_user_sgpr_queue_ptr 0
		.amdhsa_user_sgpr_kernarg_segment_ptr 1
		.amdhsa_user_sgpr_dispatch_id 0
		.amdhsa_user_sgpr_kernarg_preload_length 0
		.amdhsa_user_sgpr_kernarg_preload_offset 0
		.amdhsa_user_sgpr_private_segment_size 0
		.amdhsa_wavefront_size32 1
		.amdhsa_uses_dynamic_stack 0
		.amdhsa_enable_private_segment 1
		.amdhsa_system_sgpr_workgroup_id_x 1
		.amdhsa_system_sgpr_workgroup_id_y 0
		.amdhsa_system_sgpr_workgroup_id_z 0
		.amdhsa_system_sgpr_workgroup_info 0
		.amdhsa_system_vgpr_workitem_id 0
		.amdhsa_next_free_vgpr 36
		.amdhsa_next_free_sgpr 36
		.amdhsa_named_barrier_count 0
		.amdhsa_reserve_vcc 1
		.amdhsa_float_round_mode_32 0
		.amdhsa_float_round_mode_16_64 0
		.amdhsa_float_denorm_mode_32 3
		.amdhsa_float_denorm_mode_16_64 3
		.amdhsa_fp16_overflow 0
		.amdhsa_memory_ordered 1
		.amdhsa_forward_progress 1
		.amdhsa_inst_pref_size 22
		.amdhsa_round_robin_scheduling 0
		.amdhsa_exception_fp_ieee_invalid_op 0
		.amdhsa_exception_fp_denorm_src 0
		.amdhsa_exception_fp_ieee_div_zero 0
		.amdhsa_exception_fp_ieee_overflow 0
		.amdhsa_exception_fp_ieee_underflow 0
		.amdhsa_exception_fp_ieee_inexact 0
		.amdhsa_exception_int_div_zero 0
	.end_amdhsa_kernel
	.section	.text._ZN9rocsparseL5csrsmILj512ELj64ELb0Ell21rocsparse_complex_numIdEEEv20rocsparse_operation_T3_S4_NS_24const_host_device_scalarIT4_EEPKT2_PKS4_PKS6_PS6_lPiSC_PS4_21rocsparse_index_base_20rocsparse_fill_mode_20rocsparse_diag_type_b,"axG",@progbits,_ZN9rocsparseL5csrsmILj512ELj64ELb0Ell21rocsparse_complex_numIdEEEv20rocsparse_operation_T3_S4_NS_24const_host_device_scalarIT4_EEPKT2_PKS4_PKS6_PS6_lPiSC_PS4_21rocsparse_index_base_20rocsparse_fill_mode_20rocsparse_diag_type_b,comdat
.Lfunc_end121:
	.size	_ZN9rocsparseL5csrsmILj512ELj64ELb0Ell21rocsparse_complex_numIdEEEv20rocsparse_operation_T3_S4_NS_24const_host_device_scalarIT4_EEPKT2_PKS4_PKS6_PS6_lPiSC_PS4_21rocsparse_index_base_20rocsparse_fill_mode_20rocsparse_diag_type_b, .Lfunc_end121-_ZN9rocsparseL5csrsmILj512ELj64ELb0Ell21rocsparse_complex_numIdEEEv20rocsparse_operation_T3_S4_NS_24const_host_device_scalarIT4_EEPKT2_PKS4_PKS6_PS6_lPiSC_PS4_21rocsparse_index_base_20rocsparse_fill_mode_20rocsparse_diag_type_b
                                        ; -- End function
	.set _ZN9rocsparseL5csrsmILj512ELj64ELb0Ell21rocsparse_complex_numIdEEEv20rocsparse_operation_T3_S4_NS_24const_host_device_scalarIT4_EEPKT2_PKS4_PKS6_PS6_lPiSC_PS4_21rocsparse_index_base_20rocsparse_fill_mode_20rocsparse_diag_type_b.num_vgpr, 36
	.set _ZN9rocsparseL5csrsmILj512ELj64ELb0Ell21rocsparse_complex_numIdEEEv20rocsparse_operation_T3_S4_NS_24const_host_device_scalarIT4_EEPKT2_PKS4_PKS6_PS6_lPiSC_PS4_21rocsparse_index_base_20rocsparse_fill_mode_20rocsparse_diag_type_b.num_agpr, 0
	.set _ZN9rocsparseL5csrsmILj512ELj64ELb0Ell21rocsparse_complex_numIdEEEv20rocsparse_operation_T3_S4_NS_24const_host_device_scalarIT4_EEPKT2_PKS4_PKS6_PS6_lPiSC_PS4_21rocsparse_index_base_20rocsparse_fill_mode_20rocsparse_diag_type_b.numbered_sgpr, 36
	.set _ZN9rocsparseL5csrsmILj512ELj64ELb0Ell21rocsparse_complex_numIdEEEv20rocsparse_operation_T3_S4_NS_24const_host_device_scalarIT4_EEPKT2_PKS4_PKS6_PS6_lPiSC_PS4_21rocsparse_index_base_20rocsparse_fill_mode_20rocsparse_diag_type_b.num_named_barrier, 0
	.set _ZN9rocsparseL5csrsmILj512ELj64ELb0Ell21rocsparse_complex_numIdEEEv20rocsparse_operation_T3_S4_NS_24const_host_device_scalarIT4_EEPKT2_PKS4_PKS6_PS6_lPiSC_PS4_21rocsparse_index_base_20rocsparse_fill_mode_20rocsparse_diag_type_b.private_seg_size, 16
	.set _ZN9rocsparseL5csrsmILj512ELj64ELb0Ell21rocsparse_complex_numIdEEEv20rocsparse_operation_T3_S4_NS_24const_host_device_scalarIT4_EEPKT2_PKS4_PKS6_PS6_lPiSC_PS4_21rocsparse_index_base_20rocsparse_fill_mode_20rocsparse_diag_type_b.uses_vcc, 1
	.set _ZN9rocsparseL5csrsmILj512ELj64ELb0Ell21rocsparse_complex_numIdEEEv20rocsparse_operation_T3_S4_NS_24const_host_device_scalarIT4_EEPKT2_PKS4_PKS6_PS6_lPiSC_PS4_21rocsparse_index_base_20rocsparse_fill_mode_20rocsparse_diag_type_b.uses_flat_scratch, 0
	.set _ZN9rocsparseL5csrsmILj512ELj64ELb0Ell21rocsparse_complex_numIdEEEv20rocsparse_operation_T3_S4_NS_24const_host_device_scalarIT4_EEPKT2_PKS4_PKS6_PS6_lPiSC_PS4_21rocsparse_index_base_20rocsparse_fill_mode_20rocsparse_diag_type_b.has_dyn_sized_stack, 0
	.set _ZN9rocsparseL5csrsmILj512ELj64ELb0Ell21rocsparse_complex_numIdEEEv20rocsparse_operation_T3_S4_NS_24const_host_device_scalarIT4_EEPKT2_PKS4_PKS6_PS6_lPiSC_PS4_21rocsparse_index_base_20rocsparse_fill_mode_20rocsparse_diag_type_b.has_recursion, 0
	.set _ZN9rocsparseL5csrsmILj512ELj64ELb0Ell21rocsparse_complex_numIdEEEv20rocsparse_operation_T3_S4_NS_24const_host_device_scalarIT4_EEPKT2_PKS4_PKS6_PS6_lPiSC_PS4_21rocsparse_index_base_20rocsparse_fill_mode_20rocsparse_diag_type_b.has_indirect_call, 0
	.section	.AMDGPU.csdata,"",@progbits
; Kernel info:
; codeLenInByte = 2736
; TotalNumSgprs: 38
; NumVgprs: 36
; ScratchSize: 16
; MemoryBound: 1
; FloatMode: 240
; IeeeMode: 1
; LDSByteSize: 12288 bytes/workgroup (compile time only)
; SGPRBlocks: 0
; VGPRBlocks: 2
; NumSGPRsForWavesPerEU: 38
; NumVGPRsForWavesPerEU: 36
; NamedBarCnt: 0
; Occupancy: 16
; WaveLimiterHint : 1
; COMPUTE_PGM_RSRC2:SCRATCH_EN: 1
; COMPUTE_PGM_RSRC2:USER_SGPR: 2
; COMPUTE_PGM_RSRC2:TRAP_HANDLER: 0
; COMPUTE_PGM_RSRC2:TGID_X_EN: 1
; COMPUTE_PGM_RSRC2:TGID_Y_EN: 0
; COMPUTE_PGM_RSRC2:TGID_Z_EN: 0
; COMPUTE_PGM_RSRC2:TIDIG_COMP_CNT: 0
	.section	.text._ZN9rocsparseL5csrsmILj1024ELj64ELb1Ell21rocsparse_complex_numIdEEEv20rocsparse_operation_T3_S4_NS_24const_host_device_scalarIT4_EEPKT2_PKS4_PKS6_PS6_lPiSC_PS4_21rocsparse_index_base_20rocsparse_fill_mode_20rocsparse_diag_type_b,"axG",@progbits,_ZN9rocsparseL5csrsmILj1024ELj64ELb1Ell21rocsparse_complex_numIdEEEv20rocsparse_operation_T3_S4_NS_24const_host_device_scalarIT4_EEPKT2_PKS4_PKS6_PS6_lPiSC_PS4_21rocsparse_index_base_20rocsparse_fill_mode_20rocsparse_diag_type_b,comdat
	.globl	_ZN9rocsparseL5csrsmILj1024ELj64ELb1Ell21rocsparse_complex_numIdEEEv20rocsparse_operation_T3_S4_NS_24const_host_device_scalarIT4_EEPKT2_PKS4_PKS6_PS6_lPiSC_PS4_21rocsparse_index_base_20rocsparse_fill_mode_20rocsparse_diag_type_b ; -- Begin function _ZN9rocsparseL5csrsmILj1024ELj64ELb1Ell21rocsparse_complex_numIdEEEv20rocsparse_operation_T3_S4_NS_24const_host_device_scalarIT4_EEPKT2_PKS4_PKS6_PS6_lPiSC_PS4_21rocsparse_index_base_20rocsparse_fill_mode_20rocsparse_diag_type_b
	.p2align	8
	.type	_ZN9rocsparseL5csrsmILj1024ELj64ELb1Ell21rocsparse_complex_numIdEEEv20rocsparse_operation_T3_S4_NS_24const_host_device_scalarIT4_EEPKT2_PKS4_PKS6_PS6_lPiSC_PS4_21rocsparse_index_base_20rocsparse_fill_mode_20rocsparse_diag_type_b,@function
_ZN9rocsparseL5csrsmILj1024ELj64ELb1Ell21rocsparse_complex_numIdEEEv20rocsparse_operation_T3_S4_NS_24const_host_device_scalarIT4_EEPKT2_PKS4_PKS6_PS6_lPiSC_PS4_21rocsparse_index_base_20rocsparse_fill_mode_20rocsparse_diag_type_b: ; @_ZN9rocsparseL5csrsmILj1024ELj64ELb1Ell21rocsparse_complex_numIdEEEv20rocsparse_operation_T3_S4_NS_24const_host_device_scalarIT4_EEPKT2_PKS4_PKS6_PS6_lPiSC_PS4_21rocsparse_index_base_20rocsparse_fill_mode_20rocsparse_diag_type_b
; %bb.0:
	s_clause 0x1
	s_load_b128 s[12:15], s[0:1], 0x68
	s_load_b256 s[4:11], s[0:1], 0x8
	v_mbcnt_lo_u32_b32 v1, -1, 0
	s_mov_b32 s3, 0
	s_delay_alu instid0(VALU_DEP_1) | instskip(NEXT) | instid1(VALU_DEP_1)
	v_dual_mov_b32 v2, 0 :: v_dual_lshlrev_b32 v3, 20, v1
	v_add_nc_u64_e32 v[2:3], src_flat_scratch_base_lo, v[2:3]
	s_wait_kmcnt 0x0
	s_bitcmp1_b32 s15, 0
	v_mov_b64_e32 v[4:5], s[8:9]
	s_cselect_b32 vcc_lo, -1, 0
	v_mov_b64_e32 v[8:9], s[10:11]
	s_delay_alu instid0(VALU_DEP_3)
	v_cndmask_b32_e32 v3, s9, v3, vcc_lo
	v_cndmask_b32_e32 v2, s8, v2, vcc_lo
	s_and_b32 vcc_lo, exec_lo, vcc_lo
	scratch_store_b64 off, v[4:5], off
	flat_load_b64 v[6:7], v[2:3]
	s_cbranch_vccnz .LBB122_2
; %bb.1:
	v_mov_b32_e32 v1, 0
	flat_load_b64 v[8:9], v1, s[8:9] offset:8
.LBB122_2:
	s_bfe_u32 s2, ttmp6, 0x4000c
	s_wait_xcnt 0x0
	s_and_b32 s8, ttmp6, 15
	s_add_co_i32 s2, s2, 1
	s_getreg_b32 s9, hwreg(HW_REG_IB_STS2, 6, 4)
	s_mul_i32 s2, ttmp9, s2
	s_delay_alu instid0(SALU_CYCLE_1) | instskip(SKIP_3) | instid1(SALU_CYCLE_1)
	s_add_co_i32 s8, s8, s2
	s_cmp_eq_u32 s9, 0
	s_cselect_b32 s2, ttmp9, s8
	s_and_b64 s[8:9], s[4:5], 0xffffffff00000000
	s_cmp_lg_u64 s[8:9], 0
	s_cbranch_scc0 .LBB122_63
; %bb.3:
	s_ashr_i32 s8, s5, 31
	s_delay_alu instid0(SALU_CYCLE_1) | instskip(NEXT) | instid1(SALU_CYCLE_1)
	s_mov_b32 s9, s8
	s_add_nc_u64 s[10:11], s[4:5], s[8:9]
	s_delay_alu instid0(SALU_CYCLE_1) | instskip(NEXT) | instid1(SALU_CYCLE_1)
	s_xor_b64 s[16:17], s[10:11], s[8:9]
	s_cvt_f32_u32 s10, s16
	s_cvt_f32_u32 s11, s17
	s_sub_nc_u64 s[20:21], 0, s[16:17]
	s_delay_alu instid0(SALU_CYCLE_2) | instskip(NEXT) | instid1(SALU_CYCLE_3)
	s_fmamk_f32 s10, s11, 0x4f800000, s10
	v_s_rcp_f32 s10, s10
	s_delay_alu instid0(TRANS32_DEP_1) | instskip(NEXT) | instid1(SALU_CYCLE_3)
	s_mul_f32 s10, s10, 0x5f7ffffc
	s_mul_f32 s11, s10, 0x2f800000
	s_delay_alu instid0(SALU_CYCLE_3) | instskip(NEXT) | instid1(SALU_CYCLE_3)
	s_trunc_f32 s11, s11
	s_fmamk_f32 s10, s11, 0xcf800000, s10
	s_cvt_u32_f32 s19, s11
	s_mov_b32 s11, 0
	s_delay_alu instid0(SALU_CYCLE_1) | instskip(NEXT) | instid1(SALU_CYCLE_3)
	s_cvt_u32_f32 s18, s10
	s_mul_u64 s[22:23], s[20:21], s[18:19]
	s_delay_alu instid0(SALU_CYCLE_1)
	s_mul_hi_u32 s25, s18, s23
	s_mul_i32 s24, s18, s23
	s_mul_hi_u32 s10, s18, s22
	s_mul_i32 s26, s19, s22
	s_add_nc_u64 s[24:25], s[10:11], s[24:25]
	s_mul_hi_u32 s15, s19, s22
	s_mul_hi_u32 s27, s19, s23
	s_add_co_u32 s10, s24, s26
	s_add_co_ci_u32 s10, s25, s15
	s_mul_i32 s22, s19, s23
	s_add_co_ci_u32 s23, s27, 0
	s_delay_alu instid0(SALU_CYCLE_1) | instskip(NEXT) | instid1(SALU_CYCLE_1)
	s_add_nc_u64 s[22:23], s[10:11], s[22:23]
	s_add_co_u32 s18, s18, s22
	s_cselect_b32 s10, -1, 0
	s_delay_alu instid0(SALU_CYCLE_1) | instskip(SKIP_1) | instid1(SALU_CYCLE_1)
	s_cmp_lg_u32 s10, 0
	s_add_co_ci_u32 s19, s19, s23
	s_mul_u64 s[20:21], s[20:21], s[18:19]
	s_delay_alu instid0(SALU_CYCLE_1)
	s_mul_hi_u32 s23, s18, s21
	s_mul_i32 s22, s18, s21
	s_mul_hi_u32 s10, s18, s20
	s_mul_i32 s24, s19, s20
	s_add_nc_u64 s[22:23], s[10:11], s[22:23]
	s_mul_hi_u32 s15, s19, s20
	s_mul_hi_u32 s25, s19, s21
	s_add_co_u32 s10, s22, s24
	s_add_co_ci_u32 s10, s23, s15
	s_mul_i32 s20, s19, s21
	s_add_co_ci_u32 s21, s25, 0
	s_add_nc_u64 s[22:23], s[2:3], 0
	s_add_nc_u64 s[20:21], s[10:11], s[20:21]
	s_delay_alu instid0(SALU_CYCLE_1) | instskip(SKIP_1) | instid1(SALU_CYCLE_1)
	s_add_co_u32 s15, s18, s20
	s_cselect_b32 s10, -1, 0
	s_cmp_lg_u32 s10, 0
	s_add_co_ci_u32 s24, s19, s21
	s_xor_b64 s[18:19], s[22:23], 0
	s_delay_alu instid0(SALU_CYCLE_1)
	s_mul_hi_u32 s21, s18, s24
	s_mul_i32 s20, s18, s24
	s_mul_hi_u32 s10, s18, s15
	s_mul_hi_u32 s25, s19, s15
	s_mul_i32 s15, s19, s15
	s_add_nc_u64 s[20:21], s[10:11], s[20:21]
	s_mul_hi_u32 s23, s19, s24
	s_add_co_u32 s10, s20, s15
	s_add_co_ci_u32 s10, s21, s25
	s_mul_i32 s22, s19, s24
	s_add_co_ci_u32 s23, s23, 0
	s_delay_alu instid0(SALU_CYCLE_1) | instskip(NEXT) | instid1(SALU_CYCLE_1)
	s_add_nc_u64 s[20:21], s[10:11], s[22:23]
	s_and_b64 s[22:23], s[20:21], 0xffffffff00000000
	s_delay_alu instid0(SALU_CYCLE_1) | instskip(NEXT) | instid1(SALU_CYCLE_1)
	s_or_b32 s22, s22, s20
	s_mul_u64 s[20:21], s[16:17], s[22:23]
	s_delay_alu instid0(SALU_CYCLE_1)
	s_sub_co_u32 s10, s18, s20
	s_cselect_b32 s15, -1, 0
	s_sub_co_i32 s18, s19, s21
	s_cmp_lg_u32 s15, 0
	s_sub_co_ci_u32 s18, s18, s17
	s_sub_co_u32 s20, s10, s16
	s_cselect_b32 s24, -1, 0
	s_delay_alu instid0(SALU_CYCLE_1) | instskip(SKIP_2) | instid1(SALU_CYCLE_1)
	s_cmp_lg_u32 s24, 0
	s_add_nc_u64 s[24:25], s[22:23], 1
	s_sub_co_ci_u32 s18, s18, 0
	s_cmp_ge_u32 s18, s17
	s_cselect_b32 s26, -1, 0
	s_cmp_ge_u32 s20, s16
	s_cselect_b32 s20, -1, 0
	s_cmp_eq_u32 s18, s17
	s_cselect_b32 s18, s20, s26
	s_add_nc_u64 s[26:27], s[22:23], 2
	s_cmp_lg_u32 s18, 0
	s_cselect_b32 s18, s26, s24
	s_cselect_b32 s20, s27, s25
	s_cmp_lg_u32 s15, 0
	s_sub_co_ci_u32 s15, s19, s21
	s_delay_alu instid0(SALU_CYCLE_1)
	s_cmp_ge_u32 s15, s17
	s_cselect_b32 s19, -1, 0
	s_cmp_ge_u32 s10, s16
	s_cselect_b32 s10, -1, 0
	s_cmp_eq_u32 s15, s17
	s_cselect_b32 s10, s10, s19
	s_delay_alu instid0(SALU_CYCLE_1) | instskip(SKIP_3) | instid1(SALU_CYCLE_1)
	s_cmp_lg_u32 s10, 0
	s_cselect_b32 s17, s20, s23
	s_cselect_b32 s16, s18, s22
	s_xor_b64 s[8:9], 0, s[8:9]
	s_xor_b64 s[16:17], s[16:17], s[8:9]
	s_delay_alu instid0(SALU_CYCLE_1)
	s_sub_nc_u64 s[18:19], s[16:17], s[8:9]
	s_clause 0x1
	s_load_b64 s[8:9], s[0:1], 0x58
	s_load_b64 s[16:17], s[0:1], 0x28
	s_cbranch_execnz .LBB122_5
.LBB122_4:
	v_cvt_f32_u32_e32 v1, s4
	s_sub_co_i32 s11, 0, s4
	s_mov_b32 s19, 0
	s_delay_alu instid0(VALU_DEP_1) | instskip(SKIP_1) | instid1(TRANS32_DEP_1)
	v_rcp_iflag_f32_e32 v1, v1
	v_nop
	v_mul_f32_e32 v1, 0x4f7ffffe, v1
	s_delay_alu instid0(VALU_DEP_1) | instskip(NEXT) | instid1(VALU_DEP_1)
	v_cvt_u32_f32_e32 v1, v1
	v_readfirstlane_b32 s10, v1
	s_mul_i32 s11, s11, s10
	s_delay_alu instid0(SALU_CYCLE_1) | instskip(NEXT) | instid1(SALU_CYCLE_1)
	s_mul_hi_u32 s11, s10, s11
	s_add_co_i32 s10, s10, s11
	s_delay_alu instid0(SALU_CYCLE_1) | instskip(NEXT) | instid1(SALU_CYCLE_1)
	s_mul_hi_u32 s10, s2, s10
	s_mul_i32 s11, s10, s4
	s_add_co_i32 s15, s10, 1
	s_sub_co_i32 s11, s2, s11
	s_delay_alu instid0(SALU_CYCLE_1)
	s_sub_co_i32 s18, s11, s4
	s_cmp_ge_u32 s11, s4
	s_cselect_b32 s10, s15, s10
	s_cselect_b32 s11, s18, s11
	s_add_co_i32 s15, s10, 1
	s_cmp_ge_u32 s11, s4
	s_cselect_b32 s18, s15, s10
.LBB122_5:
	s_delay_alu instid0(SALU_CYCLE_1)
	s_mul_u64 s[4:5], s[18:19], s[4:5]
	s_lshl_b64 s[18:19], s[18:19], 10
	s_sub_nc_u64 s[2:3], s[2:3], s[4:5]
	v_dual_mov_b32 v17, s19 :: v_dual_bitop2_b32 v16, s18, v0 bitop3:0x54
	s_lshl_b64 s[2:3], s[2:3], 3
	v_mov_b32_e32 v1, 0
	s_wait_kmcnt 0x0
	s_add_nc_u64 s[2:3], s[8:9], s[2:3]
	s_load_b64 s[20:21], s[2:3], 0x0
	s_clause 0x1
	s_load_b128 s[8:11], s[0:1], 0x40
	s_load_b32 s15, s[0:1], 0x0
	s_wait_kmcnt 0x0
	s_lshl_b64 s[2:3], s[20:21], 3
	v_mad_nc_u64_u32 v[10:11], s20, s10, v[16:17]
	s_add_nc_u64 s[2:3], s[16:17], s[2:3]
	s_mul_i32 s22, s20, s11
	s_load_b128 s[16:19], s[2:3], 0x0
	s_wait_xcnt 0x0
	s_mul_i32 s3, s21, s10
	v_cmp_gt_i64_e64 s2, s[6:7], v[16:17]
	s_cmp_lg_u32 s15, 0x71
	v_add3_u32 v11, s22, s3, v11
	s_cbranch_scc0 .LBB122_9
; %bb.6:
	v_mov_b64_e32 v[4:5], 0
	v_mov_b64_e32 v[2:3], 0
	s_and_saveexec_b32 s3, s2
	s_cbranch_execz .LBB122_8
; %bb.7:
	v_lshl_add_u64 v[2:3], v[10:11], 4, s[8:9]
	global_load_b128 v[12:15], v[2:3], off
	s_wait_loadcnt_dscnt 0x0
	v_mul_f64_e64 v[2:3], v[14:15], -v[8:9]
	v_mul_f64_e32 v[4:5], v[6:7], v[14:15]
	s_delay_alu instid0(VALU_DEP_2) | instskip(NEXT) | instid1(VALU_DEP_2)
	v_fmac_f64_e32 v[2:3], v[6:7], v[12:13]
	v_fmac_f64_e32 v[4:5], v[8:9], v[12:13]
.LBB122_8:
	s_or_b32 exec_lo, exec_lo, s3
	s_cbranch_execz .LBB122_10
	s_branch .LBB122_13
.LBB122_9:
                                        ; implicit-def: $vgpr4_vgpr5
.LBB122_10:
	v_mov_b64_e32 v[4:5], 0
	v_mov_b64_e32 v[2:3], 0
	s_and_saveexec_b32 s3, s2
	s_cbranch_execz .LBB122_12
; %bb.11:
	v_lshl_add_u64 v[2:3], v[10:11], 4, s[8:9]
	global_load_b128 v[12:15], v[2:3], off
	s_wait_loadcnt_dscnt 0x0
	v_mul_f64_e32 v[2:3], v[8:9], v[14:15]
	v_mul_f64_e64 v[4:5], v[6:7], -v[14:15]
	s_delay_alu instid0(VALU_DEP_2) | instskip(NEXT) | instid1(VALU_DEP_2)
	v_fmac_f64_e32 v[2:3], v[6:7], v[12:13]
	v_fmac_f64_e32 v[4:5], v[8:9], v[12:13]
.LBB122_12:
	s_or_b32 exec_lo, exec_lo, s3
.LBB122_13:
	s_load_b64 s[6:7], s[0:1], 0x50
	s_wait_kmcnt 0x0
	v_cmp_ge_i64_e64 s3, s[16:17], s[18:19]
	s_and_b32 vcc_lo, exec_lo, s3
	v_cmp_eq_u32_e64 s3, 0, v0
	s_cbranch_vccnz .LBB122_56
; %bb.14:
	s_clause 0x1
	s_load_b128 s[28:31], s[0:1], 0x30
	s_load_b64 s[22:23], s[0:1], 0x60
	v_dual_mov_b32 v13, 0 :: v_dual_lshlrev_b32 v12, 3, v0
	v_lshlrev_b32_e32 v14, 4, v0
	v_mov_b64_e32 v[22:23], 1.0
	v_mov_b64_e32 v[24:25], 0
	s_mov_b32 s25, 0
	v_mov_b32_e32 v15, v13
	s_mov_b32 s24, s12
	s_wait_xcnt 0x0
	s_lshl_b64 s[0:1], s[4:5], 2
	v_lshl_add_u64 v[16:17], v[16:17], 4, s[8:9]
	v_or_b32_e32 v34, 0x4000, v12
	s_cmp_eq_u32 s14, 0
	s_sub_nc_u64 s[16:17], s[16:17], s[24:25]
	s_add_nc_u64 s[26:27], s[6:7], s[0:1]
	s_cselect_b32 s12, -1, 0
	s_sub_nc_u64 s[18:19], s[18:19], s[24:25]
	s_wait_kmcnt 0x0
	v_add_nc_u64_e32 v[18:19], s[28:29], v[12:13]
	v_add_nc_u64_e32 v[20:21], s[30:31], v[14:15]
	s_add_nc_u64 s[28:29], s[20:21], s[24:25]
	s_mov_b64 s[30:31], s[16:17]
	s_delay_alu instid0(SALU_CYCLE_1) | instskip(NEXT) | instid1(SALU_CYCLE_1)
	s_sub_co_i32 s0, s30, s16
	s_and_b32 s0, s0, 0x3ff
	s_delay_alu instid0(SALU_CYCLE_1)
	s_cmp_lg_u32 s0, 0
	s_cbranch_scc1 .LBB122_18
.LBB122_15:
	s_wait_loadcnt_dscnt 0x0
	v_mov_b64_e32 v[6:7], -1.0
	v_mov_b64_e32 v[8:9], 0
	v_mov_b64_e32 v[26:27], -1
	s_sub_nc_u64 s[34:35], s[18:19], s[30:31]
	s_mov_b32 s1, exec_lo
	v_cmpx_gt_i64_e64 s[34:35], v[0:1]
	s_cbranch_execz .LBB122_17
; %bb.16:
	v_lshl_add_u64 v[6:7], s[30:31], 3, v[18:19]
	global_load_b64 v[26:27], v[6:7], off
	s_wait_xcnt 0x0
	v_lshl_add_u64 v[6:7], s[30:31], 4, v[20:21]
	global_load_b128 v[6:9], v[6:7], off
	s_wait_loadcnt 0x1
	v_sub_nc_u64_e64 v[26:27], v[26:27], s[24:25]
.LBB122_17:
	s_wait_xcnt 0x0
	s_or_b32 exec_lo, exec_lo, s1
	ds_store_b64 v34, v[26:27]
	s_wait_loadcnt 0x0
	ds_store_b128 v14, v[6:9]
.LBB122_18:                             ; =>This Loop Header: Depth=1
                                        ;     Child Loop BB122_54 Depth 2
                                        ;       Child Loop BB122_55 Depth 3
	s_lshl_b32 s1, s0, 4
	s_wait_storecnt 0x0
	s_wait_loadcnt_dscnt 0x0
	v_mov_b32_e32 v6, s1
	s_barrier_signal -1
	s_barrier_wait -1
	s_lshl_b32 s1, s0, 3
	ds_load_b128 v[26:29], v6
	v_mov_b32_e32 v6, s1
	ds_load_b64 v[6:7], v6 offset:16384
	s_wait_dscnt 0x1
	v_cmp_eq_f64_e32 vcc_lo, 0, v[26:27]
	v_cmp_eq_f64_e64 s0, 0, v[28:29]
	s_wait_dscnt 0x0
	v_readfirstlane_b32 s34, v6
	v_readfirstlane_b32 s35, v7
	s_and_b32 s1, vcc_lo, s0
	s_cmp_eq_u64 s[34:35], s[20:21]
	s_cselect_b32 s17, -1, 0
	s_cmp_lg_u64 s[34:35], s[20:21]
	s_cselect_b32 s0, -1, 0
	s_and_b32 s1, s1, s17
	s_delay_alu instid0(SALU_CYCLE_1) | instskip(NEXT) | instid1(SALU_CYCLE_1)
	s_and_b32 s1, s12, s1
	v_cndmask_b32_e64 v7, v29, 0, s1
	v_cndmask_b32_e64 v6, v28, 0, s1
	v_cndmask_b32_e64 v9, v27, 0x3ff00000, s1
	v_cndmask_b32_e64 v8, v26, 0, s1
	s_and_b32 s15, s3, s1
	s_delay_alu instid0(SALU_CYCLE_1)
	s_and_saveexec_b32 s1, s15
	s_cbranch_execz .LBB122_22
; %bb.19:                               ;   in Loop: Header=BB122_18 Depth=1
	v_mbcnt_lo_u32_b32 v6, exec_lo, 0
	s_mov_b32 s15, exec_lo
	s_delay_alu instid0(VALU_DEP_1)
	v_cmpx_eq_u32_e32 0, v6
	s_cbranch_execz .LBB122_21
; %bb.20:                               ;   in Loop: Header=BB122_18 Depth=1
	v_mov_b64_e32 v[6:7], s[28:29]
	global_atomic_min_u64 v13, v[6:7], s[22:23] scope:SCOPE_DEV
.LBB122_21:                             ;   in Loop: Header=BB122_18 Depth=1
	s_wait_xcnt 0x0
	s_or_b32 exec_lo, exec_lo, s15
	v_mov_b64_e32 v[8:9], 1.0
	v_mov_b64_e32 v[6:7], 0
.LBB122_22:                             ;   in Loop: Header=BB122_18 Depth=1
	s_or_b32 exec_lo, exec_lo, s1
	s_mov_b32 s33, -1
	s_mov_b32 s1, 0
	s_cmp_lt_i32 s13, 1
	s_mov_b32 s15, 0
                                        ; implicit-def: $vgpr26_vgpr27
                                        ; implicit-def: $vgpr28_vgpr29
	s_cbranch_scc0 .LBB122_29
; %bb.23:                               ;   in Loop: Header=BB122_18 Depth=1
	s_and_b32 vcc_lo, exec_lo, s33
	s_mov_b32 s17, 4
	s_cbranch_vccnz .LBB122_36
.LBB122_24:                             ;   in Loop: Header=BB122_18 Depth=1
	v_mov_b64_e32 v[32:33], v[4:5]
	v_mov_b64_e32 v[30:31], v[2:3]
	s_and_b32 vcc_lo, exec_lo, s15
	s_cbranch_vccnz .LBB122_41
.LBB122_25:                             ;   in Loop: Header=BB122_18 Depth=1
	s_and_b32 vcc_lo, exec_lo, s1
	s_cbranch_vccnz .LBB122_46
.LBB122_26:                             ;   in Loop: Header=BB122_18 Depth=1
	s_mov_b32 s0, -1
	s_cmp_gt_i32 s17, 3
	s_mov_b32 s1, -1
	s_cbranch_scc0 .LBB122_49
.LBB122_27:                             ;   in Loop: Header=BB122_18 Depth=1
	s_and_not1_b32 vcc_lo, exec_lo, s1
	s_cbranch_vccz .LBB122_50
.LBB122_28:                             ;   in Loop: Header=BB122_18 Depth=1
	s_delay_alu instid0(VALU_DEP_1) | instskip(NEXT) | instid1(VALU_DEP_2)
	v_mov_b64_e32 v[4:5], v[32:33]
	v_mov_b64_e32 v[2:3], v[30:31]
	s_and_not1_b32 vcc_lo, exec_lo, s0
	s_cbranch_vccnz .LBB122_51
	s_branch .LBB122_57
.LBB122_29:                             ;   in Loop: Header=BB122_18 Depth=1
	s_cmp_eq_u32 s13, 1
	s_mov_b32 s15, -1
                                        ; implicit-def: $vgpr26_vgpr27
                                        ; implicit-def: $vgpr28_vgpr29
	s_cbranch_scc0 .LBB122_35
; %bb.30:                               ;   in Loop: Header=BB122_18 Depth=1
	v_cmp_ge_i64_e64 s15, s[34:35], s[20:21]
	v_mov_b64_e32 v[26:27], v[24:25]
	v_mov_b64_e32 v[28:29], v[22:23]
	s_and_b32 vcc_lo, exec_lo, s15
	s_mov_b32 s15, 0
	s_cbranch_vccz .LBB122_35
; %bb.31:                               ;   in Loop: Header=BB122_18 Depth=1
	s_and_b32 vcc_lo, exec_lo, s17
	s_mov_b32 s15, -1
                                        ; implicit-def: $vgpr26_vgpr27
                                        ; implicit-def: $vgpr28_vgpr29
	s_cbranch_vccz .LBB122_35
; %bb.32:                               ;   in Loop: Header=BB122_18 Depth=1
	v_mov_b64_e32 v[26:27], v[24:25]
	v_mov_b64_e32 v[28:29], v[22:23]
	s_and_not1_b32 vcc_lo, exec_lo, s12
	s_cbranch_vccnz .LBB122_34
; %bb.33:                               ;   in Loop: Header=BB122_18 Depth=1
	v_mul_f64_e32 v[26:27], v[6:7], v[6:7]
	s_delay_alu instid0(VALU_DEP_1) | instskip(NEXT) | instid1(VALU_DEP_1)
	v_fmac_f64_e32 v[26:27], v[8:9], v[8:9]
	v_div_scale_f64 v[28:29], null, v[26:27], v[26:27], 1.0
	v_div_scale_f64 v[36:37], vcc_lo, 1.0, v[26:27], 1.0
	s_delay_alu instid0(VALU_DEP_2) | instskip(SKIP_1) | instid1(TRANS32_DEP_1)
	v_rcp_f64_e32 v[30:31], v[28:29]
	v_nop
	v_fma_f64 v[32:33], -v[28:29], v[30:31], 1.0
	s_delay_alu instid0(VALU_DEP_1) | instskip(NEXT) | instid1(VALU_DEP_1)
	v_fmac_f64_e32 v[30:31], v[30:31], v[32:33]
	v_fma_f64 v[32:33], -v[28:29], v[30:31], 1.0
	s_delay_alu instid0(VALU_DEP_1) | instskip(NEXT) | instid1(VALU_DEP_1)
	v_fmac_f64_e32 v[30:31], v[30:31], v[32:33]
	v_mul_f64_e32 v[32:33], v[36:37], v[30:31]
	s_delay_alu instid0(VALU_DEP_1) | instskip(NEXT) | instid1(VALU_DEP_1)
	v_fma_f64 v[28:29], -v[28:29], v[32:33], v[36:37]
	v_div_fmas_f64 v[28:29], v[28:29], v[30:31], v[32:33]
	v_fma_f64 v[30:31], 0, v[6:7], v[8:9]
	v_fma_f64 v[32:33], v[8:9], 0, -v[6:7]
	s_delay_alu instid0(VALU_DEP_3) | instskip(NEXT) | instid1(VALU_DEP_1)
	v_div_fixup_f64 v[26:27], v[28:29], v[26:27], 1.0
	v_mul_f64_e32 v[28:29], v[30:31], v[26:27]
	s_delay_alu instid0(VALU_DEP_3)
	v_mul_f64_e32 v[26:27], v[32:33], v[26:27]
.LBB122_34:                             ;   in Loop: Header=BB122_18 Depth=1
	s_mov_b32 s15, 0
.LBB122_35:                             ;   in Loop: Header=BB122_18 Depth=1
	s_mov_b32 s17, 4
	s_branch .LBB122_24
.LBB122_36:                             ;   in Loop: Header=BB122_18 Depth=1
	s_cmp_eq_u32 s13, 0
	s_cbranch_scc1 .LBB122_38
; %bb.37:                               ;   in Loop: Header=BB122_18 Depth=1
	s_mov_b32 s15, -1
	s_branch .LBB122_40
.LBB122_38:                             ;   in Loop: Header=BB122_18 Depth=1
	v_cmp_le_i64_e64 s15, s[34:35], s[20:21]
	s_and_b32 vcc_lo, exec_lo, s15
	s_mov_b32 s15, 0
	s_cbranch_vccz .LBB122_40
; %bb.39:                               ;   in Loop: Header=BB122_18 Depth=1
	s_mov_b32 s1, -1
	s_mov_b32 s15, s0
.LBB122_40:                             ;   in Loop: Header=BB122_18 Depth=1
	v_mov_b64_e32 v[26:27], v[24:25]
	v_mov_b64_e32 v[28:29], v[22:23]
	s_mov_b32 s17, 2
	v_mov_b64_e32 v[32:33], v[4:5]
	v_mov_b64_e32 v[30:31], v[2:3]
	s_and_b32 vcc_lo, exec_lo, s15
	s_cbranch_vccz .LBB122_25
.LBB122_41:                             ;   in Loop: Header=BB122_18 Depth=1
	s_and_saveexec_b32 s15, s3
	s_cbranch_execz .LBB122_43
; %bb.42:                               ;   in Loop: Header=BB122_18 Depth=1
	s_lshl_b64 s[0:1], s[34:35], 2
	s_delay_alu instid0(SALU_CYCLE_1)
	s_add_nc_u64 s[0:1], s[26:27], s[0:1]
	global_load_b32 v12, v13, s[0:1] scope:SCOPE_DEV
	s_wait_loadcnt 0x0
	v_cmp_ne_u32_e32 vcc_lo, 0, v12
	s_cbranch_vccz .LBB122_52
.LBB122_43:                             ;   in Loop: Header=BB122_18 Depth=1
	s_wait_xcnt 0x0
	s_or_b32 exec_lo, exec_lo, s15
	v_mov_b64_e32 v[32:33], 0
	v_mov_b64_e32 v[30:31], 0
	s_wait_storecnt 0x0
	s_barrier_signal -1
	s_barrier_wait -1
	global_inv scope:SCOPE_DEV
	s_and_saveexec_b32 s0, s2
	s_cbranch_execz .LBB122_45
; %bb.44:                               ;   in Loop: Header=BB122_18 Depth=1
	s_mul_u64 s[34:35], s[34:35], s[10:11]
	s_delay_alu instid0(SALU_CYCLE_1) | instskip(SKIP_4) | instid1(VALU_DEP_2)
	v_lshl_add_u64 v[26:27], s[34:35], 4, v[16:17]
	global_load_b128 v[26:29], v[26:27], off
	s_wait_loadcnt 0x0
	v_fma_f64 v[30:31], -v[8:9], v[26:27], v[2:3]
	v_fma_f64 v[26:27], -v[6:7], v[26:27], v[4:5]
	v_fmac_f64_e32 v[30:31], v[6:7], v[28:29]
	s_delay_alu instid0(VALU_DEP_2)
	v_fma_f64 v[32:33], -v[8:9], v[28:29], v[26:27]
.LBB122_45:                             ;   in Loop: Header=BB122_18 Depth=1
	s_or_b32 exec_lo, exec_lo, s0
	v_mov_b64_e32 v[26:27], v[24:25]
	v_mov_b64_e32 v[28:29], v[22:23]
	s_mov_b32 s17, 0
	s_branch .LBB122_26
.LBB122_46:                             ;   in Loop: Header=BB122_18 Depth=1
	s_and_not1_b32 vcc_lo, exec_lo, s12
	s_cbranch_vccnz .LBB122_48
; %bb.47:                               ;   in Loop: Header=BB122_18 Depth=1
	v_mul_f64_e32 v[22:23], v[6:7], v[6:7]
	s_delay_alu instid0(VALU_DEP_1) | instskip(NEXT) | instid1(VALU_DEP_1)
	v_fmac_f64_e32 v[22:23], v[8:9], v[8:9]
	v_div_scale_f64 v[24:25], null, v[22:23], v[22:23], 1.0
	v_div_scale_f64 v[30:31], vcc_lo, 1.0, v[22:23], 1.0
	s_delay_alu instid0(VALU_DEP_2) | instskip(SKIP_1) | instid1(TRANS32_DEP_1)
	v_rcp_f64_e32 v[26:27], v[24:25]
	v_nop
	v_fma_f64 v[28:29], -v[24:25], v[26:27], 1.0
	s_delay_alu instid0(VALU_DEP_1) | instskip(NEXT) | instid1(VALU_DEP_1)
	v_fmac_f64_e32 v[26:27], v[26:27], v[28:29]
	v_fma_f64 v[28:29], -v[24:25], v[26:27], 1.0
	s_delay_alu instid0(VALU_DEP_1) | instskip(NEXT) | instid1(VALU_DEP_1)
	v_fmac_f64_e32 v[26:27], v[26:27], v[28:29]
	v_mul_f64_e32 v[28:29], v[30:31], v[26:27]
	s_delay_alu instid0(VALU_DEP_1) | instskip(NEXT) | instid1(VALU_DEP_1)
	v_fma_f64 v[24:25], -v[24:25], v[28:29], v[30:31]
	v_div_fmas_f64 v[24:25], v[24:25], v[26:27], v[28:29]
	v_fma_f64 v[26:27], 0, v[6:7], v[8:9]
	v_fma_f64 v[6:7], v[8:9], 0, -v[6:7]
	s_delay_alu instid0(VALU_DEP_3) | instskip(NEXT) | instid1(VALU_DEP_1)
	v_div_fixup_f64 v[24:25], v[24:25], v[22:23], 1.0
	v_mul_f64_e32 v[22:23], v[26:27], v[24:25]
	s_delay_alu instid0(VALU_DEP_3)
	v_mul_f64_e32 v[24:25], v[6:7], v[24:25]
.LBB122_48:                             ;   in Loop: Header=BB122_18 Depth=1
	s_delay_alu instid0(VALU_DEP_2) | instskip(NEXT) | instid1(VALU_DEP_2)
	v_mov_b64_e32 v[28:29], v[22:23]
	v_mov_b64_e32 v[26:27], v[24:25]
	;; [unrolled: 1-line block ×4, first 2 shown]
	s_mov_b32 s17, 2
	s_mov_b32 s0, -1
	s_cmp_gt_i32 s17, 3
	s_mov_b32 s1, -1
	s_cbranch_scc1 .LBB122_27
.LBB122_49:                             ;   in Loop: Header=BB122_18 Depth=1
	s_cmp_eq_u32 s17, 0
	s_cselect_b32 s1, -1, 0
	s_delay_alu instid0(SALU_CYCLE_1)
	s_and_not1_b32 vcc_lo, exec_lo, s1
	s_cbranch_vccnz .LBB122_28
.LBB122_50:                             ;   in Loop: Header=BB122_18 Depth=1
	s_add_nc_u64 s[30:31], s[30:31], 1
	s_delay_alu instid0(SALU_CYCLE_1) | instskip(NEXT) | instid1(VALU_DEP_2)
	v_cmp_ge_i64_e64 s0, s[30:31], s[18:19]
	v_mov_b64_e32 v[4:5], v[32:33]
	s_delay_alu instid0(VALU_DEP_3)
	v_mov_b64_e32 v[2:3], v[30:31]
	s_and_not1_b32 vcc_lo, exec_lo, s0
	s_cbranch_vccz .LBB122_57
.LBB122_51:                             ;   in Loop: Header=BB122_18 Depth=1
	s_delay_alu instid0(VALU_DEP_4) | instskip(NEXT) | instid1(VALU_DEP_4)
	v_mov_b64_e32 v[24:25], v[26:27]
	v_mov_b64_e32 v[22:23], v[28:29]
	s_sub_co_i32 s0, s30, s16
	s_delay_alu instid0(SALU_CYCLE_1) | instskip(NEXT) | instid1(SALU_CYCLE_1)
	s_and_b32 s0, s0, 0x3ff
	s_cmp_lg_u32 s0, 0
	s_cbranch_scc1 .LBB122_18
	s_branch .LBB122_15
.LBB122_52:                             ;   in Loop: Header=BB122_18 Depth=1
	s_mov_b32 s17, 0
	s_branch .LBB122_54
.LBB122_53:                             ;   in Loop: Header=BB122_54 Depth=2
	global_load_b32 v12, v13, s[0:1] scope:SCOPE_DEV
	s_cmp_lt_u32 s17, 0xf43
	s_cselect_b32 s33, -1, 0
	s_delay_alu instid0(SALU_CYCLE_1)
	s_cmp_lg_u32 s33, 0
	s_add_co_ci_u32 s17, s17, 0
	s_wait_loadcnt 0x0
	v_cmp_ne_u32_e32 vcc_lo, 0, v12
	s_cbranch_vccnz .LBB122_43
.LBB122_54:                             ;   Parent Loop BB122_18 Depth=1
                                        ; =>  This Loop Header: Depth=2
                                        ;       Child Loop BB122_55 Depth 3
	s_cmp_eq_u32 s17, 0
	s_mov_b32 s33, s17
	s_cbranch_scc1 .LBB122_53
.LBB122_55:                             ;   Parent Loop BB122_18 Depth=1
                                        ;     Parent Loop BB122_54 Depth=2
                                        ; =>    This Inner Loop Header: Depth=3
	s_add_co_i32 s33, s33, -1
	s_sleep 1
	s_cmp_eq_u32 s33, 0
	s_cbranch_scc0 .LBB122_55
	s_branch .LBB122_53
.LBB122_56:
	v_mov_b64_e32 v[28:29], 1.0
	v_mov_b64_e32 v[26:27], 0
.LBB122_57:
	s_cmp_lg_u32 s14, 0
	s_cbranch_scc0 .LBB122_64
; %bb.58:
	s_and_saveexec_b32 s0, s2
	s_cbranch_execz .LBB122_60
.LBB122_59:
	s_wait_loadcnt_dscnt 0x0
	v_lshl_add_u64 v[6:7], v[10:11], 4, s[8:9]
	global_store_b128 v[6:7], v[2:5], off
.LBB122_60:
	s_wait_xcnt 0x0
	s_or_b32 exec_lo, exec_lo, s0
	global_wb scope:SCOPE_DEV
	s_wait_storecnt 0x0
	s_wait_loadcnt_dscnt 0x0
	global_inv scope:SCOPE_DEV
	s_wait_loadcnt 0x0
	s_barrier_signal -1
	s_barrier_wait -1
	s_mov_b32 s0, exec_lo
	v_cmpx_eq_u32_e32 0, v0
	s_cbranch_execz .LBB122_62
; %bb.61:
	s_lshl_b64 s[0:1], s[20:21], 2
	v_dual_mov_b32 v0, 0 :: v_dual_mov_b32 v1, 1
	s_add_nc_u64 s[0:1], s[6:7], s[0:1]
	s_lshl_b64 s[2:3], s[4:5], 2
	s_delay_alu instid0(SALU_CYCLE_1)
	s_add_nc_u64 s[0:1], s[0:1], s[2:3]
	global_store_b32 v0, v1, s[0:1] scope:SCOPE_DEV
.LBB122_62:
	s_endpgm
.LBB122_63:
                                        ; implicit-def: $sgpr18_sgpr19
	s_clause 0x1
	s_load_b64 s[8:9], s[0:1], 0x58
	s_load_b64 s[16:17], s[0:1], 0x28
	s_branch .LBB122_4
.LBB122_64:
	s_wait_loadcnt_dscnt 0x0
	s_delay_alu instid0(VALU_DEP_1) | instskip(SKIP_1) | instid1(VALU_DEP_2)
	v_mul_f64_e64 v[6:7], v[26:27], -v[4:5]
	v_mul_f64_e32 v[8:9], v[26:27], v[2:3]
	v_fmac_f64_e32 v[6:7], v[2:3], v[28:29]
	s_delay_alu instid0(VALU_DEP_2) | instskip(NEXT) | instid1(VALU_DEP_2)
	v_fmac_f64_e32 v[8:9], v[4:5], v[28:29]
	v_mov_b64_e32 v[2:3], v[6:7]
	s_delay_alu instid0(VALU_DEP_2)
	v_mov_b64_e32 v[4:5], v[8:9]
	s_and_saveexec_b32 s0, s2
	s_cbranch_execnz .LBB122_59
	s_branch .LBB122_60
	.section	.rodata,"a",@progbits
	.p2align	6, 0x0
	.amdhsa_kernel _ZN9rocsparseL5csrsmILj1024ELj64ELb1Ell21rocsparse_complex_numIdEEEv20rocsparse_operation_T3_S4_NS_24const_host_device_scalarIT4_EEPKT2_PKS4_PKS6_PS6_lPiSC_PS4_21rocsparse_index_base_20rocsparse_fill_mode_20rocsparse_diag_type_b
		.amdhsa_group_segment_fixed_size 24576
		.amdhsa_private_segment_fixed_size 16
		.amdhsa_kernarg_size 120
		.amdhsa_user_sgpr_count 2
		.amdhsa_user_sgpr_dispatch_ptr 0
		.amdhsa_user_sgpr_queue_ptr 0
		.amdhsa_user_sgpr_kernarg_segment_ptr 1
		.amdhsa_user_sgpr_dispatch_id 0
		.amdhsa_user_sgpr_kernarg_preload_length 0
		.amdhsa_user_sgpr_kernarg_preload_offset 0
		.amdhsa_user_sgpr_private_segment_size 0
		.amdhsa_wavefront_size32 1
		.amdhsa_uses_dynamic_stack 0
		.amdhsa_enable_private_segment 1
		.amdhsa_system_sgpr_workgroup_id_x 1
		.amdhsa_system_sgpr_workgroup_id_y 0
		.amdhsa_system_sgpr_workgroup_id_z 0
		.amdhsa_system_sgpr_workgroup_info 0
		.amdhsa_system_vgpr_workitem_id 0
		.amdhsa_next_free_vgpr 38
		.amdhsa_next_free_sgpr 36
		.amdhsa_named_barrier_count 0
		.amdhsa_reserve_vcc 1
		.amdhsa_float_round_mode_32 0
		.amdhsa_float_round_mode_16_64 0
		.amdhsa_float_denorm_mode_32 3
		.amdhsa_float_denorm_mode_16_64 3
		.amdhsa_fp16_overflow 0
		.amdhsa_memory_ordered 1
		.amdhsa_forward_progress 1
		.amdhsa_inst_pref_size 22
		.amdhsa_round_robin_scheduling 0
		.amdhsa_exception_fp_ieee_invalid_op 0
		.amdhsa_exception_fp_denorm_src 0
		.amdhsa_exception_fp_ieee_div_zero 0
		.amdhsa_exception_fp_ieee_overflow 0
		.amdhsa_exception_fp_ieee_underflow 0
		.amdhsa_exception_fp_ieee_inexact 0
		.amdhsa_exception_int_div_zero 0
	.end_amdhsa_kernel
	.section	.text._ZN9rocsparseL5csrsmILj1024ELj64ELb1Ell21rocsparse_complex_numIdEEEv20rocsparse_operation_T3_S4_NS_24const_host_device_scalarIT4_EEPKT2_PKS4_PKS6_PS6_lPiSC_PS4_21rocsparse_index_base_20rocsparse_fill_mode_20rocsparse_diag_type_b,"axG",@progbits,_ZN9rocsparseL5csrsmILj1024ELj64ELb1Ell21rocsparse_complex_numIdEEEv20rocsparse_operation_T3_S4_NS_24const_host_device_scalarIT4_EEPKT2_PKS4_PKS6_PS6_lPiSC_PS4_21rocsparse_index_base_20rocsparse_fill_mode_20rocsparse_diag_type_b,comdat
.Lfunc_end122:
	.size	_ZN9rocsparseL5csrsmILj1024ELj64ELb1Ell21rocsparse_complex_numIdEEEv20rocsparse_operation_T3_S4_NS_24const_host_device_scalarIT4_EEPKT2_PKS4_PKS6_PS6_lPiSC_PS4_21rocsparse_index_base_20rocsparse_fill_mode_20rocsparse_diag_type_b, .Lfunc_end122-_ZN9rocsparseL5csrsmILj1024ELj64ELb1Ell21rocsparse_complex_numIdEEEv20rocsparse_operation_T3_S4_NS_24const_host_device_scalarIT4_EEPKT2_PKS4_PKS6_PS6_lPiSC_PS4_21rocsparse_index_base_20rocsparse_fill_mode_20rocsparse_diag_type_b
                                        ; -- End function
	.set _ZN9rocsparseL5csrsmILj1024ELj64ELb1Ell21rocsparse_complex_numIdEEEv20rocsparse_operation_T3_S4_NS_24const_host_device_scalarIT4_EEPKT2_PKS4_PKS6_PS6_lPiSC_PS4_21rocsparse_index_base_20rocsparse_fill_mode_20rocsparse_diag_type_b.num_vgpr, 38
	.set _ZN9rocsparseL5csrsmILj1024ELj64ELb1Ell21rocsparse_complex_numIdEEEv20rocsparse_operation_T3_S4_NS_24const_host_device_scalarIT4_EEPKT2_PKS4_PKS6_PS6_lPiSC_PS4_21rocsparse_index_base_20rocsparse_fill_mode_20rocsparse_diag_type_b.num_agpr, 0
	.set _ZN9rocsparseL5csrsmILj1024ELj64ELb1Ell21rocsparse_complex_numIdEEEv20rocsparse_operation_T3_S4_NS_24const_host_device_scalarIT4_EEPKT2_PKS4_PKS6_PS6_lPiSC_PS4_21rocsparse_index_base_20rocsparse_fill_mode_20rocsparse_diag_type_b.numbered_sgpr, 36
	.set _ZN9rocsparseL5csrsmILj1024ELj64ELb1Ell21rocsparse_complex_numIdEEEv20rocsparse_operation_T3_S4_NS_24const_host_device_scalarIT4_EEPKT2_PKS4_PKS6_PS6_lPiSC_PS4_21rocsparse_index_base_20rocsparse_fill_mode_20rocsparse_diag_type_b.num_named_barrier, 0
	.set _ZN9rocsparseL5csrsmILj1024ELj64ELb1Ell21rocsparse_complex_numIdEEEv20rocsparse_operation_T3_S4_NS_24const_host_device_scalarIT4_EEPKT2_PKS4_PKS6_PS6_lPiSC_PS4_21rocsparse_index_base_20rocsparse_fill_mode_20rocsparse_diag_type_b.private_seg_size, 16
	.set _ZN9rocsparseL5csrsmILj1024ELj64ELb1Ell21rocsparse_complex_numIdEEEv20rocsparse_operation_T3_S4_NS_24const_host_device_scalarIT4_EEPKT2_PKS4_PKS6_PS6_lPiSC_PS4_21rocsparse_index_base_20rocsparse_fill_mode_20rocsparse_diag_type_b.uses_vcc, 1
	.set _ZN9rocsparseL5csrsmILj1024ELj64ELb1Ell21rocsparse_complex_numIdEEEv20rocsparse_operation_T3_S4_NS_24const_host_device_scalarIT4_EEPKT2_PKS4_PKS6_PS6_lPiSC_PS4_21rocsparse_index_base_20rocsparse_fill_mode_20rocsparse_diag_type_b.uses_flat_scratch, 0
	.set _ZN9rocsparseL5csrsmILj1024ELj64ELb1Ell21rocsparse_complex_numIdEEEv20rocsparse_operation_T3_S4_NS_24const_host_device_scalarIT4_EEPKT2_PKS4_PKS6_PS6_lPiSC_PS4_21rocsparse_index_base_20rocsparse_fill_mode_20rocsparse_diag_type_b.has_dyn_sized_stack, 0
	.set _ZN9rocsparseL5csrsmILj1024ELj64ELb1Ell21rocsparse_complex_numIdEEEv20rocsparse_operation_T3_S4_NS_24const_host_device_scalarIT4_EEPKT2_PKS4_PKS6_PS6_lPiSC_PS4_21rocsparse_index_base_20rocsparse_fill_mode_20rocsparse_diag_type_b.has_recursion, 0
	.set _ZN9rocsparseL5csrsmILj1024ELj64ELb1Ell21rocsparse_complex_numIdEEEv20rocsparse_operation_T3_S4_NS_24const_host_device_scalarIT4_EEPKT2_PKS4_PKS6_PS6_lPiSC_PS4_21rocsparse_index_base_20rocsparse_fill_mode_20rocsparse_diag_type_b.has_indirect_call, 0
	.section	.AMDGPU.csdata,"",@progbits
; Kernel info:
; codeLenInByte = 2812
; TotalNumSgprs: 38
; NumVgprs: 38
; ScratchSize: 16
; MemoryBound: 1
; FloatMode: 240
; IeeeMode: 1
; LDSByteSize: 24576 bytes/workgroup (compile time only)
; SGPRBlocks: 0
; VGPRBlocks: 2
; NumSGPRsForWavesPerEU: 38
; NumVGPRsForWavesPerEU: 38
; NamedBarCnt: 0
; Occupancy: 16
; WaveLimiterHint : 1
; COMPUTE_PGM_RSRC2:SCRATCH_EN: 1
; COMPUTE_PGM_RSRC2:USER_SGPR: 2
; COMPUTE_PGM_RSRC2:TRAP_HANDLER: 0
; COMPUTE_PGM_RSRC2:TGID_X_EN: 1
; COMPUTE_PGM_RSRC2:TGID_Y_EN: 0
; COMPUTE_PGM_RSRC2:TGID_Z_EN: 0
; COMPUTE_PGM_RSRC2:TIDIG_COMP_CNT: 0
	.section	.text._ZN9rocsparseL5csrsmILj1024ELj64ELb0Ell21rocsparse_complex_numIdEEEv20rocsparse_operation_T3_S4_NS_24const_host_device_scalarIT4_EEPKT2_PKS4_PKS6_PS6_lPiSC_PS4_21rocsparse_index_base_20rocsparse_fill_mode_20rocsparse_diag_type_b,"axG",@progbits,_ZN9rocsparseL5csrsmILj1024ELj64ELb0Ell21rocsparse_complex_numIdEEEv20rocsparse_operation_T3_S4_NS_24const_host_device_scalarIT4_EEPKT2_PKS4_PKS6_PS6_lPiSC_PS4_21rocsparse_index_base_20rocsparse_fill_mode_20rocsparse_diag_type_b,comdat
	.globl	_ZN9rocsparseL5csrsmILj1024ELj64ELb0Ell21rocsparse_complex_numIdEEEv20rocsparse_operation_T3_S4_NS_24const_host_device_scalarIT4_EEPKT2_PKS4_PKS6_PS6_lPiSC_PS4_21rocsparse_index_base_20rocsparse_fill_mode_20rocsparse_diag_type_b ; -- Begin function _ZN9rocsparseL5csrsmILj1024ELj64ELb0Ell21rocsparse_complex_numIdEEEv20rocsparse_operation_T3_S4_NS_24const_host_device_scalarIT4_EEPKT2_PKS4_PKS6_PS6_lPiSC_PS4_21rocsparse_index_base_20rocsparse_fill_mode_20rocsparse_diag_type_b
	.p2align	8
	.type	_ZN9rocsparseL5csrsmILj1024ELj64ELb0Ell21rocsparse_complex_numIdEEEv20rocsparse_operation_T3_S4_NS_24const_host_device_scalarIT4_EEPKT2_PKS4_PKS6_PS6_lPiSC_PS4_21rocsparse_index_base_20rocsparse_fill_mode_20rocsparse_diag_type_b,@function
_ZN9rocsparseL5csrsmILj1024ELj64ELb0Ell21rocsparse_complex_numIdEEEv20rocsparse_operation_T3_S4_NS_24const_host_device_scalarIT4_EEPKT2_PKS4_PKS6_PS6_lPiSC_PS4_21rocsparse_index_base_20rocsparse_fill_mode_20rocsparse_diag_type_b: ; @_ZN9rocsparseL5csrsmILj1024ELj64ELb0Ell21rocsparse_complex_numIdEEEv20rocsparse_operation_T3_S4_NS_24const_host_device_scalarIT4_EEPKT2_PKS4_PKS6_PS6_lPiSC_PS4_21rocsparse_index_base_20rocsparse_fill_mode_20rocsparse_diag_type_b
; %bb.0:
	s_clause 0x1
	s_load_b128 s[12:15], s[0:1], 0x68
	s_load_b256 s[4:11], s[0:1], 0x8
	v_mbcnt_lo_u32_b32 v1, -1, 0
	s_mov_b32 s3, 0
	s_delay_alu instid0(VALU_DEP_1) | instskip(NEXT) | instid1(VALU_DEP_1)
	v_dual_mov_b32 v2, 0 :: v_dual_lshlrev_b32 v3, 20, v1
	v_add_nc_u64_e32 v[2:3], src_flat_scratch_base_lo, v[2:3]
	s_wait_kmcnt 0x0
	s_bitcmp1_b32 s15, 0
	v_mov_b64_e32 v[4:5], s[8:9]
	s_cselect_b32 vcc_lo, -1, 0
	v_mov_b64_e32 v[8:9], s[10:11]
	s_delay_alu instid0(VALU_DEP_3)
	v_cndmask_b32_e32 v3, s9, v3, vcc_lo
	v_cndmask_b32_e32 v2, s8, v2, vcc_lo
	s_and_b32 vcc_lo, exec_lo, vcc_lo
	scratch_store_b64 off, v[4:5], off
	flat_load_b64 v[6:7], v[2:3]
	s_cbranch_vccnz .LBB123_2
; %bb.1:
	v_mov_b32_e32 v1, 0
	flat_load_b64 v[8:9], v1, s[8:9] offset:8
.LBB123_2:
	s_bfe_u32 s2, ttmp6, 0x4000c
	s_wait_xcnt 0x0
	s_and_b32 s8, ttmp6, 15
	s_add_co_i32 s2, s2, 1
	s_getreg_b32 s9, hwreg(HW_REG_IB_STS2, 6, 4)
	s_mul_i32 s2, ttmp9, s2
	s_delay_alu instid0(SALU_CYCLE_1) | instskip(SKIP_3) | instid1(SALU_CYCLE_1)
	s_add_co_i32 s8, s8, s2
	s_cmp_eq_u32 s9, 0
	s_cselect_b32 s2, ttmp9, s8
	s_and_b64 s[8:9], s[4:5], 0xffffffff00000000
	s_cmp_lg_u64 s[8:9], 0
	s_cbranch_scc0 .LBB123_60
; %bb.3:
	s_ashr_i32 s8, s5, 31
	s_delay_alu instid0(SALU_CYCLE_1) | instskip(NEXT) | instid1(SALU_CYCLE_1)
	s_mov_b32 s9, s8
	s_add_nc_u64 s[10:11], s[4:5], s[8:9]
	s_delay_alu instid0(SALU_CYCLE_1) | instskip(NEXT) | instid1(SALU_CYCLE_1)
	s_xor_b64 s[16:17], s[10:11], s[8:9]
	s_cvt_f32_u32 s10, s16
	s_cvt_f32_u32 s11, s17
	s_sub_nc_u64 s[20:21], 0, s[16:17]
	s_delay_alu instid0(SALU_CYCLE_2) | instskip(NEXT) | instid1(SALU_CYCLE_3)
	s_fmamk_f32 s10, s11, 0x4f800000, s10
	v_s_rcp_f32 s10, s10
	s_delay_alu instid0(TRANS32_DEP_1) | instskip(NEXT) | instid1(SALU_CYCLE_3)
	s_mul_f32 s10, s10, 0x5f7ffffc
	s_mul_f32 s11, s10, 0x2f800000
	s_delay_alu instid0(SALU_CYCLE_3) | instskip(NEXT) | instid1(SALU_CYCLE_3)
	s_trunc_f32 s11, s11
	s_fmamk_f32 s10, s11, 0xcf800000, s10
	s_cvt_u32_f32 s19, s11
	s_mov_b32 s11, 0
	s_delay_alu instid0(SALU_CYCLE_1) | instskip(NEXT) | instid1(SALU_CYCLE_3)
	s_cvt_u32_f32 s18, s10
	s_mul_u64 s[22:23], s[20:21], s[18:19]
	s_delay_alu instid0(SALU_CYCLE_1)
	s_mul_hi_u32 s25, s18, s23
	s_mul_i32 s24, s18, s23
	s_mul_hi_u32 s10, s18, s22
	s_mul_i32 s26, s19, s22
	s_add_nc_u64 s[24:25], s[10:11], s[24:25]
	s_mul_hi_u32 s15, s19, s22
	s_mul_hi_u32 s27, s19, s23
	s_add_co_u32 s10, s24, s26
	s_add_co_ci_u32 s10, s25, s15
	s_mul_i32 s22, s19, s23
	s_add_co_ci_u32 s23, s27, 0
	s_delay_alu instid0(SALU_CYCLE_1) | instskip(NEXT) | instid1(SALU_CYCLE_1)
	s_add_nc_u64 s[22:23], s[10:11], s[22:23]
	s_add_co_u32 s18, s18, s22
	s_cselect_b32 s10, -1, 0
	s_delay_alu instid0(SALU_CYCLE_1) | instskip(SKIP_1) | instid1(SALU_CYCLE_1)
	s_cmp_lg_u32 s10, 0
	s_add_co_ci_u32 s19, s19, s23
	s_mul_u64 s[20:21], s[20:21], s[18:19]
	s_delay_alu instid0(SALU_CYCLE_1)
	s_mul_hi_u32 s23, s18, s21
	s_mul_i32 s22, s18, s21
	s_mul_hi_u32 s10, s18, s20
	s_mul_i32 s24, s19, s20
	s_add_nc_u64 s[22:23], s[10:11], s[22:23]
	s_mul_hi_u32 s15, s19, s20
	s_mul_hi_u32 s25, s19, s21
	s_add_co_u32 s10, s22, s24
	s_add_co_ci_u32 s10, s23, s15
	s_mul_i32 s20, s19, s21
	s_add_co_ci_u32 s21, s25, 0
	s_add_nc_u64 s[22:23], s[2:3], 0
	s_add_nc_u64 s[20:21], s[10:11], s[20:21]
	s_delay_alu instid0(SALU_CYCLE_1) | instskip(SKIP_1) | instid1(SALU_CYCLE_1)
	s_add_co_u32 s15, s18, s20
	s_cselect_b32 s10, -1, 0
	s_cmp_lg_u32 s10, 0
	s_add_co_ci_u32 s24, s19, s21
	s_xor_b64 s[18:19], s[22:23], 0
	s_delay_alu instid0(SALU_CYCLE_1)
	s_mul_hi_u32 s21, s18, s24
	s_mul_i32 s20, s18, s24
	s_mul_hi_u32 s10, s18, s15
	s_mul_hi_u32 s25, s19, s15
	s_mul_i32 s15, s19, s15
	s_add_nc_u64 s[20:21], s[10:11], s[20:21]
	s_mul_hi_u32 s23, s19, s24
	s_add_co_u32 s10, s20, s15
	s_add_co_ci_u32 s10, s21, s25
	s_mul_i32 s22, s19, s24
	s_add_co_ci_u32 s23, s23, 0
	s_delay_alu instid0(SALU_CYCLE_1) | instskip(NEXT) | instid1(SALU_CYCLE_1)
	s_add_nc_u64 s[20:21], s[10:11], s[22:23]
	s_and_b64 s[22:23], s[20:21], 0xffffffff00000000
	s_delay_alu instid0(SALU_CYCLE_1) | instskip(NEXT) | instid1(SALU_CYCLE_1)
	s_or_b32 s22, s22, s20
	s_mul_u64 s[20:21], s[16:17], s[22:23]
	s_delay_alu instid0(SALU_CYCLE_1)
	s_sub_co_u32 s10, s18, s20
	s_cselect_b32 s15, -1, 0
	s_sub_co_i32 s18, s19, s21
	s_cmp_lg_u32 s15, 0
	s_sub_co_ci_u32 s18, s18, s17
	s_sub_co_u32 s20, s10, s16
	s_cselect_b32 s24, -1, 0
	s_delay_alu instid0(SALU_CYCLE_1) | instskip(SKIP_2) | instid1(SALU_CYCLE_1)
	s_cmp_lg_u32 s24, 0
	s_add_nc_u64 s[24:25], s[22:23], 1
	s_sub_co_ci_u32 s18, s18, 0
	s_cmp_ge_u32 s18, s17
	s_cselect_b32 s26, -1, 0
	s_cmp_ge_u32 s20, s16
	s_cselect_b32 s20, -1, 0
	s_cmp_eq_u32 s18, s17
	s_cselect_b32 s18, s20, s26
	s_add_nc_u64 s[26:27], s[22:23], 2
	s_cmp_lg_u32 s18, 0
	s_cselect_b32 s18, s26, s24
	s_cselect_b32 s20, s27, s25
	s_cmp_lg_u32 s15, 0
	s_sub_co_ci_u32 s15, s19, s21
	s_delay_alu instid0(SALU_CYCLE_1)
	s_cmp_ge_u32 s15, s17
	s_cselect_b32 s19, -1, 0
	s_cmp_ge_u32 s10, s16
	s_cselect_b32 s10, -1, 0
	s_cmp_eq_u32 s15, s17
	s_cselect_b32 s10, s10, s19
	s_delay_alu instid0(SALU_CYCLE_1) | instskip(SKIP_3) | instid1(SALU_CYCLE_1)
	s_cmp_lg_u32 s10, 0
	s_cselect_b32 s17, s20, s23
	s_cselect_b32 s16, s18, s22
	s_xor_b64 s[8:9], 0, s[8:9]
	s_xor_b64 s[16:17], s[16:17], s[8:9]
	s_delay_alu instid0(SALU_CYCLE_1)
	s_sub_nc_u64 s[18:19], s[16:17], s[8:9]
	s_clause 0x1
	s_load_b64 s[8:9], s[0:1], 0x58
	s_load_b64 s[16:17], s[0:1], 0x28
	s_cbranch_execnz .LBB123_5
.LBB123_4:
	v_cvt_f32_u32_e32 v1, s4
	s_sub_co_i32 s11, 0, s4
	s_mov_b32 s19, 0
	s_delay_alu instid0(VALU_DEP_1) | instskip(SKIP_1) | instid1(TRANS32_DEP_1)
	v_rcp_iflag_f32_e32 v1, v1
	v_nop
	v_mul_f32_e32 v1, 0x4f7ffffe, v1
	s_delay_alu instid0(VALU_DEP_1) | instskip(NEXT) | instid1(VALU_DEP_1)
	v_cvt_u32_f32_e32 v1, v1
	v_readfirstlane_b32 s10, v1
	s_mul_i32 s11, s11, s10
	s_delay_alu instid0(SALU_CYCLE_1) | instskip(NEXT) | instid1(SALU_CYCLE_1)
	s_mul_hi_u32 s11, s10, s11
	s_add_co_i32 s10, s10, s11
	s_delay_alu instid0(SALU_CYCLE_1) | instskip(NEXT) | instid1(SALU_CYCLE_1)
	s_mul_hi_u32 s10, s2, s10
	s_mul_i32 s11, s10, s4
	s_add_co_i32 s15, s10, 1
	s_sub_co_i32 s11, s2, s11
	s_delay_alu instid0(SALU_CYCLE_1)
	s_sub_co_i32 s18, s11, s4
	s_cmp_ge_u32 s11, s4
	s_cselect_b32 s10, s15, s10
	s_cselect_b32 s11, s18, s11
	s_add_co_i32 s15, s10, 1
	s_cmp_ge_u32 s11, s4
	s_cselect_b32 s18, s15, s10
.LBB123_5:
	s_delay_alu instid0(SALU_CYCLE_1)
	s_mul_u64 s[4:5], s[18:19], s[4:5]
	s_lshl_b64 s[18:19], s[18:19], 10
	s_sub_nc_u64 s[2:3], s[2:3], s[4:5]
	v_dual_mov_b32 v17, s19 :: v_dual_bitop2_b32 v16, s18, v0 bitop3:0x54
	s_lshl_b64 s[2:3], s[2:3], 3
	v_mov_b32_e32 v1, 0
	s_wait_kmcnt 0x0
	s_add_nc_u64 s[2:3], s[8:9], s[2:3]
	s_load_b64 s[20:21], s[2:3], 0x0
	s_clause 0x1
	s_load_b128 s[8:11], s[0:1], 0x40
	s_load_b32 s15, s[0:1], 0x0
	s_wait_kmcnt 0x0
	s_lshl_b64 s[2:3], s[20:21], 3
	v_mad_nc_u64_u32 v[10:11], s20, s10, v[16:17]
	s_add_nc_u64 s[2:3], s[16:17], s[2:3]
	s_mul_i32 s22, s20, s11
	s_load_b128 s[16:19], s[2:3], 0x0
	s_wait_xcnt 0x0
	s_mul_i32 s3, s21, s10
	v_cmp_gt_i64_e64 s2, s[6:7], v[16:17]
	s_cmp_lg_u32 s15, 0x71
	v_add3_u32 v11, s22, s3, v11
	s_cbranch_scc0 .LBB123_9
; %bb.6:
	v_mov_b64_e32 v[4:5], 0
	v_mov_b64_e32 v[2:3], 0
	s_and_saveexec_b32 s3, s2
	s_cbranch_execz .LBB123_8
; %bb.7:
	v_lshl_add_u64 v[2:3], v[10:11], 4, s[8:9]
	global_load_b128 v[12:15], v[2:3], off
	s_wait_loadcnt_dscnt 0x0
	v_mul_f64_e64 v[2:3], v[14:15], -v[8:9]
	v_mul_f64_e32 v[4:5], v[6:7], v[14:15]
	s_delay_alu instid0(VALU_DEP_2) | instskip(NEXT) | instid1(VALU_DEP_2)
	v_fmac_f64_e32 v[2:3], v[6:7], v[12:13]
	v_fmac_f64_e32 v[4:5], v[8:9], v[12:13]
.LBB123_8:
	s_or_b32 exec_lo, exec_lo, s3
	s_cbranch_execz .LBB123_10
	s_branch .LBB123_13
.LBB123_9:
                                        ; implicit-def: $vgpr4_vgpr5
.LBB123_10:
	v_mov_b64_e32 v[4:5], 0
	v_mov_b64_e32 v[2:3], 0
	s_and_saveexec_b32 s3, s2
	s_cbranch_execz .LBB123_12
; %bb.11:
	v_lshl_add_u64 v[2:3], v[10:11], 4, s[8:9]
	global_load_b128 v[12:15], v[2:3], off
	s_wait_loadcnt_dscnt 0x0
	v_mul_f64_e32 v[2:3], v[8:9], v[14:15]
	v_mul_f64_e64 v[4:5], v[6:7], -v[14:15]
	s_delay_alu instid0(VALU_DEP_2) | instskip(NEXT) | instid1(VALU_DEP_2)
	v_fmac_f64_e32 v[2:3], v[6:7], v[12:13]
	v_fmac_f64_e32 v[4:5], v[8:9], v[12:13]
.LBB123_12:
	s_or_b32 exec_lo, exec_lo, s3
.LBB123_13:
	s_load_b64 s[6:7], s[0:1], 0x50
	s_wait_kmcnt 0x0
	v_cmp_ge_i64_e64 s3, s[16:17], s[18:19]
	s_and_b32 vcc_lo, exec_lo, s3
	v_cmp_eq_u32_e64 s3, 0, v0
	s_cbranch_vccnz .LBB123_53
; %bb.14:
	s_clause 0x1
	s_load_b128 s[28:31], s[0:1], 0x30
	s_load_b64 s[22:23], s[0:1], 0x60
	v_dual_mov_b32 v13, 0 :: v_dual_lshlrev_b32 v12, 3, v0
	v_lshlrev_b32_e32 v14, 4, v0
	v_mov_b64_e32 v[22:23], 1.0
	v_mov_b64_e32 v[24:25], 0
	s_mov_b32 s25, 0
	v_mov_b32_e32 v15, v13
	s_mov_b32 s24, s12
	s_wait_xcnt 0x0
	s_lshl_b64 s[0:1], s[4:5], 2
	v_lshl_add_u64 v[16:17], v[16:17], 4, s[8:9]
	v_or_b32_e32 v34, 0x4000, v12
	s_cmp_eq_u32 s14, 0
	s_sub_nc_u64 s[16:17], s[16:17], s[24:25]
	s_add_nc_u64 s[26:27], s[6:7], s[0:1]
	s_cselect_b32 s12, -1, 0
	s_sub_nc_u64 s[18:19], s[18:19], s[24:25]
	s_wait_kmcnt 0x0
	v_add_nc_u64_e32 v[18:19], s[28:29], v[12:13]
	v_add_nc_u64_e32 v[20:21], s[30:31], v[14:15]
	s_add_nc_u64 s[28:29], s[20:21], s[24:25]
	s_mov_b64 s[30:31], s[16:17]
	s_delay_alu instid0(SALU_CYCLE_1) | instskip(NEXT) | instid1(SALU_CYCLE_1)
	s_sub_co_i32 s0, s30, s16
	s_and_b32 s0, s0, 0x3ff
	s_delay_alu instid0(SALU_CYCLE_1)
	s_cmp_lg_u32 s0, 0
	s_cbranch_scc1 .LBB123_18
.LBB123_15:
	s_wait_loadcnt_dscnt 0x0
	v_mov_b64_e32 v[6:7], -1.0
	v_mov_b64_e32 v[8:9], 0
	v_mov_b64_e32 v[26:27], -1
	s_sub_nc_u64 s[34:35], s[18:19], s[30:31]
	s_mov_b32 s1, exec_lo
	v_cmpx_gt_i64_e64 s[34:35], v[0:1]
	s_cbranch_execz .LBB123_17
; %bb.16:
	v_lshl_add_u64 v[6:7], s[30:31], 3, v[18:19]
	global_load_b64 v[26:27], v[6:7], off
	s_wait_xcnt 0x0
	v_lshl_add_u64 v[6:7], s[30:31], 4, v[20:21]
	global_load_b128 v[6:9], v[6:7], off
	s_wait_loadcnt 0x1
	v_sub_nc_u64_e64 v[26:27], v[26:27], s[24:25]
.LBB123_17:
	s_wait_xcnt 0x0
	s_or_b32 exec_lo, exec_lo, s1
	ds_store_b64 v34, v[26:27]
	s_wait_loadcnt 0x0
	ds_store_b128 v14, v[6:9]
.LBB123_18:                             ; =>This Loop Header: Depth=1
                                        ;     Child Loop BB123_43 Depth 2
	s_lshl_b32 s1, s0, 4
	s_wait_storecnt 0x0
	s_wait_loadcnt_dscnt 0x0
	v_mov_b32_e32 v6, s1
	s_barrier_signal -1
	s_barrier_wait -1
	s_lshl_b32 s1, s0, 3
	ds_load_b128 v[26:29], v6
	v_mov_b32_e32 v6, s1
	ds_load_b64 v[6:7], v6 offset:16384
	s_wait_dscnt 0x1
	v_cmp_eq_f64_e32 vcc_lo, 0, v[26:27]
	v_cmp_eq_f64_e64 s0, 0, v[28:29]
	s_wait_dscnt 0x0
	v_readfirstlane_b32 s34, v6
	v_readfirstlane_b32 s35, v7
	s_and_b32 s1, vcc_lo, s0
	s_cmp_eq_u64 s[34:35], s[20:21]
	s_cselect_b32 s17, -1, 0
	s_cmp_lg_u64 s[34:35], s[20:21]
	s_cselect_b32 s0, -1, 0
	s_and_b32 s1, s1, s17
	s_delay_alu instid0(SALU_CYCLE_1) | instskip(NEXT) | instid1(SALU_CYCLE_1)
	s_and_b32 s1, s12, s1
	v_cndmask_b32_e64 v7, v29, 0, s1
	v_cndmask_b32_e64 v6, v28, 0, s1
	;; [unrolled: 1-line block ×4, first 2 shown]
	s_and_b32 s15, s3, s1
	s_delay_alu instid0(SALU_CYCLE_1)
	s_and_saveexec_b32 s1, s15
	s_cbranch_execz .LBB123_22
; %bb.19:                               ;   in Loop: Header=BB123_18 Depth=1
	v_mbcnt_lo_u32_b32 v6, exec_lo, 0
	s_mov_b32 s15, exec_lo
	s_delay_alu instid0(VALU_DEP_1)
	v_cmpx_eq_u32_e32 0, v6
	s_cbranch_execz .LBB123_21
; %bb.20:                               ;   in Loop: Header=BB123_18 Depth=1
	v_mov_b64_e32 v[6:7], s[28:29]
	global_atomic_min_u64 v13, v[6:7], s[22:23] scope:SCOPE_DEV
.LBB123_21:                             ;   in Loop: Header=BB123_18 Depth=1
	s_wait_xcnt 0x0
	s_or_b32 exec_lo, exec_lo, s15
	v_mov_b64_e32 v[8:9], 1.0
	v_mov_b64_e32 v[6:7], 0
.LBB123_22:                             ;   in Loop: Header=BB123_18 Depth=1
	s_or_b32 exec_lo, exec_lo, s1
	s_mov_b32 s33, -1
	s_mov_b32 s1, 0
	s_cmp_lt_i32 s13, 1
	s_mov_b32 s15, 0
                                        ; implicit-def: $vgpr26_vgpr27
                                        ; implicit-def: $vgpr28_vgpr29
	s_cbranch_scc0 .LBB123_29
; %bb.23:                               ;   in Loop: Header=BB123_18 Depth=1
	s_and_b32 vcc_lo, exec_lo, s33
	s_mov_b32 s17, 4
	s_cbranch_vccnz .LBB123_36
.LBB123_24:                             ;   in Loop: Header=BB123_18 Depth=1
	v_mov_b64_e32 v[32:33], v[4:5]
	v_mov_b64_e32 v[30:31], v[2:3]
	s_and_b32 vcc_lo, exec_lo, s15
	s_cbranch_vccnz .LBB123_41
.LBB123_25:                             ;   in Loop: Header=BB123_18 Depth=1
	s_and_b32 vcc_lo, exec_lo, s1
	s_cbranch_vccnz .LBB123_47
.LBB123_26:                             ;   in Loop: Header=BB123_18 Depth=1
	s_mov_b32 s0, -1
	s_cmp_gt_i32 s17, 3
	s_mov_b32 s1, -1
	s_cbranch_scc0 .LBB123_50
.LBB123_27:                             ;   in Loop: Header=BB123_18 Depth=1
	s_and_not1_b32 vcc_lo, exec_lo, s1
	s_cbranch_vccz .LBB123_51
.LBB123_28:                             ;   in Loop: Header=BB123_18 Depth=1
	s_delay_alu instid0(VALU_DEP_1) | instskip(NEXT) | instid1(VALU_DEP_2)
	v_mov_b64_e32 v[4:5], v[32:33]
	v_mov_b64_e32 v[2:3], v[30:31]
	s_and_not1_b32 vcc_lo, exec_lo, s0
	s_cbranch_vccnz .LBB123_52
	s_branch .LBB123_54
.LBB123_29:                             ;   in Loop: Header=BB123_18 Depth=1
	s_cmp_eq_u32 s13, 1
	s_mov_b32 s15, -1
                                        ; implicit-def: $vgpr26_vgpr27
                                        ; implicit-def: $vgpr28_vgpr29
	s_cbranch_scc0 .LBB123_35
; %bb.30:                               ;   in Loop: Header=BB123_18 Depth=1
	v_cmp_ge_i64_e64 s15, s[34:35], s[20:21]
	v_mov_b64_e32 v[26:27], v[24:25]
	v_mov_b64_e32 v[28:29], v[22:23]
	s_and_b32 vcc_lo, exec_lo, s15
	s_mov_b32 s15, 0
	s_cbranch_vccz .LBB123_35
; %bb.31:                               ;   in Loop: Header=BB123_18 Depth=1
	s_and_b32 vcc_lo, exec_lo, s17
	s_mov_b32 s15, -1
                                        ; implicit-def: $vgpr26_vgpr27
                                        ; implicit-def: $vgpr28_vgpr29
	s_cbranch_vccz .LBB123_35
; %bb.32:                               ;   in Loop: Header=BB123_18 Depth=1
	v_mov_b64_e32 v[26:27], v[24:25]
	v_mov_b64_e32 v[28:29], v[22:23]
	s_and_not1_b32 vcc_lo, exec_lo, s12
	s_cbranch_vccnz .LBB123_34
; %bb.33:                               ;   in Loop: Header=BB123_18 Depth=1
	v_mul_f64_e32 v[26:27], v[6:7], v[6:7]
	s_delay_alu instid0(VALU_DEP_1) | instskip(NEXT) | instid1(VALU_DEP_1)
	v_fmac_f64_e32 v[26:27], v[8:9], v[8:9]
	v_div_scale_f64 v[28:29], null, v[26:27], v[26:27], 1.0
	v_div_scale_f64 v[36:37], vcc_lo, 1.0, v[26:27], 1.0
	s_delay_alu instid0(VALU_DEP_2) | instskip(SKIP_1) | instid1(TRANS32_DEP_1)
	v_rcp_f64_e32 v[30:31], v[28:29]
	v_nop
	v_fma_f64 v[32:33], -v[28:29], v[30:31], 1.0
	s_delay_alu instid0(VALU_DEP_1) | instskip(NEXT) | instid1(VALU_DEP_1)
	v_fmac_f64_e32 v[30:31], v[30:31], v[32:33]
	v_fma_f64 v[32:33], -v[28:29], v[30:31], 1.0
	s_delay_alu instid0(VALU_DEP_1) | instskip(NEXT) | instid1(VALU_DEP_1)
	v_fmac_f64_e32 v[30:31], v[30:31], v[32:33]
	v_mul_f64_e32 v[32:33], v[36:37], v[30:31]
	s_delay_alu instid0(VALU_DEP_1) | instskip(NEXT) | instid1(VALU_DEP_1)
	v_fma_f64 v[28:29], -v[28:29], v[32:33], v[36:37]
	v_div_fmas_f64 v[28:29], v[28:29], v[30:31], v[32:33]
	v_fma_f64 v[30:31], 0, v[6:7], v[8:9]
	v_fma_f64 v[32:33], v[8:9], 0, -v[6:7]
	s_delay_alu instid0(VALU_DEP_3) | instskip(NEXT) | instid1(VALU_DEP_1)
	v_div_fixup_f64 v[26:27], v[28:29], v[26:27], 1.0
	v_mul_f64_e32 v[28:29], v[30:31], v[26:27]
	s_delay_alu instid0(VALU_DEP_3)
	v_mul_f64_e32 v[26:27], v[32:33], v[26:27]
.LBB123_34:                             ;   in Loop: Header=BB123_18 Depth=1
	s_mov_b32 s15, 0
.LBB123_35:                             ;   in Loop: Header=BB123_18 Depth=1
	s_mov_b32 s17, 4
	s_branch .LBB123_24
.LBB123_36:                             ;   in Loop: Header=BB123_18 Depth=1
	s_cmp_eq_u32 s13, 0
	s_cbranch_scc1 .LBB123_38
; %bb.37:                               ;   in Loop: Header=BB123_18 Depth=1
	s_mov_b32 s15, -1
	s_branch .LBB123_40
.LBB123_38:                             ;   in Loop: Header=BB123_18 Depth=1
	v_cmp_le_i64_e64 s15, s[34:35], s[20:21]
	s_and_b32 vcc_lo, exec_lo, s15
	s_mov_b32 s15, 0
	s_cbranch_vccz .LBB123_40
; %bb.39:                               ;   in Loop: Header=BB123_18 Depth=1
	s_mov_b32 s1, -1
	s_mov_b32 s15, s0
.LBB123_40:                             ;   in Loop: Header=BB123_18 Depth=1
	v_mov_b64_e32 v[26:27], v[24:25]
	v_mov_b64_e32 v[28:29], v[22:23]
	s_mov_b32 s17, 2
	v_mov_b64_e32 v[32:33], v[4:5]
	v_mov_b64_e32 v[30:31], v[2:3]
	s_and_b32 vcc_lo, exec_lo, s15
	s_cbranch_vccz .LBB123_25
.LBB123_41:                             ;   in Loop: Header=BB123_18 Depth=1
	s_and_saveexec_b32 s15, s3
	s_cbranch_execz .LBB123_44
; %bb.42:                               ;   in Loop: Header=BB123_18 Depth=1
	s_lshl_b64 s[0:1], s[34:35], 2
	s_delay_alu instid0(SALU_CYCLE_1)
	s_add_nc_u64 s[0:1], s[26:27], s[0:1]
	global_load_b32 v12, v13, s[0:1] scope:SCOPE_DEV
	s_wait_loadcnt 0x0
	v_cmp_ne_u32_e32 vcc_lo, 0, v12
	s_cbranch_vccnz .LBB123_44
.LBB123_43:                             ;   Parent Loop BB123_18 Depth=1
                                        ; =>  This Inner Loop Header: Depth=2
	global_load_b32 v12, v13, s[0:1] scope:SCOPE_DEV
	s_wait_loadcnt 0x0
	v_cmp_eq_u32_e32 vcc_lo, 0, v12
	s_cbranch_vccnz .LBB123_43
.LBB123_44:                             ;   in Loop: Header=BB123_18 Depth=1
	s_wait_xcnt 0x0
	s_or_b32 exec_lo, exec_lo, s15
	v_mov_b64_e32 v[32:33], 0
	v_mov_b64_e32 v[30:31], 0
	s_wait_storecnt 0x0
	s_barrier_signal -1
	s_barrier_wait -1
	global_inv scope:SCOPE_DEV
	s_and_saveexec_b32 s0, s2
	s_cbranch_execz .LBB123_46
; %bb.45:                               ;   in Loop: Header=BB123_18 Depth=1
	s_mul_u64 s[34:35], s[34:35], s[10:11]
	s_delay_alu instid0(SALU_CYCLE_1) | instskip(SKIP_4) | instid1(VALU_DEP_2)
	v_lshl_add_u64 v[26:27], s[34:35], 4, v[16:17]
	global_load_b128 v[26:29], v[26:27], off
	s_wait_loadcnt 0x0
	v_fma_f64 v[30:31], -v[8:9], v[26:27], v[2:3]
	v_fma_f64 v[26:27], -v[6:7], v[26:27], v[4:5]
	v_fmac_f64_e32 v[30:31], v[6:7], v[28:29]
	s_delay_alu instid0(VALU_DEP_2)
	v_fma_f64 v[32:33], -v[8:9], v[28:29], v[26:27]
.LBB123_46:                             ;   in Loop: Header=BB123_18 Depth=1
	s_or_b32 exec_lo, exec_lo, s0
	v_mov_b64_e32 v[26:27], v[24:25]
	v_mov_b64_e32 v[28:29], v[22:23]
	s_mov_b32 s17, 0
	s_branch .LBB123_26
.LBB123_47:                             ;   in Loop: Header=BB123_18 Depth=1
	s_and_not1_b32 vcc_lo, exec_lo, s12
	s_cbranch_vccnz .LBB123_49
; %bb.48:                               ;   in Loop: Header=BB123_18 Depth=1
	v_mul_f64_e32 v[22:23], v[6:7], v[6:7]
	s_delay_alu instid0(VALU_DEP_1) | instskip(NEXT) | instid1(VALU_DEP_1)
	v_fmac_f64_e32 v[22:23], v[8:9], v[8:9]
	v_div_scale_f64 v[24:25], null, v[22:23], v[22:23], 1.0
	v_div_scale_f64 v[30:31], vcc_lo, 1.0, v[22:23], 1.0
	s_delay_alu instid0(VALU_DEP_2) | instskip(SKIP_1) | instid1(TRANS32_DEP_1)
	v_rcp_f64_e32 v[26:27], v[24:25]
	v_nop
	v_fma_f64 v[28:29], -v[24:25], v[26:27], 1.0
	s_delay_alu instid0(VALU_DEP_1) | instskip(NEXT) | instid1(VALU_DEP_1)
	v_fmac_f64_e32 v[26:27], v[26:27], v[28:29]
	v_fma_f64 v[28:29], -v[24:25], v[26:27], 1.0
	s_delay_alu instid0(VALU_DEP_1) | instskip(NEXT) | instid1(VALU_DEP_1)
	v_fmac_f64_e32 v[26:27], v[26:27], v[28:29]
	v_mul_f64_e32 v[28:29], v[30:31], v[26:27]
	s_delay_alu instid0(VALU_DEP_1) | instskip(NEXT) | instid1(VALU_DEP_1)
	v_fma_f64 v[24:25], -v[24:25], v[28:29], v[30:31]
	v_div_fmas_f64 v[24:25], v[24:25], v[26:27], v[28:29]
	v_fma_f64 v[26:27], 0, v[6:7], v[8:9]
	v_fma_f64 v[6:7], v[8:9], 0, -v[6:7]
	s_delay_alu instid0(VALU_DEP_3) | instskip(NEXT) | instid1(VALU_DEP_1)
	v_div_fixup_f64 v[24:25], v[24:25], v[22:23], 1.0
	v_mul_f64_e32 v[22:23], v[26:27], v[24:25]
	s_delay_alu instid0(VALU_DEP_3)
	v_mul_f64_e32 v[24:25], v[6:7], v[24:25]
.LBB123_49:                             ;   in Loop: Header=BB123_18 Depth=1
	s_delay_alu instid0(VALU_DEP_2) | instskip(NEXT) | instid1(VALU_DEP_2)
	v_mov_b64_e32 v[28:29], v[22:23]
	v_mov_b64_e32 v[26:27], v[24:25]
	;; [unrolled: 1-line block ×4, first 2 shown]
	s_mov_b32 s17, 2
	s_mov_b32 s0, -1
	s_cmp_gt_i32 s17, 3
	s_mov_b32 s1, -1
	s_cbranch_scc1 .LBB123_27
.LBB123_50:                             ;   in Loop: Header=BB123_18 Depth=1
	s_cmp_eq_u32 s17, 0
	s_cselect_b32 s1, -1, 0
	s_delay_alu instid0(SALU_CYCLE_1)
	s_and_not1_b32 vcc_lo, exec_lo, s1
	s_cbranch_vccnz .LBB123_28
.LBB123_51:                             ;   in Loop: Header=BB123_18 Depth=1
	s_add_nc_u64 s[30:31], s[30:31], 1
	s_delay_alu instid0(SALU_CYCLE_1) | instskip(NEXT) | instid1(VALU_DEP_2)
	v_cmp_ge_i64_e64 s0, s[30:31], s[18:19]
	v_mov_b64_e32 v[4:5], v[32:33]
	s_delay_alu instid0(VALU_DEP_3)
	v_mov_b64_e32 v[2:3], v[30:31]
	s_and_not1_b32 vcc_lo, exec_lo, s0
	s_cbranch_vccz .LBB123_54
.LBB123_52:                             ;   in Loop: Header=BB123_18 Depth=1
	s_delay_alu instid0(VALU_DEP_4) | instskip(NEXT) | instid1(VALU_DEP_4)
	v_mov_b64_e32 v[24:25], v[26:27]
	v_mov_b64_e32 v[22:23], v[28:29]
	s_sub_co_i32 s0, s30, s16
	s_delay_alu instid0(SALU_CYCLE_1) | instskip(NEXT) | instid1(SALU_CYCLE_1)
	s_and_b32 s0, s0, 0x3ff
	s_cmp_lg_u32 s0, 0
	s_cbranch_scc1 .LBB123_18
	s_branch .LBB123_15
.LBB123_53:
	v_mov_b64_e32 v[28:29], 1.0
	v_mov_b64_e32 v[26:27], 0
.LBB123_54:
	s_cmp_lg_u32 s14, 0
	s_cbranch_scc0 .LBB123_61
; %bb.55:
	s_and_saveexec_b32 s0, s2
	s_cbranch_execz .LBB123_57
.LBB123_56:
	s_wait_loadcnt_dscnt 0x0
	v_lshl_add_u64 v[6:7], v[10:11], 4, s[8:9]
	global_store_b128 v[6:7], v[2:5], off
.LBB123_57:
	s_wait_xcnt 0x0
	s_or_b32 exec_lo, exec_lo, s0
	global_wb scope:SCOPE_DEV
	s_wait_storecnt 0x0
	s_wait_loadcnt_dscnt 0x0
	global_inv scope:SCOPE_DEV
	s_wait_loadcnt 0x0
	s_barrier_signal -1
	s_barrier_wait -1
	s_mov_b32 s0, exec_lo
	v_cmpx_eq_u32_e32 0, v0
	s_cbranch_execz .LBB123_59
; %bb.58:
	s_lshl_b64 s[0:1], s[20:21], 2
	v_dual_mov_b32 v0, 0 :: v_dual_mov_b32 v1, 1
	s_add_nc_u64 s[0:1], s[6:7], s[0:1]
	s_lshl_b64 s[2:3], s[4:5], 2
	s_delay_alu instid0(SALU_CYCLE_1)
	s_add_nc_u64 s[0:1], s[0:1], s[2:3]
	global_store_b32 v0, v1, s[0:1] scope:SCOPE_DEV
.LBB123_59:
	s_endpgm
.LBB123_60:
                                        ; implicit-def: $sgpr18_sgpr19
	s_clause 0x1
	s_load_b64 s[8:9], s[0:1], 0x58
	s_load_b64 s[16:17], s[0:1], 0x28
	s_branch .LBB123_4
.LBB123_61:
	s_wait_loadcnt_dscnt 0x0
	s_delay_alu instid0(VALU_DEP_1) | instskip(SKIP_1) | instid1(VALU_DEP_2)
	v_mul_f64_e64 v[6:7], v[26:27], -v[4:5]
	v_mul_f64_e32 v[8:9], v[26:27], v[2:3]
	v_fmac_f64_e32 v[6:7], v[2:3], v[28:29]
	s_delay_alu instid0(VALU_DEP_2) | instskip(NEXT) | instid1(VALU_DEP_2)
	v_fmac_f64_e32 v[8:9], v[4:5], v[28:29]
	v_mov_b64_e32 v[2:3], v[6:7]
	s_delay_alu instid0(VALU_DEP_2)
	v_mov_b64_e32 v[4:5], v[8:9]
	s_and_saveexec_b32 s0, s2
	s_cbranch_execnz .LBB123_56
	s_branch .LBB123_57
	.section	.rodata,"a",@progbits
	.p2align	6, 0x0
	.amdhsa_kernel _ZN9rocsparseL5csrsmILj1024ELj64ELb0Ell21rocsparse_complex_numIdEEEv20rocsparse_operation_T3_S4_NS_24const_host_device_scalarIT4_EEPKT2_PKS4_PKS6_PS6_lPiSC_PS4_21rocsparse_index_base_20rocsparse_fill_mode_20rocsparse_diag_type_b
		.amdhsa_group_segment_fixed_size 24576
		.amdhsa_private_segment_fixed_size 16
		.amdhsa_kernarg_size 120
		.amdhsa_user_sgpr_count 2
		.amdhsa_user_sgpr_dispatch_ptr 0
		.amdhsa_user_sgpr_queue_ptr 0
		.amdhsa_user_sgpr_kernarg_segment_ptr 1
		.amdhsa_user_sgpr_dispatch_id 0
		.amdhsa_user_sgpr_kernarg_preload_length 0
		.amdhsa_user_sgpr_kernarg_preload_offset 0
		.amdhsa_user_sgpr_private_segment_size 0
		.amdhsa_wavefront_size32 1
		.amdhsa_uses_dynamic_stack 0
		.amdhsa_enable_private_segment 1
		.amdhsa_system_sgpr_workgroup_id_x 1
		.amdhsa_system_sgpr_workgroup_id_y 0
		.amdhsa_system_sgpr_workgroup_id_z 0
		.amdhsa_system_sgpr_workgroup_info 0
		.amdhsa_system_vgpr_workitem_id 0
		.amdhsa_next_free_vgpr 38
		.amdhsa_next_free_sgpr 36
		.amdhsa_named_barrier_count 0
		.amdhsa_reserve_vcc 1
		.amdhsa_float_round_mode_32 0
		.amdhsa_float_round_mode_16_64 0
		.amdhsa_float_denorm_mode_32 3
		.amdhsa_float_denorm_mode_16_64 3
		.amdhsa_fp16_overflow 0
		.amdhsa_memory_ordered 1
		.amdhsa_forward_progress 1
		.amdhsa_inst_pref_size 22
		.amdhsa_round_robin_scheduling 0
		.amdhsa_exception_fp_ieee_invalid_op 0
		.amdhsa_exception_fp_denorm_src 0
		.amdhsa_exception_fp_ieee_div_zero 0
		.amdhsa_exception_fp_ieee_overflow 0
		.amdhsa_exception_fp_ieee_underflow 0
		.amdhsa_exception_fp_ieee_inexact 0
		.amdhsa_exception_int_div_zero 0
	.end_amdhsa_kernel
	.section	.text._ZN9rocsparseL5csrsmILj1024ELj64ELb0Ell21rocsparse_complex_numIdEEEv20rocsparse_operation_T3_S4_NS_24const_host_device_scalarIT4_EEPKT2_PKS4_PKS6_PS6_lPiSC_PS4_21rocsparse_index_base_20rocsparse_fill_mode_20rocsparse_diag_type_b,"axG",@progbits,_ZN9rocsparseL5csrsmILj1024ELj64ELb0Ell21rocsparse_complex_numIdEEEv20rocsparse_operation_T3_S4_NS_24const_host_device_scalarIT4_EEPKT2_PKS4_PKS6_PS6_lPiSC_PS4_21rocsparse_index_base_20rocsparse_fill_mode_20rocsparse_diag_type_b,comdat
.Lfunc_end123:
	.size	_ZN9rocsparseL5csrsmILj1024ELj64ELb0Ell21rocsparse_complex_numIdEEEv20rocsparse_operation_T3_S4_NS_24const_host_device_scalarIT4_EEPKT2_PKS4_PKS6_PS6_lPiSC_PS4_21rocsparse_index_base_20rocsparse_fill_mode_20rocsparse_diag_type_b, .Lfunc_end123-_ZN9rocsparseL5csrsmILj1024ELj64ELb0Ell21rocsparse_complex_numIdEEEv20rocsparse_operation_T3_S4_NS_24const_host_device_scalarIT4_EEPKT2_PKS4_PKS6_PS6_lPiSC_PS4_21rocsparse_index_base_20rocsparse_fill_mode_20rocsparse_diag_type_b
                                        ; -- End function
	.set _ZN9rocsparseL5csrsmILj1024ELj64ELb0Ell21rocsparse_complex_numIdEEEv20rocsparse_operation_T3_S4_NS_24const_host_device_scalarIT4_EEPKT2_PKS4_PKS6_PS6_lPiSC_PS4_21rocsparse_index_base_20rocsparse_fill_mode_20rocsparse_diag_type_b.num_vgpr, 38
	.set _ZN9rocsparseL5csrsmILj1024ELj64ELb0Ell21rocsparse_complex_numIdEEEv20rocsparse_operation_T3_S4_NS_24const_host_device_scalarIT4_EEPKT2_PKS4_PKS6_PS6_lPiSC_PS4_21rocsparse_index_base_20rocsparse_fill_mode_20rocsparse_diag_type_b.num_agpr, 0
	.set _ZN9rocsparseL5csrsmILj1024ELj64ELb0Ell21rocsparse_complex_numIdEEEv20rocsparse_operation_T3_S4_NS_24const_host_device_scalarIT4_EEPKT2_PKS4_PKS6_PS6_lPiSC_PS4_21rocsparse_index_base_20rocsparse_fill_mode_20rocsparse_diag_type_b.numbered_sgpr, 36
	.set _ZN9rocsparseL5csrsmILj1024ELj64ELb0Ell21rocsparse_complex_numIdEEEv20rocsparse_operation_T3_S4_NS_24const_host_device_scalarIT4_EEPKT2_PKS4_PKS6_PS6_lPiSC_PS4_21rocsparse_index_base_20rocsparse_fill_mode_20rocsparse_diag_type_b.num_named_barrier, 0
	.set _ZN9rocsparseL5csrsmILj1024ELj64ELb0Ell21rocsparse_complex_numIdEEEv20rocsparse_operation_T3_S4_NS_24const_host_device_scalarIT4_EEPKT2_PKS4_PKS6_PS6_lPiSC_PS4_21rocsparse_index_base_20rocsparse_fill_mode_20rocsparse_diag_type_b.private_seg_size, 16
	.set _ZN9rocsparseL5csrsmILj1024ELj64ELb0Ell21rocsparse_complex_numIdEEEv20rocsparse_operation_T3_S4_NS_24const_host_device_scalarIT4_EEPKT2_PKS4_PKS6_PS6_lPiSC_PS4_21rocsparse_index_base_20rocsparse_fill_mode_20rocsparse_diag_type_b.uses_vcc, 1
	.set _ZN9rocsparseL5csrsmILj1024ELj64ELb0Ell21rocsparse_complex_numIdEEEv20rocsparse_operation_T3_S4_NS_24const_host_device_scalarIT4_EEPKT2_PKS4_PKS6_PS6_lPiSC_PS4_21rocsparse_index_base_20rocsparse_fill_mode_20rocsparse_diag_type_b.uses_flat_scratch, 0
	.set _ZN9rocsparseL5csrsmILj1024ELj64ELb0Ell21rocsparse_complex_numIdEEEv20rocsparse_operation_T3_S4_NS_24const_host_device_scalarIT4_EEPKT2_PKS4_PKS6_PS6_lPiSC_PS4_21rocsparse_index_base_20rocsparse_fill_mode_20rocsparse_diag_type_b.has_dyn_sized_stack, 0
	.set _ZN9rocsparseL5csrsmILj1024ELj64ELb0Ell21rocsparse_complex_numIdEEEv20rocsparse_operation_T3_S4_NS_24const_host_device_scalarIT4_EEPKT2_PKS4_PKS6_PS6_lPiSC_PS4_21rocsparse_index_base_20rocsparse_fill_mode_20rocsparse_diag_type_b.has_recursion, 0
	.set _ZN9rocsparseL5csrsmILj1024ELj64ELb0Ell21rocsparse_complex_numIdEEEv20rocsparse_operation_T3_S4_NS_24const_host_device_scalarIT4_EEPKT2_PKS4_PKS6_PS6_lPiSC_PS4_21rocsparse_index_base_20rocsparse_fill_mode_20rocsparse_diag_type_b.has_indirect_call, 0
	.section	.AMDGPU.csdata,"",@progbits
; Kernel info:
; codeLenInByte = 2748
; TotalNumSgprs: 38
; NumVgprs: 38
; ScratchSize: 16
; MemoryBound: 1
; FloatMode: 240
; IeeeMode: 1
; LDSByteSize: 24576 bytes/workgroup (compile time only)
; SGPRBlocks: 0
; VGPRBlocks: 2
; NumSGPRsForWavesPerEU: 38
; NumVGPRsForWavesPerEU: 38
; NamedBarCnt: 0
; Occupancy: 16
; WaveLimiterHint : 1
; COMPUTE_PGM_RSRC2:SCRATCH_EN: 1
; COMPUTE_PGM_RSRC2:USER_SGPR: 2
; COMPUTE_PGM_RSRC2:TRAP_HANDLER: 0
; COMPUTE_PGM_RSRC2:TGID_X_EN: 1
; COMPUTE_PGM_RSRC2:TGID_Y_EN: 0
; COMPUTE_PGM_RSRC2:TGID_Z_EN: 0
; COMPUTE_PGM_RSRC2:TIDIG_COMP_CNT: 0
	.section	.AMDGPU.gpr_maximums,"",@progbits
	.set amdgpu.max_num_vgpr, 0
	.set amdgpu.max_num_agpr, 0
	.set amdgpu.max_num_sgpr, 0
	.section	.AMDGPU.csdata,"",@progbits
	.type	__hip_cuid_544383f2550890d1,@object ; @__hip_cuid_544383f2550890d1
	.section	.bss,"aw",@nobits
	.globl	__hip_cuid_544383f2550890d1
__hip_cuid_544383f2550890d1:
	.byte	0                               ; 0x0
	.size	__hip_cuid_544383f2550890d1, 1

	.ident	"AMD clang version 22.0.0git (https://github.com/RadeonOpenCompute/llvm-project roc-7.2.4 26084 f58b06dce1f9c15707c5f808fd002e18c2accf7e)"
	.section	".note.GNU-stack","",@progbits
	.addrsig
	.addrsig_sym __hip_cuid_544383f2550890d1
	.amdgpu_metadata
---
amdhsa.kernels:
  - .args:
      - .offset:         0
        .size:           8
        .value_kind:     by_value
      - .address_space:  global
        .offset:         8
        .size:           8
        .value_kind:     global_buffer
      - .offset:         16
        .size:           8
        .value_kind:     by_value
      - .address_space:  global
        .offset:         24
        .size:           8
        .value_kind:     global_buffer
    .group_segment_fixed_size: 0
    .kernarg_segment_align: 8
    .kernarg_segment_size: 32
    .language:       OpenCL C
    .language_version:
      - 2
      - 0
    .max_flat_workgroup_size: 1024
    .name:           _ZN9rocsparseL23csrsm_solve_copy_y_to_BILj1024EfEEvlPT0_lPKS1_
    .private_segment_fixed_size: 0
    .sgpr_count:     12
    .sgpr_spill_count: 0
    .symbol:         _ZN9rocsparseL23csrsm_solve_copy_y_to_BILj1024EfEEvlPT0_lPKS1_.kd
    .uniform_work_group_size: 1
    .uses_dynamic_stack: false
    .vgpr_count:     4
    .vgpr_spill_count: 0
    .wavefront_size: 32
  - .args:
      - .offset:         0
        .size:           4
        .value_kind:     by_value
      - .offset:         4
        .size:           4
        .value_kind:     by_value
      - .offset:         8
        .size:           4
        .value_kind:     by_value
      - .offset:         16
        .size:           8
        .value_kind:     by_value
      - .actual_access:  read_only
        .address_space:  global
        .offset:         24
        .size:           8
        .value_kind:     global_buffer
      - .actual_access:  read_only
        .address_space:  global
        .offset:         32
        .size:           8
        .value_kind:     global_buffer
      - .actual_access:  read_only
        .address_space:  global
        .offset:         40
        .size:           8
        .value_kind:     global_buffer
      - .address_space:  global
        .offset:         48
        .size:           8
        .value_kind:     global_buffer
      - .offset:         56
        .size:           8
        .value_kind:     by_value
      - .address_space:  global
        .offset:         64
        .size:           8
        .value_kind:     global_buffer
      - .actual_access:  read_only
        .address_space:  global
        .offset:         72
        .size:           8
        .value_kind:     global_buffer
      - .address_space:  global
        .offset:         80
        .size:           8
        .value_kind:     global_buffer
      - .offset:         88
        .size:           4
        .value_kind:     by_value
      - .offset:         92
        .size:           4
        .value_kind:     by_value
      - .offset:         96
        .size:           4
        .value_kind:     by_value
      - .offset:         100
        .size:           1
        .value_kind:     by_value
    .group_segment_fixed_size: 512
    .kernarg_segment_align: 8
    .kernarg_segment_size: 104
    .language:       OpenCL C
    .language_version:
      - 2
      - 0
    .max_flat_workgroup_size: 64
    .name:           _ZN9rocsparseL5csrsmILj64ELj64ELb1EiifEEv20rocsparse_operation_T3_S2_NS_24const_host_device_scalarIT4_EEPKT2_PKS2_PKS4_PS4_lPiSA_PS2_21rocsparse_index_base_20rocsparse_fill_mode_20rocsparse_diag_type_b
    .private_segment_fixed_size: 0
    .sgpr_count:     34
    .sgpr_spill_count: 0
    .symbol:         _ZN9rocsparseL5csrsmILj64ELj64ELb1EiifEEv20rocsparse_operation_T3_S2_NS_24const_host_device_scalarIT4_EEPKT2_PKS2_PKS4_PS4_lPiSA_PS2_21rocsparse_index_base_20rocsparse_fill_mode_20rocsparse_diag_type_b.kd
    .uniform_work_group_size: 1
    .uses_dynamic_stack: false
    .vgpr_count:     14
    .vgpr_spill_count: 0
    .wavefront_size: 32
  - .args:
      - .offset:         0
        .size:           4
        .value_kind:     by_value
      - .offset:         4
        .size:           4
        .value_kind:     by_value
      - .offset:         8
        .size:           4
        .value_kind:     by_value
      - .offset:         16
        .size:           8
        .value_kind:     by_value
      - .actual_access:  read_only
        .address_space:  global
        .offset:         24
        .size:           8
        .value_kind:     global_buffer
      - .actual_access:  read_only
        .address_space:  global
        .offset:         32
        .size:           8
        .value_kind:     global_buffer
      - .actual_access:  read_only
        .address_space:  global
        .offset:         40
        .size:           8
        .value_kind:     global_buffer
      - .address_space:  global
        .offset:         48
        .size:           8
        .value_kind:     global_buffer
      - .offset:         56
        .size:           8
        .value_kind:     by_value
      - .address_space:  global
        .offset:         64
        .size:           8
        .value_kind:     global_buffer
      - .actual_access:  read_only
        .address_space:  global
        .offset:         72
        .size:           8
        .value_kind:     global_buffer
      - .address_space:  global
        .offset:         80
        .size:           8
        .value_kind:     global_buffer
      - .offset:         88
        .size:           4
        .value_kind:     by_value
      - .offset:         92
        .size:           4
        .value_kind:     by_value
      - .offset:         96
        .size:           4
        .value_kind:     by_value
      - .offset:         100
        .size:           1
        .value_kind:     by_value
    .group_segment_fixed_size: 512
    .kernarg_segment_align: 8
    .kernarg_segment_size: 104
    .language:       OpenCL C
    .language_version:
      - 2
      - 0
    .max_flat_workgroup_size: 64
    .name:           _ZN9rocsparseL5csrsmILj64ELj64ELb0EiifEEv20rocsparse_operation_T3_S2_NS_24const_host_device_scalarIT4_EEPKT2_PKS2_PKS4_PS4_lPiSA_PS2_21rocsparse_index_base_20rocsparse_fill_mode_20rocsparse_diag_type_b
    .private_segment_fixed_size: 0
    .sgpr_count:     32
    .sgpr_spill_count: 0
    .symbol:         _ZN9rocsparseL5csrsmILj64ELj64ELb0EiifEEv20rocsparse_operation_T3_S2_NS_24const_host_device_scalarIT4_EEPKT2_PKS2_PKS4_PS4_lPiSA_PS2_21rocsparse_index_base_20rocsparse_fill_mode_20rocsparse_diag_type_b.kd
    .uniform_work_group_size: 1
    .uses_dynamic_stack: false
    .vgpr_count:     14
    .vgpr_spill_count: 0
    .wavefront_size: 32
  - .args:
      - .offset:         0
        .size:           4
        .value_kind:     by_value
      - .offset:         4
        .size:           4
        .value_kind:     by_value
      - .offset:         8
        .size:           4
        .value_kind:     by_value
      - .offset:         16
        .size:           8
        .value_kind:     by_value
      - .actual_access:  read_only
        .address_space:  global
        .offset:         24
        .size:           8
        .value_kind:     global_buffer
      - .actual_access:  read_only
        .address_space:  global
        .offset:         32
        .size:           8
        .value_kind:     global_buffer
      - .actual_access:  read_only
        .address_space:  global
        .offset:         40
        .size:           8
        .value_kind:     global_buffer
      - .address_space:  global
        .offset:         48
        .size:           8
        .value_kind:     global_buffer
      - .offset:         56
        .size:           8
        .value_kind:     by_value
      - .address_space:  global
        .offset:         64
        .size:           8
        .value_kind:     global_buffer
      - .actual_access:  read_only
        .address_space:  global
        .offset:         72
        .size:           8
        .value_kind:     global_buffer
      - .address_space:  global
        .offset:         80
        .size:           8
        .value_kind:     global_buffer
      - .offset:         88
        .size:           4
        .value_kind:     by_value
      - .offset:         92
        .size:           4
        .value_kind:     by_value
      - .offset:         96
        .size:           4
        .value_kind:     by_value
      - .offset:         100
        .size:           1
        .value_kind:     by_value
    .group_segment_fixed_size: 1024
    .kernarg_segment_align: 8
    .kernarg_segment_size: 104
    .language:       OpenCL C
    .language_version:
      - 2
      - 0
    .max_flat_workgroup_size: 128
    .name:           _ZN9rocsparseL5csrsmILj128ELj64ELb1EiifEEv20rocsparse_operation_T3_S2_NS_24const_host_device_scalarIT4_EEPKT2_PKS2_PKS4_PS4_lPiSA_PS2_21rocsparse_index_base_20rocsparse_fill_mode_20rocsparse_diag_type_b
    .private_segment_fixed_size: 0
    .sgpr_count:     34
    .sgpr_spill_count: 0
    .symbol:         _ZN9rocsparseL5csrsmILj128ELj64ELb1EiifEEv20rocsparse_operation_T3_S2_NS_24const_host_device_scalarIT4_EEPKT2_PKS2_PKS4_PS4_lPiSA_PS2_21rocsparse_index_base_20rocsparse_fill_mode_20rocsparse_diag_type_b.kd
    .uniform_work_group_size: 1
    .uses_dynamic_stack: false
    .vgpr_count:     14
    .vgpr_spill_count: 0
    .wavefront_size: 32
  - .args:
      - .offset:         0
        .size:           4
        .value_kind:     by_value
      - .offset:         4
        .size:           4
        .value_kind:     by_value
      - .offset:         8
        .size:           4
        .value_kind:     by_value
      - .offset:         16
        .size:           8
        .value_kind:     by_value
      - .actual_access:  read_only
        .address_space:  global
        .offset:         24
        .size:           8
        .value_kind:     global_buffer
      - .actual_access:  read_only
        .address_space:  global
        .offset:         32
        .size:           8
        .value_kind:     global_buffer
      - .actual_access:  read_only
        .address_space:  global
        .offset:         40
        .size:           8
        .value_kind:     global_buffer
      - .address_space:  global
        .offset:         48
        .size:           8
        .value_kind:     global_buffer
      - .offset:         56
        .size:           8
        .value_kind:     by_value
      - .address_space:  global
        .offset:         64
        .size:           8
        .value_kind:     global_buffer
      - .actual_access:  read_only
        .address_space:  global
        .offset:         72
        .size:           8
        .value_kind:     global_buffer
      - .address_space:  global
        .offset:         80
        .size:           8
        .value_kind:     global_buffer
      - .offset:         88
        .size:           4
        .value_kind:     by_value
      - .offset:         92
        .size:           4
        .value_kind:     by_value
      - .offset:         96
        .size:           4
        .value_kind:     by_value
      - .offset:         100
        .size:           1
        .value_kind:     by_value
    .group_segment_fixed_size: 1024
    .kernarg_segment_align: 8
    .kernarg_segment_size: 104
    .language:       OpenCL C
    .language_version:
      - 2
      - 0
    .max_flat_workgroup_size: 128
    .name:           _ZN9rocsparseL5csrsmILj128ELj64ELb0EiifEEv20rocsparse_operation_T3_S2_NS_24const_host_device_scalarIT4_EEPKT2_PKS2_PKS4_PS4_lPiSA_PS2_21rocsparse_index_base_20rocsparse_fill_mode_20rocsparse_diag_type_b
    .private_segment_fixed_size: 0
    .sgpr_count:     32
    .sgpr_spill_count: 0
    .symbol:         _ZN9rocsparseL5csrsmILj128ELj64ELb0EiifEEv20rocsparse_operation_T3_S2_NS_24const_host_device_scalarIT4_EEPKT2_PKS2_PKS4_PS4_lPiSA_PS2_21rocsparse_index_base_20rocsparse_fill_mode_20rocsparse_diag_type_b.kd
    .uniform_work_group_size: 1
    .uses_dynamic_stack: false
    .vgpr_count:     14
    .vgpr_spill_count: 0
    .wavefront_size: 32
  - .args:
      - .offset:         0
        .size:           4
        .value_kind:     by_value
      - .offset:         4
        .size:           4
        .value_kind:     by_value
      - .offset:         8
        .size:           4
        .value_kind:     by_value
      - .offset:         16
        .size:           8
        .value_kind:     by_value
      - .actual_access:  read_only
        .address_space:  global
        .offset:         24
        .size:           8
        .value_kind:     global_buffer
      - .actual_access:  read_only
        .address_space:  global
        .offset:         32
        .size:           8
        .value_kind:     global_buffer
      - .actual_access:  read_only
        .address_space:  global
        .offset:         40
        .size:           8
        .value_kind:     global_buffer
      - .address_space:  global
        .offset:         48
        .size:           8
        .value_kind:     global_buffer
      - .offset:         56
        .size:           8
        .value_kind:     by_value
      - .address_space:  global
        .offset:         64
        .size:           8
        .value_kind:     global_buffer
      - .actual_access:  read_only
        .address_space:  global
        .offset:         72
        .size:           8
        .value_kind:     global_buffer
      - .address_space:  global
        .offset:         80
        .size:           8
        .value_kind:     global_buffer
      - .offset:         88
        .size:           4
        .value_kind:     by_value
      - .offset:         92
        .size:           4
        .value_kind:     by_value
      - .offset:         96
        .size:           4
        .value_kind:     by_value
      - .offset:         100
        .size:           1
        .value_kind:     by_value
    .group_segment_fixed_size: 2048
    .kernarg_segment_align: 8
    .kernarg_segment_size: 104
    .language:       OpenCL C
    .language_version:
      - 2
      - 0
    .max_flat_workgroup_size: 256
    .name:           _ZN9rocsparseL5csrsmILj256ELj64ELb1EiifEEv20rocsparse_operation_T3_S2_NS_24const_host_device_scalarIT4_EEPKT2_PKS2_PKS4_PS4_lPiSA_PS2_21rocsparse_index_base_20rocsparse_fill_mode_20rocsparse_diag_type_b
    .private_segment_fixed_size: 0
    .sgpr_count:     34
    .sgpr_spill_count: 0
    .symbol:         _ZN9rocsparseL5csrsmILj256ELj64ELb1EiifEEv20rocsparse_operation_T3_S2_NS_24const_host_device_scalarIT4_EEPKT2_PKS2_PKS4_PS4_lPiSA_PS2_21rocsparse_index_base_20rocsparse_fill_mode_20rocsparse_diag_type_b.kd
    .uniform_work_group_size: 1
    .uses_dynamic_stack: false
    .vgpr_count:     14
    .vgpr_spill_count: 0
    .wavefront_size: 32
  - .args:
      - .offset:         0
        .size:           4
        .value_kind:     by_value
      - .offset:         4
        .size:           4
        .value_kind:     by_value
      - .offset:         8
        .size:           4
        .value_kind:     by_value
      - .offset:         16
        .size:           8
        .value_kind:     by_value
      - .actual_access:  read_only
        .address_space:  global
        .offset:         24
        .size:           8
        .value_kind:     global_buffer
      - .actual_access:  read_only
        .address_space:  global
        .offset:         32
        .size:           8
        .value_kind:     global_buffer
      - .actual_access:  read_only
        .address_space:  global
        .offset:         40
        .size:           8
        .value_kind:     global_buffer
      - .address_space:  global
        .offset:         48
        .size:           8
        .value_kind:     global_buffer
      - .offset:         56
        .size:           8
        .value_kind:     by_value
      - .address_space:  global
        .offset:         64
        .size:           8
        .value_kind:     global_buffer
      - .actual_access:  read_only
        .address_space:  global
        .offset:         72
        .size:           8
        .value_kind:     global_buffer
      - .address_space:  global
        .offset:         80
        .size:           8
        .value_kind:     global_buffer
      - .offset:         88
        .size:           4
        .value_kind:     by_value
      - .offset:         92
        .size:           4
        .value_kind:     by_value
      - .offset:         96
        .size:           4
        .value_kind:     by_value
      - .offset:         100
        .size:           1
        .value_kind:     by_value
    .group_segment_fixed_size: 2048
    .kernarg_segment_align: 8
    .kernarg_segment_size: 104
    .language:       OpenCL C
    .language_version:
      - 2
      - 0
    .max_flat_workgroup_size: 256
    .name:           _ZN9rocsparseL5csrsmILj256ELj64ELb0EiifEEv20rocsparse_operation_T3_S2_NS_24const_host_device_scalarIT4_EEPKT2_PKS2_PKS4_PS4_lPiSA_PS2_21rocsparse_index_base_20rocsparse_fill_mode_20rocsparse_diag_type_b
    .private_segment_fixed_size: 0
    .sgpr_count:     32
    .sgpr_spill_count: 0
    .symbol:         _ZN9rocsparseL5csrsmILj256ELj64ELb0EiifEEv20rocsparse_operation_T3_S2_NS_24const_host_device_scalarIT4_EEPKT2_PKS2_PKS4_PS4_lPiSA_PS2_21rocsparse_index_base_20rocsparse_fill_mode_20rocsparse_diag_type_b.kd
    .uniform_work_group_size: 1
    .uses_dynamic_stack: false
    .vgpr_count:     14
    .vgpr_spill_count: 0
    .wavefront_size: 32
  - .args:
      - .offset:         0
        .size:           4
        .value_kind:     by_value
      - .offset:         4
        .size:           4
        .value_kind:     by_value
      - .offset:         8
        .size:           4
        .value_kind:     by_value
      - .offset:         16
        .size:           8
        .value_kind:     by_value
      - .actual_access:  read_only
        .address_space:  global
        .offset:         24
        .size:           8
        .value_kind:     global_buffer
      - .actual_access:  read_only
        .address_space:  global
        .offset:         32
        .size:           8
        .value_kind:     global_buffer
      - .actual_access:  read_only
        .address_space:  global
        .offset:         40
        .size:           8
        .value_kind:     global_buffer
      - .address_space:  global
        .offset:         48
        .size:           8
        .value_kind:     global_buffer
      - .offset:         56
        .size:           8
        .value_kind:     by_value
      - .address_space:  global
        .offset:         64
        .size:           8
        .value_kind:     global_buffer
      - .actual_access:  read_only
        .address_space:  global
        .offset:         72
        .size:           8
        .value_kind:     global_buffer
      - .address_space:  global
        .offset:         80
        .size:           8
        .value_kind:     global_buffer
      - .offset:         88
        .size:           4
        .value_kind:     by_value
      - .offset:         92
        .size:           4
        .value_kind:     by_value
      - .offset:         96
        .size:           4
        .value_kind:     by_value
      - .offset:         100
        .size:           1
        .value_kind:     by_value
    .group_segment_fixed_size: 4096
    .kernarg_segment_align: 8
    .kernarg_segment_size: 104
    .language:       OpenCL C
    .language_version:
      - 2
      - 0
    .max_flat_workgroup_size: 512
    .name:           _ZN9rocsparseL5csrsmILj512ELj64ELb1EiifEEv20rocsparse_operation_T3_S2_NS_24const_host_device_scalarIT4_EEPKT2_PKS2_PKS4_PS4_lPiSA_PS2_21rocsparse_index_base_20rocsparse_fill_mode_20rocsparse_diag_type_b
    .private_segment_fixed_size: 0
    .sgpr_count:     34
    .sgpr_spill_count: 0
    .symbol:         _ZN9rocsparseL5csrsmILj512ELj64ELb1EiifEEv20rocsparse_operation_T3_S2_NS_24const_host_device_scalarIT4_EEPKT2_PKS2_PKS4_PS4_lPiSA_PS2_21rocsparse_index_base_20rocsparse_fill_mode_20rocsparse_diag_type_b.kd
    .uniform_work_group_size: 1
    .uses_dynamic_stack: false
    .vgpr_count:     14
    .vgpr_spill_count: 0
    .wavefront_size: 32
  - .args:
      - .offset:         0
        .size:           4
        .value_kind:     by_value
      - .offset:         4
        .size:           4
        .value_kind:     by_value
      - .offset:         8
        .size:           4
        .value_kind:     by_value
      - .offset:         16
        .size:           8
        .value_kind:     by_value
      - .actual_access:  read_only
        .address_space:  global
        .offset:         24
        .size:           8
        .value_kind:     global_buffer
      - .actual_access:  read_only
        .address_space:  global
        .offset:         32
        .size:           8
        .value_kind:     global_buffer
      - .actual_access:  read_only
        .address_space:  global
        .offset:         40
        .size:           8
        .value_kind:     global_buffer
      - .address_space:  global
        .offset:         48
        .size:           8
        .value_kind:     global_buffer
      - .offset:         56
        .size:           8
        .value_kind:     by_value
      - .address_space:  global
        .offset:         64
        .size:           8
        .value_kind:     global_buffer
      - .actual_access:  read_only
        .address_space:  global
        .offset:         72
        .size:           8
        .value_kind:     global_buffer
      - .address_space:  global
        .offset:         80
        .size:           8
        .value_kind:     global_buffer
      - .offset:         88
        .size:           4
        .value_kind:     by_value
      - .offset:         92
        .size:           4
        .value_kind:     by_value
      - .offset:         96
        .size:           4
        .value_kind:     by_value
      - .offset:         100
        .size:           1
        .value_kind:     by_value
    .group_segment_fixed_size: 4096
    .kernarg_segment_align: 8
    .kernarg_segment_size: 104
    .language:       OpenCL C
    .language_version:
      - 2
      - 0
    .max_flat_workgroup_size: 512
    .name:           _ZN9rocsparseL5csrsmILj512ELj64ELb0EiifEEv20rocsparse_operation_T3_S2_NS_24const_host_device_scalarIT4_EEPKT2_PKS2_PKS4_PS4_lPiSA_PS2_21rocsparse_index_base_20rocsparse_fill_mode_20rocsparse_diag_type_b
    .private_segment_fixed_size: 0
    .sgpr_count:     32
    .sgpr_spill_count: 0
    .symbol:         _ZN9rocsparseL5csrsmILj512ELj64ELb0EiifEEv20rocsparse_operation_T3_S2_NS_24const_host_device_scalarIT4_EEPKT2_PKS2_PKS4_PS4_lPiSA_PS2_21rocsparse_index_base_20rocsparse_fill_mode_20rocsparse_diag_type_b.kd
    .uniform_work_group_size: 1
    .uses_dynamic_stack: false
    .vgpr_count:     14
    .vgpr_spill_count: 0
    .wavefront_size: 32
  - .args:
      - .offset:         0
        .size:           4
        .value_kind:     by_value
      - .offset:         4
        .size:           4
        .value_kind:     by_value
      - .offset:         8
        .size:           4
        .value_kind:     by_value
      - .offset:         16
        .size:           8
        .value_kind:     by_value
      - .actual_access:  read_only
        .address_space:  global
        .offset:         24
        .size:           8
        .value_kind:     global_buffer
      - .actual_access:  read_only
        .address_space:  global
        .offset:         32
        .size:           8
        .value_kind:     global_buffer
      - .actual_access:  read_only
        .address_space:  global
        .offset:         40
        .size:           8
        .value_kind:     global_buffer
      - .address_space:  global
        .offset:         48
        .size:           8
        .value_kind:     global_buffer
      - .offset:         56
        .size:           8
        .value_kind:     by_value
      - .address_space:  global
        .offset:         64
        .size:           8
        .value_kind:     global_buffer
      - .actual_access:  read_only
        .address_space:  global
        .offset:         72
        .size:           8
        .value_kind:     global_buffer
      - .address_space:  global
        .offset:         80
        .size:           8
        .value_kind:     global_buffer
      - .offset:         88
        .size:           4
        .value_kind:     by_value
      - .offset:         92
        .size:           4
        .value_kind:     by_value
      - .offset:         96
        .size:           4
        .value_kind:     by_value
      - .offset:         100
        .size:           1
        .value_kind:     by_value
    .group_segment_fixed_size: 8192
    .kernarg_segment_align: 8
    .kernarg_segment_size: 104
    .language:       OpenCL C
    .language_version:
      - 2
      - 0
    .max_flat_workgroup_size: 1024
    .name:           _ZN9rocsparseL5csrsmILj1024ELj64ELb1EiifEEv20rocsparse_operation_T3_S2_NS_24const_host_device_scalarIT4_EEPKT2_PKS2_PKS4_PS4_lPiSA_PS2_21rocsparse_index_base_20rocsparse_fill_mode_20rocsparse_diag_type_b
    .private_segment_fixed_size: 0
    .sgpr_count:     34
    .sgpr_spill_count: 0
    .symbol:         _ZN9rocsparseL5csrsmILj1024ELj64ELb1EiifEEv20rocsparse_operation_T3_S2_NS_24const_host_device_scalarIT4_EEPKT2_PKS2_PKS4_PS4_lPiSA_PS2_21rocsparse_index_base_20rocsparse_fill_mode_20rocsparse_diag_type_b.kd
    .uniform_work_group_size: 1
    .uses_dynamic_stack: false
    .vgpr_count:     14
    .vgpr_spill_count: 0
    .wavefront_size: 32
  - .args:
      - .offset:         0
        .size:           4
        .value_kind:     by_value
      - .offset:         4
        .size:           4
        .value_kind:     by_value
      - .offset:         8
        .size:           4
        .value_kind:     by_value
      - .offset:         16
        .size:           8
        .value_kind:     by_value
      - .actual_access:  read_only
        .address_space:  global
        .offset:         24
        .size:           8
        .value_kind:     global_buffer
      - .actual_access:  read_only
        .address_space:  global
        .offset:         32
        .size:           8
        .value_kind:     global_buffer
      - .actual_access:  read_only
        .address_space:  global
        .offset:         40
        .size:           8
        .value_kind:     global_buffer
      - .address_space:  global
        .offset:         48
        .size:           8
        .value_kind:     global_buffer
      - .offset:         56
        .size:           8
        .value_kind:     by_value
      - .address_space:  global
        .offset:         64
        .size:           8
        .value_kind:     global_buffer
      - .actual_access:  read_only
        .address_space:  global
        .offset:         72
        .size:           8
        .value_kind:     global_buffer
      - .address_space:  global
        .offset:         80
        .size:           8
        .value_kind:     global_buffer
      - .offset:         88
        .size:           4
        .value_kind:     by_value
      - .offset:         92
        .size:           4
        .value_kind:     by_value
      - .offset:         96
        .size:           4
        .value_kind:     by_value
      - .offset:         100
        .size:           1
        .value_kind:     by_value
    .group_segment_fixed_size: 8192
    .kernarg_segment_align: 8
    .kernarg_segment_size: 104
    .language:       OpenCL C
    .language_version:
      - 2
      - 0
    .max_flat_workgroup_size: 1024
    .name:           _ZN9rocsparseL5csrsmILj1024ELj64ELb0EiifEEv20rocsparse_operation_T3_S2_NS_24const_host_device_scalarIT4_EEPKT2_PKS2_PKS4_PS4_lPiSA_PS2_21rocsparse_index_base_20rocsparse_fill_mode_20rocsparse_diag_type_b
    .private_segment_fixed_size: 0
    .sgpr_count:     32
    .sgpr_spill_count: 0
    .symbol:         _ZN9rocsparseL5csrsmILj1024ELj64ELb0EiifEEv20rocsparse_operation_T3_S2_NS_24const_host_device_scalarIT4_EEPKT2_PKS2_PKS4_PS4_lPiSA_PS2_21rocsparse_index_base_20rocsparse_fill_mode_20rocsparse_diag_type_b.kd
    .uniform_work_group_size: 1
    .uses_dynamic_stack: false
    .vgpr_count:     14
    .vgpr_spill_count: 0
    .wavefront_size: 32
  - .args:
      - .offset:         0
        .size:           8
        .value_kind:     by_value
      - .address_space:  global
        .offset:         8
        .size:           8
        .value_kind:     global_buffer
      - .offset:         16
        .size:           8
        .value_kind:     by_value
      - .address_space:  global
        .offset:         24
        .size:           8
        .value_kind:     global_buffer
    .group_segment_fixed_size: 0
    .kernarg_segment_align: 8
    .kernarg_segment_size: 32
    .language:       OpenCL C
    .language_version:
      - 2
      - 0
    .max_flat_workgroup_size: 1024
    .name:           _ZN9rocsparseL23csrsm_solve_copy_y_to_BILj1024EdEEvlPT0_lPKS1_
    .private_segment_fixed_size: 0
    .sgpr_count:     12
    .sgpr_spill_count: 0
    .symbol:         _ZN9rocsparseL23csrsm_solve_copy_y_to_BILj1024EdEEvlPT0_lPKS1_.kd
    .uniform_work_group_size: 1
    .uses_dynamic_stack: false
    .vgpr_count:     4
    .vgpr_spill_count: 0
    .wavefront_size: 32
  - .args:
      - .offset:         0
        .size:           4
        .value_kind:     by_value
      - .offset:         4
        .size:           4
        .value_kind:     by_value
      - .offset:         8
        .size:           4
        .value_kind:     by_value
      - .offset:         16
        .size:           8
        .value_kind:     by_value
      - .actual_access:  read_only
        .address_space:  global
        .offset:         24
        .size:           8
        .value_kind:     global_buffer
      - .actual_access:  read_only
        .address_space:  global
        .offset:         32
        .size:           8
        .value_kind:     global_buffer
      - .actual_access:  read_only
        .address_space:  global
        .offset:         40
        .size:           8
        .value_kind:     global_buffer
      - .address_space:  global
        .offset:         48
        .size:           8
        .value_kind:     global_buffer
      - .offset:         56
        .size:           8
        .value_kind:     by_value
      - .address_space:  global
        .offset:         64
        .size:           8
        .value_kind:     global_buffer
      - .actual_access:  read_only
        .address_space:  global
        .offset:         72
        .size:           8
        .value_kind:     global_buffer
      - .address_space:  global
        .offset:         80
        .size:           8
        .value_kind:     global_buffer
      - .offset:         88
        .size:           4
        .value_kind:     by_value
      - .offset:         92
        .size:           4
        .value_kind:     by_value
      - .offset:         96
        .size:           4
        .value_kind:     by_value
      - .offset:         100
        .size:           1
        .value_kind:     by_value
    .group_segment_fixed_size: 768
    .kernarg_segment_align: 8
    .kernarg_segment_size: 104
    .language:       OpenCL C
    .language_version:
      - 2
      - 0
    .max_flat_workgroup_size: 64
    .name:           _ZN9rocsparseL5csrsmILj64ELj64ELb1EiidEEv20rocsparse_operation_T3_S2_NS_24const_host_device_scalarIT4_EEPKT2_PKS2_PKS4_PS4_lPiSA_PS2_21rocsparse_index_base_20rocsparse_fill_mode_20rocsparse_diag_type_b
    .private_segment_fixed_size: 0
    .sgpr_count:     34
    .sgpr_spill_count: 0
    .symbol:         _ZN9rocsparseL5csrsmILj64ELj64ELb1EiidEEv20rocsparse_operation_T3_S2_NS_24const_host_device_scalarIT4_EEPKT2_PKS2_PKS4_PS4_lPiSA_PS2_21rocsparse_index_base_20rocsparse_fill_mode_20rocsparse_diag_type_b.kd
    .uniform_work_group_size: 1
    .uses_dynamic_stack: false
    .vgpr_count:     20
    .vgpr_spill_count: 0
    .wavefront_size: 32
  - .args:
      - .offset:         0
        .size:           4
        .value_kind:     by_value
      - .offset:         4
        .size:           4
        .value_kind:     by_value
      - .offset:         8
        .size:           4
        .value_kind:     by_value
      - .offset:         16
        .size:           8
        .value_kind:     by_value
      - .actual_access:  read_only
        .address_space:  global
        .offset:         24
        .size:           8
        .value_kind:     global_buffer
      - .actual_access:  read_only
        .address_space:  global
        .offset:         32
        .size:           8
        .value_kind:     global_buffer
      - .actual_access:  read_only
        .address_space:  global
        .offset:         40
        .size:           8
        .value_kind:     global_buffer
      - .address_space:  global
        .offset:         48
        .size:           8
        .value_kind:     global_buffer
      - .offset:         56
        .size:           8
        .value_kind:     by_value
      - .address_space:  global
        .offset:         64
        .size:           8
        .value_kind:     global_buffer
      - .actual_access:  read_only
        .address_space:  global
        .offset:         72
        .size:           8
        .value_kind:     global_buffer
      - .address_space:  global
        .offset:         80
        .size:           8
        .value_kind:     global_buffer
      - .offset:         88
        .size:           4
        .value_kind:     by_value
      - .offset:         92
        .size:           4
        .value_kind:     by_value
      - .offset:         96
        .size:           4
        .value_kind:     by_value
      - .offset:         100
        .size:           1
        .value_kind:     by_value
    .group_segment_fixed_size: 768
    .kernarg_segment_align: 8
    .kernarg_segment_size: 104
    .language:       OpenCL C
    .language_version:
      - 2
      - 0
    .max_flat_workgroup_size: 64
    .name:           _ZN9rocsparseL5csrsmILj64ELj64ELb0EiidEEv20rocsparse_operation_T3_S2_NS_24const_host_device_scalarIT4_EEPKT2_PKS2_PKS4_PS4_lPiSA_PS2_21rocsparse_index_base_20rocsparse_fill_mode_20rocsparse_diag_type_b
    .private_segment_fixed_size: 0
    .sgpr_count:     32
    .sgpr_spill_count: 0
    .symbol:         _ZN9rocsparseL5csrsmILj64ELj64ELb0EiidEEv20rocsparse_operation_T3_S2_NS_24const_host_device_scalarIT4_EEPKT2_PKS2_PKS4_PS4_lPiSA_PS2_21rocsparse_index_base_20rocsparse_fill_mode_20rocsparse_diag_type_b.kd
    .uniform_work_group_size: 1
    .uses_dynamic_stack: false
    .vgpr_count:     20
    .vgpr_spill_count: 0
    .wavefront_size: 32
  - .args:
      - .offset:         0
        .size:           4
        .value_kind:     by_value
      - .offset:         4
        .size:           4
        .value_kind:     by_value
      - .offset:         8
        .size:           4
        .value_kind:     by_value
      - .offset:         16
        .size:           8
        .value_kind:     by_value
      - .actual_access:  read_only
        .address_space:  global
        .offset:         24
        .size:           8
        .value_kind:     global_buffer
      - .actual_access:  read_only
        .address_space:  global
        .offset:         32
        .size:           8
        .value_kind:     global_buffer
      - .actual_access:  read_only
        .address_space:  global
        .offset:         40
        .size:           8
        .value_kind:     global_buffer
      - .address_space:  global
        .offset:         48
        .size:           8
        .value_kind:     global_buffer
      - .offset:         56
        .size:           8
        .value_kind:     by_value
      - .address_space:  global
        .offset:         64
        .size:           8
        .value_kind:     global_buffer
      - .actual_access:  read_only
        .address_space:  global
        .offset:         72
        .size:           8
        .value_kind:     global_buffer
      - .address_space:  global
        .offset:         80
        .size:           8
        .value_kind:     global_buffer
      - .offset:         88
        .size:           4
        .value_kind:     by_value
      - .offset:         92
        .size:           4
        .value_kind:     by_value
      - .offset:         96
        .size:           4
        .value_kind:     by_value
      - .offset:         100
        .size:           1
        .value_kind:     by_value
    .group_segment_fixed_size: 1536
    .kernarg_segment_align: 8
    .kernarg_segment_size: 104
    .language:       OpenCL C
    .language_version:
      - 2
      - 0
    .max_flat_workgroup_size: 128
    .name:           _ZN9rocsparseL5csrsmILj128ELj64ELb1EiidEEv20rocsparse_operation_T3_S2_NS_24const_host_device_scalarIT4_EEPKT2_PKS2_PKS4_PS4_lPiSA_PS2_21rocsparse_index_base_20rocsparse_fill_mode_20rocsparse_diag_type_b
    .private_segment_fixed_size: 0
    .sgpr_count:     34
    .sgpr_spill_count: 0
    .symbol:         _ZN9rocsparseL5csrsmILj128ELj64ELb1EiidEEv20rocsparse_operation_T3_S2_NS_24const_host_device_scalarIT4_EEPKT2_PKS2_PKS4_PS4_lPiSA_PS2_21rocsparse_index_base_20rocsparse_fill_mode_20rocsparse_diag_type_b.kd
    .uniform_work_group_size: 1
    .uses_dynamic_stack: false
    .vgpr_count:     20
    .vgpr_spill_count: 0
    .wavefront_size: 32
  - .args:
      - .offset:         0
        .size:           4
        .value_kind:     by_value
      - .offset:         4
        .size:           4
        .value_kind:     by_value
      - .offset:         8
        .size:           4
        .value_kind:     by_value
      - .offset:         16
        .size:           8
        .value_kind:     by_value
      - .actual_access:  read_only
        .address_space:  global
        .offset:         24
        .size:           8
        .value_kind:     global_buffer
      - .actual_access:  read_only
        .address_space:  global
        .offset:         32
        .size:           8
        .value_kind:     global_buffer
      - .actual_access:  read_only
        .address_space:  global
        .offset:         40
        .size:           8
        .value_kind:     global_buffer
      - .address_space:  global
        .offset:         48
        .size:           8
        .value_kind:     global_buffer
      - .offset:         56
        .size:           8
        .value_kind:     by_value
      - .address_space:  global
        .offset:         64
        .size:           8
        .value_kind:     global_buffer
      - .actual_access:  read_only
        .address_space:  global
        .offset:         72
        .size:           8
        .value_kind:     global_buffer
      - .address_space:  global
        .offset:         80
        .size:           8
        .value_kind:     global_buffer
      - .offset:         88
        .size:           4
        .value_kind:     by_value
      - .offset:         92
        .size:           4
        .value_kind:     by_value
      - .offset:         96
        .size:           4
        .value_kind:     by_value
      - .offset:         100
        .size:           1
        .value_kind:     by_value
    .group_segment_fixed_size: 1536
    .kernarg_segment_align: 8
    .kernarg_segment_size: 104
    .language:       OpenCL C
    .language_version:
      - 2
      - 0
    .max_flat_workgroup_size: 128
    .name:           _ZN9rocsparseL5csrsmILj128ELj64ELb0EiidEEv20rocsparse_operation_T3_S2_NS_24const_host_device_scalarIT4_EEPKT2_PKS2_PKS4_PS4_lPiSA_PS2_21rocsparse_index_base_20rocsparse_fill_mode_20rocsparse_diag_type_b
    .private_segment_fixed_size: 0
    .sgpr_count:     32
    .sgpr_spill_count: 0
    .symbol:         _ZN9rocsparseL5csrsmILj128ELj64ELb0EiidEEv20rocsparse_operation_T3_S2_NS_24const_host_device_scalarIT4_EEPKT2_PKS2_PKS4_PS4_lPiSA_PS2_21rocsparse_index_base_20rocsparse_fill_mode_20rocsparse_diag_type_b.kd
    .uniform_work_group_size: 1
    .uses_dynamic_stack: false
    .vgpr_count:     20
    .vgpr_spill_count: 0
    .wavefront_size: 32
  - .args:
      - .offset:         0
        .size:           4
        .value_kind:     by_value
      - .offset:         4
        .size:           4
        .value_kind:     by_value
      - .offset:         8
        .size:           4
        .value_kind:     by_value
      - .offset:         16
        .size:           8
        .value_kind:     by_value
      - .actual_access:  read_only
        .address_space:  global
        .offset:         24
        .size:           8
        .value_kind:     global_buffer
      - .actual_access:  read_only
        .address_space:  global
        .offset:         32
        .size:           8
        .value_kind:     global_buffer
      - .actual_access:  read_only
        .address_space:  global
        .offset:         40
        .size:           8
        .value_kind:     global_buffer
      - .address_space:  global
        .offset:         48
        .size:           8
        .value_kind:     global_buffer
      - .offset:         56
        .size:           8
        .value_kind:     by_value
      - .address_space:  global
        .offset:         64
        .size:           8
        .value_kind:     global_buffer
      - .actual_access:  read_only
        .address_space:  global
        .offset:         72
        .size:           8
        .value_kind:     global_buffer
      - .address_space:  global
        .offset:         80
        .size:           8
        .value_kind:     global_buffer
      - .offset:         88
        .size:           4
        .value_kind:     by_value
      - .offset:         92
        .size:           4
        .value_kind:     by_value
      - .offset:         96
        .size:           4
        .value_kind:     by_value
      - .offset:         100
        .size:           1
        .value_kind:     by_value
    .group_segment_fixed_size: 3072
    .kernarg_segment_align: 8
    .kernarg_segment_size: 104
    .language:       OpenCL C
    .language_version:
      - 2
      - 0
    .max_flat_workgroup_size: 256
    .name:           _ZN9rocsparseL5csrsmILj256ELj64ELb1EiidEEv20rocsparse_operation_T3_S2_NS_24const_host_device_scalarIT4_EEPKT2_PKS2_PKS4_PS4_lPiSA_PS2_21rocsparse_index_base_20rocsparse_fill_mode_20rocsparse_diag_type_b
    .private_segment_fixed_size: 0
    .sgpr_count:     34
    .sgpr_spill_count: 0
    .symbol:         _ZN9rocsparseL5csrsmILj256ELj64ELb1EiidEEv20rocsparse_operation_T3_S2_NS_24const_host_device_scalarIT4_EEPKT2_PKS2_PKS4_PS4_lPiSA_PS2_21rocsparse_index_base_20rocsparse_fill_mode_20rocsparse_diag_type_b.kd
    .uniform_work_group_size: 1
    .uses_dynamic_stack: false
    .vgpr_count:     20
    .vgpr_spill_count: 0
    .wavefront_size: 32
  - .args:
      - .offset:         0
        .size:           4
        .value_kind:     by_value
      - .offset:         4
        .size:           4
        .value_kind:     by_value
      - .offset:         8
        .size:           4
        .value_kind:     by_value
      - .offset:         16
        .size:           8
        .value_kind:     by_value
      - .actual_access:  read_only
        .address_space:  global
        .offset:         24
        .size:           8
        .value_kind:     global_buffer
      - .actual_access:  read_only
        .address_space:  global
        .offset:         32
        .size:           8
        .value_kind:     global_buffer
      - .actual_access:  read_only
        .address_space:  global
        .offset:         40
        .size:           8
        .value_kind:     global_buffer
      - .address_space:  global
        .offset:         48
        .size:           8
        .value_kind:     global_buffer
      - .offset:         56
        .size:           8
        .value_kind:     by_value
      - .address_space:  global
        .offset:         64
        .size:           8
        .value_kind:     global_buffer
      - .actual_access:  read_only
        .address_space:  global
        .offset:         72
        .size:           8
        .value_kind:     global_buffer
      - .address_space:  global
        .offset:         80
        .size:           8
        .value_kind:     global_buffer
      - .offset:         88
        .size:           4
        .value_kind:     by_value
      - .offset:         92
        .size:           4
        .value_kind:     by_value
      - .offset:         96
        .size:           4
        .value_kind:     by_value
      - .offset:         100
        .size:           1
        .value_kind:     by_value
    .group_segment_fixed_size: 3072
    .kernarg_segment_align: 8
    .kernarg_segment_size: 104
    .language:       OpenCL C
    .language_version:
      - 2
      - 0
    .max_flat_workgroup_size: 256
    .name:           _ZN9rocsparseL5csrsmILj256ELj64ELb0EiidEEv20rocsparse_operation_T3_S2_NS_24const_host_device_scalarIT4_EEPKT2_PKS2_PKS4_PS4_lPiSA_PS2_21rocsparse_index_base_20rocsparse_fill_mode_20rocsparse_diag_type_b
    .private_segment_fixed_size: 0
    .sgpr_count:     32
    .sgpr_spill_count: 0
    .symbol:         _ZN9rocsparseL5csrsmILj256ELj64ELb0EiidEEv20rocsparse_operation_T3_S2_NS_24const_host_device_scalarIT4_EEPKT2_PKS2_PKS4_PS4_lPiSA_PS2_21rocsparse_index_base_20rocsparse_fill_mode_20rocsparse_diag_type_b.kd
    .uniform_work_group_size: 1
    .uses_dynamic_stack: false
    .vgpr_count:     20
    .vgpr_spill_count: 0
    .wavefront_size: 32
  - .args:
      - .offset:         0
        .size:           4
        .value_kind:     by_value
      - .offset:         4
        .size:           4
        .value_kind:     by_value
      - .offset:         8
        .size:           4
        .value_kind:     by_value
      - .offset:         16
        .size:           8
        .value_kind:     by_value
      - .actual_access:  read_only
        .address_space:  global
        .offset:         24
        .size:           8
        .value_kind:     global_buffer
      - .actual_access:  read_only
        .address_space:  global
        .offset:         32
        .size:           8
        .value_kind:     global_buffer
      - .actual_access:  read_only
        .address_space:  global
        .offset:         40
        .size:           8
        .value_kind:     global_buffer
      - .address_space:  global
        .offset:         48
        .size:           8
        .value_kind:     global_buffer
      - .offset:         56
        .size:           8
        .value_kind:     by_value
      - .address_space:  global
        .offset:         64
        .size:           8
        .value_kind:     global_buffer
      - .actual_access:  read_only
        .address_space:  global
        .offset:         72
        .size:           8
        .value_kind:     global_buffer
      - .address_space:  global
        .offset:         80
        .size:           8
        .value_kind:     global_buffer
      - .offset:         88
        .size:           4
        .value_kind:     by_value
      - .offset:         92
        .size:           4
        .value_kind:     by_value
      - .offset:         96
        .size:           4
        .value_kind:     by_value
      - .offset:         100
        .size:           1
        .value_kind:     by_value
    .group_segment_fixed_size: 6144
    .kernarg_segment_align: 8
    .kernarg_segment_size: 104
    .language:       OpenCL C
    .language_version:
      - 2
      - 0
    .max_flat_workgroup_size: 512
    .name:           _ZN9rocsparseL5csrsmILj512ELj64ELb1EiidEEv20rocsparse_operation_T3_S2_NS_24const_host_device_scalarIT4_EEPKT2_PKS2_PKS4_PS4_lPiSA_PS2_21rocsparse_index_base_20rocsparse_fill_mode_20rocsparse_diag_type_b
    .private_segment_fixed_size: 0
    .sgpr_count:     34
    .sgpr_spill_count: 0
    .symbol:         _ZN9rocsparseL5csrsmILj512ELj64ELb1EiidEEv20rocsparse_operation_T3_S2_NS_24const_host_device_scalarIT4_EEPKT2_PKS2_PKS4_PS4_lPiSA_PS2_21rocsparse_index_base_20rocsparse_fill_mode_20rocsparse_diag_type_b.kd
    .uniform_work_group_size: 1
    .uses_dynamic_stack: false
    .vgpr_count:     20
    .vgpr_spill_count: 0
    .wavefront_size: 32
  - .args:
      - .offset:         0
        .size:           4
        .value_kind:     by_value
      - .offset:         4
        .size:           4
        .value_kind:     by_value
      - .offset:         8
        .size:           4
        .value_kind:     by_value
      - .offset:         16
        .size:           8
        .value_kind:     by_value
      - .actual_access:  read_only
        .address_space:  global
        .offset:         24
        .size:           8
        .value_kind:     global_buffer
      - .actual_access:  read_only
        .address_space:  global
        .offset:         32
        .size:           8
        .value_kind:     global_buffer
      - .actual_access:  read_only
        .address_space:  global
        .offset:         40
        .size:           8
        .value_kind:     global_buffer
      - .address_space:  global
        .offset:         48
        .size:           8
        .value_kind:     global_buffer
      - .offset:         56
        .size:           8
        .value_kind:     by_value
      - .address_space:  global
        .offset:         64
        .size:           8
        .value_kind:     global_buffer
      - .actual_access:  read_only
        .address_space:  global
        .offset:         72
        .size:           8
        .value_kind:     global_buffer
      - .address_space:  global
        .offset:         80
        .size:           8
        .value_kind:     global_buffer
      - .offset:         88
        .size:           4
        .value_kind:     by_value
      - .offset:         92
        .size:           4
        .value_kind:     by_value
      - .offset:         96
        .size:           4
        .value_kind:     by_value
      - .offset:         100
        .size:           1
        .value_kind:     by_value
    .group_segment_fixed_size: 6144
    .kernarg_segment_align: 8
    .kernarg_segment_size: 104
    .language:       OpenCL C
    .language_version:
      - 2
      - 0
    .max_flat_workgroup_size: 512
    .name:           _ZN9rocsparseL5csrsmILj512ELj64ELb0EiidEEv20rocsparse_operation_T3_S2_NS_24const_host_device_scalarIT4_EEPKT2_PKS2_PKS4_PS4_lPiSA_PS2_21rocsparse_index_base_20rocsparse_fill_mode_20rocsparse_diag_type_b
    .private_segment_fixed_size: 0
    .sgpr_count:     32
    .sgpr_spill_count: 0
    .symbol:         _ZN9rocsparseL5csrsmILj512ELj64ELb0EiidEEv20rocsparse_operation_T3_S2_NS_24const_host_device_scalarIT4_EEPKT2_PKS2_PKS4_PS4_lPiSA_PS2_21rocsparse_index_base_20rocsparse_fill_mode_20rocsparse_diag_type_b.kd
    .uniform_work_group_size: 1
    .uses_dynamic_stack: false
    .vgpr_count:     20
    .vgpr_spill_count: 0
    .wavefront_size: 32
  - .args:
      - .offset:         0
        .size:           4
        .value_kind:     by_value
      - .offset:         4
        .size:           4
        .value_kind:     by_value
      - .offset:         8
        .size:           4
        .value_kind:     by_value
      - .offset:         16
        .size:           8
        .value_kind:     by_value
      - .actual_access:  read_only
        .address_space:  global
        .offset:         24
        .size:           8
        .value_kind:     global_buffer
      - .actual_access:  read_only
        .address_space:  global
        .offset:         32
        .size:           8
        .value_kind:     global_buffer
      - .actual_access:  read_only
        .address_space:  global
        .offset:         40
        .size:           8
        .value_kind:     global_buffer
      - .address_space:  global
        .offset:         48
        .size:           8
        .value_kind:     global_buffer
      - .offset:         56
        .size:           8
        .value_kind:     by_value
      - .address_space:  global
        .offset:         64
        .size:           8
        .value_kind:     global_buffer
      - .actual_access:  read_only
        .address_space:  global
        .offset:         72
        .size:           8
        .value_kind:     global_buffer
      - .address_space:  global
        .offset:         80
        .size:           8
        .value_kind:     global_buffer
      - .offset:         88
        .size:           4
        .value_kind:     by_value
      - .offset:         92
        .size:           4
        .value_kind:     by_value
      - .offset:         96
        .size:           4
        .value_kind:     by_value
      - .offset:         100
        .size:           1
        .value_kind:     by_value
    .group_segment_fixed_size: 12288
    .kernarg_segment_align: 8
    .kernarg_segment_size: 104
    .language:       OpenCL C
    .language_version:
      - 2
      - 0
    .max_flat_workgroup_size: 1024
    .name:           _ZN9rocsparseL5csrsmILj1024ELj64ELb1EiidEEv20rocsparse_operation_T3_S2_NS_24const_host_device_scalarIT4_EEPKT2_PKS2_PKS4_PS4_lPiSA_PS2_21rocsparse_index_base_20rocsparse_fill_mode_20rocsparse_diag_type_b
    .private_segment_fixed_size: 0
    .sgpr_count:     34
    .sgpr_spill_count: 0
    .symbol:         _ZN9rocsparseL5csrsmILj1024ELj64ELb1EiidEEv20rocsparse_operation_T3_S2_NS_24const_host_device_scalarIT4_EEPKT2_PKS2_PKS4_PS4_lPiSA_PS2_21rocsparse_index_base_20rocsparse_fill_mode_20rocsparse_diag_type_b.kd
    .uniform_work_group_size: 1
    .uses_dynamic_stack: false
    .vgpr_count:     20
    .vgpr_spill_count: 0
    .wavefront_size: 32
  - .args:
      - .offset:         0
        .size:           4
        .value_kind:     by_value
      - .offset:         4
        .size:           4
        .value_kind:     by_value
      - .offset:         8
        .size:           4
        .value_kind:     by_value
      - .offset:         16
        .size:           8
        .value_kind:     by_value
      - .actual_access:  read_only
        .address_space:  global
        .offset:         24
        .size:           8
        .value_kind:     global_buffer
      - .actual_access:  read_only
        .address_space:  global
        .offset:         32
        .size:           8
        .value_kind:     global_buffer
      - .actual_access:  read_only
        .address_space:  global
        .offset:         40
        .size:           8
        .value_kind:     global_buffer
      - .address_space:  global
        .offset:         48
        .size:           8
        .value_kind:     global_buffer
      - .offset:         56
        .size:           8
        .value_kind:     by_value
      - .address_space:  global
        .offset:         64
        .size:           8
        .value_kind:     global_buffer
      - .actual_access:  read_only
        .address_space:  global
        .offset:         72
        .size:           8
        .value_kind:     global_buffer
      - .address_space:  global
        .offset:         80
        .size:           8
        .value_kind:     global_buffer
      - .offset:         88
        .size:           4
        .value_kind:     by_value
      - .offset:         92
        .size:           4
        .value_kind:     by_value
      - .offset:         96
        .size:           4
        .value_kind:     by_value
      - .offset:         100
        .size:           1
        .value_kind:     by_value
    .group_segment_fixed_size: 12288
    .kernarg_segment_align: 8
    .kernarg_segment_size: 104
    .language:       OpenCL C
    .language_version:
      - 2
      - 0
    .max_flat_workgroup_size: 1024
    .name:           _ZN9rocsparseL5csrsmILj1024ELj64ELb0EiidEEv20rocsparse_operation_T3_S2_NS_24const_host_device_scalarIT4_EEPKT2_PKS2_PKS4_PS4_lPiSA_PS2_21rocsparse_index_base_20rocsparse_fill_mode_20rocsparse_diag_type_b
    .private_segment_fixed_size: 0
    .sgpr_count:     32
    .sgpr_spill_count: 0
    .symbol:         _ZN9rocsparseL5csrsmILj1024ELj64ELb0EiidEEv20rocsparse_operation_T3_S2_NS_24const_host_device_scalarIT4_EEPKT2_PKS2_PKS4_PS4_lPiSA_PS2_21rocsparse_index_base_20rocsparse_fill_mode_20rocsparse_diag_type_b.kd
    .uniform_work_group_size: 1
    .uses_dynamic_stack: false
    .vgpr_count:     20
    .vgpr_spill_count: 0
    .wavefront_size: 32
  - .args:
      - .offset:         0
        .size:           8
        .value_kind:     by_value
      - .address_space:  global
        .offset:         8
        .size:           8
        .value_kind:     global_buffer
      - .offset:         16
        .size:           8
        .value_kind:     by_value
      - .address_space:  global
        .offset:         24
        .size:           8
        .value_kind:     global_buffer
    .group_segment_fixed_size: 0
    .kernarg_segment_align: 8
    .kernarg_segment_size: 32
    .language:       OpenCL C
    .language_version:
      - 2
      - 0
    .max_flat_workgroup_size: 1024
    .name:           _ZN9rocsparseL23csrsm_solve_copy_y_to_BILj1024E21rocsparse_complex_numIfEEEvlPT0_lPKS3_
    .private_segment_fixed_size: 0
    .sgpr_count:     12
    .sgpr_spill_count: 0
    .symbol:         _ZN9rocsparseL23csrsm_solve_copy_y_to_BILj1024E21rocsparse_complex_numIfEEEvlPT0_lPKS3_.kd
    .uniform_work_group_size: 1
    .uses_dynamic_stack: false
    .vgpr_count:     4
    .vgpr_spill_count: 0
    .wavefront_size: 32
  - .args:
      - .offset:         0
        .size:           4
        .value_kind:     by_value
      - .offset:         4
        .size:           4
        .value_kind:     by_value
      - .offset:         8
        .size:           4
        .value_kind:     by_value
      - .offset:         16
        .size:           8
        .value_kind:     by_value
      - .actual_access:  read_only
        .address_space:  global
        .offset:         24
        .size:           8
        .value_kind:     global_buffer
      - .actual_access:  read_only
        .address_space:  global
        .offset:         32
        .size:           8
        .value_kind:     global_buffer
      - .actual_access:  read_only
        .address_space:  global
        .offset:         40
        .size:           8
        .value_kind:     global_buffer
      - .address_space:  global
        .offset:         48
        .size:           8
        .value_kind:     global_buffer
      - .offset:         56
        .size:           8
        .value_kind:     by_value
      - .address_space:  global
        .offset:         64
        .size:           8
        .value_kind:     global_buffer
      - .actual_access:  read_only
        .address_space:  global
        .offset:         72
        .size:           8
        .value_kind:     global_buffer
      - .address_space:  global
        .offset:         80
        .size:           8
        .value_kind:     global_buffer
      - .offset:         88
        .size:           4
        .value_kind:     by_value
      - .offset:         92
        .size:           4
        .value_kind:     by_value
      - .offset:         96
        .size:           4
        .value_kind:     by_value
      - .offset:         100
        .size:           1
        .value_kind:     by_value
    .group_segment_fixed_size: 768
    .kernarg_segment_align: 8
    .kernarg_segment_size: 104
    .language:       OpenCL C
    .language_version:
      - 2
      - 0
    .max_flat_workgroup_size: 64
    .name:           _ZN9rocsparseL5csrsmILj64ELj64ELb1Eii21rocsparse_complex_numIfEEEv20rocsparse_operation_T3_S4_NS_24const_host_device_scalarIT4_EEPKT2_PKS4_PKS6_PS6_lPiSC_PS4_21rocsparse_index_base_20rocsparse_fill_mode_20rocsparse_diag_type_b
    .private_segment_fixed_size: 0
    .sgpr_count:     33
    .sgpr_spill_count: 0
    .symbol:         _ZN9rocsparseL5csrsmILj64ELj64ELb1Eii21rocsparse_complex_numIfEEEv20rocsparse_operation_T3_S4_NS_24const_host_device_scalarIT4_EEPKT2_PKS4_PKS6_PS6_lPiSC_PS4_21rocsparse_index_base_20rocsparse_fill_mode_20rocsparse_diag_type_b.kd
    .uniform_work_group_size: 1
    .uses_dynamic_stack: false
    .vgpr_count:     22
    .vgpr_spill_count: 0
    .wavefront_size: 32
  - .args:
      - .offset:         0
        .size:           4
        .value_kind:     by_value
      - .offset:         4
        .size:           4
        .value_kind:     by_value
      - .offset:         8
        .size:           4
        .value_kind:     by_value
      - .offset:         16
        .size:           8
        .value_kind:     by_value
      - .actual_access:  read_only
        .address_space:  global
        .offset:         24
        .size:           8
        .value_kind:     global_buffer
      - .actual_access:  read_only
        .address_space:  global
        .offset:         32
        .size:           8
        .value_kind:     global_buffer
      - .actual_access:  read_only
        .address_space:  global
        .offset:         40
        .size:           8
        .value_kind:     global_buffer
      - .address_space:  global
        .offset:         48
        .size:           8
        .value_kind:     global_buffer
      - .offset:         56
        .size:           8
        .value_kind:     by_value
      - .address_space:  global
        .offset:         64
        .size:           8
        .value_kind:     global_buffer
      - .actual_access:  read_only
        .address_space:  global
        .offset:         72
        .size:           8
        .value_kind:     global_buffer
      - .address_space:  global
        .offset:         80
        .size:           8
        .value_kind:     global_buffer
      - .offset:         88
        .size:           4
        .value_kind:     by_value
      - .offset:         92
        .size:           4
        .value_kind:     by_value
      - .offset:         96
        .size:           4
        .value_kind:     by_value
      - .offset:         100
        .size:           1
        .value_kind:     by_value
    .group_segment_fixed_size: 768
    .kernarg_segment_align: 8
    .kernarg_segment_size: 104
    .language:       OpenCL C
    .language_version:
      - 2
      - 0
    .max_flat_workgroup_size: 64
    .name:           _ZN9rocsparseL5csrsmILj64ELj64ELb0Eii21rocsparse_complex_numIfEEEv20rocsparse_operation_T3_S4_NS_24const_host_device_scalarIT4_EEPKT2_PKS4_PKS6_PS6_lPiSC_PS4_21rocsparse_index_base_20rocsparse_fill_mode_20rocsparse_diag_type_b
    .private_segment_fixed_size: 0
    .sgpr_count:     33
    .sgpr_spill_count: 0
    .symbol:         _ZN9rocsparseL5csrsmILj64ELj64ELb0Eii21rocsparse_complex_numIfEEEv20rocsparse_operation_T3_S4_NS_24const_host_device_scalarIT4_EEPKT2_PKS4_PKS6_PS6_lPiSC_PS4_21rocsparse_index_base_20rocsparse_fill_mode_20rocsparse_diag_type_b.kd
    .uniform_work_group_size: 1
    .uses_dynamic_stack: false
    .vgpr_count:     22
    .vgpr_spill_count: 0
    .wavefront_size: 32
  - .args:
      - .offset:         0
        .size:           4
        .value_kind:     by_value
      - .offset:         4
        .size:           4
        .value_kind:     by_value
      - .offset:         8
        .size:           4
        .value_kind:     by_value
      - .offset:         16
        .size:           8
        .value_kind:     by_value
      - .actual_access:  read_only
        .address_space:  global
        .offset:         24
        .size:           8
        .value_kind:     global_buffer
      - .actual_access:  read_only
        .address_space:  global
        .offset:         32
        .size:           8
        .value_kind:     global_buffer
      - .actual_access:  read_only
        .address_space:  global
        .offset:         40
        .size:           8
        .value_kind:     global_buffer
      - .address_space:  global
        .offset:         48
        .size:           8
        .value_kind:     global_buffer
      - .offset:         56
        .size:           8
        .value_kind:     by_value
      - .address_space:  global
        .offset:         64
        .size:           8
        .value_kind:     global_buffer
      - .actual_access:  read_only
        .address_space:  global
        .offset:         72
        .size:           8
        .value_kind:     global_buffer
      - .address_space:  global
        .offset:         80
        .size:           8
        .value_kind:     global_buffer
      - .offset:         88
        .size:           4
        .value_kind:     by_value
      - .offset:         92
        .size:           4
        .value_kind:     by_value
      - .offset:         96
        .size:           4
        .value_kind:     by_value
      - .offset:         100
        .size:           1
        .value_kind:     by_value
    .group_segment_fixed_size: 1536
    .kernarg_segment_align: 8
    .kernarg_segment_size: 104
    .language:       OpenCL C
    .language_version:
      - 2
      - 0
    .max_flat_workgroup_size: 128
    .name:           _ZN9rocsparseL5csrsmILj128ELj64ELb1Eii21rocsparse_complex_numIfEEEv20rocsparse_operation_T3_S4_NS_24const_host_device_scalarIT4_EEPKT2_PKS4_PKS6_PS6_lPiSC_PS4_21rocsparse_index_base_20rocsparse_fill_mode_20rocsparse_diag_type_b
    .private_segment_fixed_size: 0
    .sgpr_count:     33
    .sgpr_spill_count: 0
    .symbol:         _ZN9rocsparseL5csrsmILj128ELj64ELb1Eii21rocsparse_complex_numIfEEEv20rocsparse_operation_T3_S4_NS_24const_host_device_scalarIT4_EEPKT2_PKS4_PKS6_PS6_lPiSC_PS4_21rocsparse_index_base_20rocsparse_fill_mode_20rocsparse_diag_type_b.kd
    .uniform_work_group_size: 1
    .uses_dynamic_stack: false
    .vgpr_count:     22
    .vgpr_spill_count: 0
    .wavefront_size: 32
  - .args:
      - .offset:         0
        .size:           4
        .value_kind:     by_value
      - .offset:         4
        .size:           4
        .value_kind:     by_value
      - .offset:         8
        .size:           4
        .value_kind:     by_value
      - .offset:         16
        .size:           8
        .value_kind:     by_value
      - .actual_access:  read_only
        .address_space:  global
        .offset:         24
        .size:           8
        .value_kind:     global_buffer
      - .actual_access:  read_only
        .address_space:  global
        .offset:         32
        .size:           8
        .value_kind:     global_buffer
      - .actual_access:  read_only
        .address_space:  global
        .offset:         40
        .size:           8
        .value_kind:     global_buffer
      - .address_space:  global
        .offset:         48
        .size:           8
        .value_kind:     global_buffer
      - .offset:         56
        .size:           8
        .value_kind:     by_value
      - .address_space:  global
        .offset:         64
        .size:           8
        .value_kind:     global_buffer
      - .actual_access:  read_only
        .address_space:  global
        .offset:         72
        .size:           8
        .value_kind:     global_buffer
      - .address_space:  global
        .offset:         80
        .size:           8
        .value_kind:     global_buffer
      - .offset:         88
        .size:           4
        .value_kind:     by_value
      - .offset:         92
        .size:           4
        .value_kind:     by_value
      - .offset:         96
        .size:           4
        .value_kind:     by_value
      - .offset:         100
        .size:           1
        .value_kind:     by_value
    .group_segment_fixed_size: 1536
    .kernarg_segment_align: 8
    .kernarg_segment_size: 104
    .language:       OpenCL C
    .language_version:
      - 2
      - 0
    .max_flat_workgroup_size: 128
    .name:           _ZN9rocsparseL5csrsmILj128ELj64ELb0Eii21rocsparse_complex_numIfEEEv20rocsparse_operation_T3_S4_NS_24const_host_device_scalarIT4_EEPKT2_PKS4_PKS6_PS6_lPiSC_PS4_21rocsparse_index_base_20rocsparse_fill_mode_20rocsparse_diag_type_b
    .private_segment_fixed_size: 0
    .sgpr_count:     33
    .sgpr_spill_count: 0
    .symbol:         _ZN9rocsparseL5csrsmILj128ELj64ELb0Eii21rocsparse_complex_numIfEEEv20rocsparse_operation_T3_S4_NS_24const_host_device_scalarIT4_EEPKT2_PKS4_PKS6_PS6_lPiSC_PS4_21rocsparse_index_base_20rocsparse_fill_mode_20rocsparse_diag_type_b.kd
    .uniform_work_group_size: 1
    .uses_dynamic_stack: false
    .vgpr_count:     22
    .vgpr_spill_count: 0
    .wavefront_size: 32
  - .args:
      - .offset:         0
        .size:           4
        .value_kind:     by_value
      - .offset:         4
        .size:           4
        .value_kind:     by_value
      - .offset:         8
        .size:           4
        .value_kind:     by_value
      - .offset:         16
        .size:           8
        .value_kind:     by_value
      - .actual_access:  read_only
        .address_space:  global
        .offset:         24
        .size:           8
        .value_kind:     global_buffer
      - .actual_access:  read_only
        .address_space:  global
        .offset:         32
        .size:           8
        .value_kind:     global_buffer
      - .actual_access:  read_only
        .address_space:  global
        .offset:         40
        .size:           8
        .value_kind:     global_buffer
      - .address_space:  global
        .offset:         48
        .size:           8
        .value_kind:     global_buffer
      - .offset:         56
        .size:           8
        .value_kind:     by_value
      - .address_space:  global
        .offset:         64
        .size:           8
        .value_kind:     global_buffer
      - .actual_access:  read_only
        .address_space:  global
        .offset:         72
        .size:           8
        .value_kind:     global_buffer
      - .address_space:  global
        .offset:         80
        .size:           8
        .value_kind:     global_buffer
      - .offset:         88
        .size:           4
        .value_kind:     by_value
      - .offset:         92
        .size:           4
        .value_kind:     by_value
      - .offset:         96
        .size:           4
        .value_kind:     by_value
      - .offset:         100
        .size:           1
        .value_kind:     by_value
    .group_segment_fixed_size: 3072
    .kernarg_segment_align: 8
    .kernarg_segment_size: 104
    .language:       OpenCL C
    .language_version:
      - 2
      - 0
    .max_flat_workgroup_size: 256
    .name:           _ZN9rocsparseL5csrsmILj256ELj64ELb1Eii21rocsparse_complex_numIfEEEv20rocsparse_operation_T3_S4_NS_24const_host_device_scalarIT4_EEPKT2_PKS4_PKS6_PS6_lPiSC_PS4_21rocsparse_index_base_20rocsparse_fill_mode_20rocsparse_diag_type_b
    .private_segment_fixed_size: 0
    .sgpr_count:     33
    .sgpr_spill_count: 0
    .symbol:         _ZN9rocsparseL5csrsmILj256ELj64ELb1Eii21rocsparse_complex_numIfEEEv20rocsparse_operation_T3_S4_NS_24const_host_device_scalarIT4_EEPKT2_PKS4_PKS6_PS6_lPiSC_PS4_21rocsparse_index_base_20rocsparse_fill_mode_20rocsparse_diag_type_b.kd
    .uniform_work_group_size: 1
    .uses_dynamic_stack: false
    .vgpr_count:     22
    .vgpr_spill_count: 0
    .wavefront_size: 32
  - .args:
      - .offset:         0
        .size:           4
        .value_kind:     by_value
      - .offset:         4
        .size:           4
        .value_kind:     by_value
      - .offset:         8
        .size:           4
        .value_kind:     by_value
      - .offset:         16
        .size:           8
        .value_kind:     by_value
      - .actual_access:  read_only
        .address_space:  global
        .offset:         24
        .size:           8
        .value_kind:     global_buffer
      - .actual_access:  read_only
        .address_space:  global
        .offset:         32
        .size:           8
        .value_kind:     global_buffer
      - .actual_access:  read_only
        .address_space:  global
        .offset:         40
        .size:           8
        .value_kind:     global_buffer
      - .address_space:  global
        .offset:         48
        .size:           8
        .value_kind:     global_buffer
      - .offset:         56
        .size:           8
        .value_kind:     by_value
      - .address_space:  global
        .offset:         64
        .size:           8
        .value_kind:     global_buffer
      - .actual_access:  read_only
        .address_space:  global
        .offset:         72
        .size:           8
        .value_kind:     global_buffer
      - .address_space:  global
        .offset:         80
        .size:           8
        .value_kind:     global_buffer
      - .offset:         88
        .size:           4
        .value_kind:     by_value
      - .offset:         92
        .size:           4
        .value_kind:     by_value
      - .offset:         96
        .size:           4
        .value_kind:     by_value
      - .offset:         100
        .size:           1
        .value_kind:     by_value
    .group_segment_fixed_size: 3072
    .kernarg_segment_align: 8
    .kernarg_segment_size: 104
    .language:       OpenCL C
    .language_version:
      - 2
      - 0
    .max_flat_workgroup_size: 256
    .name:           _ZN9rocsparseL5csrsmILj256ELj64ELb0Eii21rocsparse_complex_numIfEEEv20rocsparse_operation_T3_S4_NS_24const_host_device_scalarIT4_EEPKT2_PKS4_PKS6_PS6_lPiSC_PS4_21rocsparse_index_base_20rocsparse_fill_mode_20rocsparse_diag_type_b
    .private_segment_fixed_size: 0
    .sgpr_count:     33
    .sgpr_spill_count: 0
    .symbol:         _ZN9rocsparseL5csrsmILj256ELj64ELb0Eii21rocsparse_complex_numIfEEEv20rocsparse_operation_T3_S4_NS_24const_host_device_scalarIT4_EEPKT2_PKS4_PKS6_PS6_lPiSC_PS4_21rocsparse_index_base_20rocsparse_fill_mode_20rocsparse_diag_type_b.kd
    .uniform_work_group_size: 1
    .uses_dynamic_stack: false
    .vgpr_count:     22
    .vgpr_spill_count: 0
    .wavefront_size: 32
  - .args:
      - .offset:         0
        .size:           4
        .value_kind:     by_value
      - .offset:         4
        .size:           4
        .value_kind:     by_value
      - .offset:         8
        .size:           4
        .value_kind:     by_value
      - .offset:         16
        .size:           8
        .value_kind:     by_value
      - .actual_access:  read_only
        .address_space:  global
        .offset:         24
        .size:           8
        .value_kind:     global_buffer
      - .actual_access:  read_only
        .address_space:  global
        .offset:         32
        .size:           8
        .value_kind:     global_buffer
      - .actual_access:  read_only
        .address_space:  global
        .offset:         40
        .size:           8
        .value_kind:     global_buffer
      - .address_space:  global
        .offset:         48
        .size:           8
        .value_kind:     global_buffer
      - .offset:         56
        .size:           8
        .value_kind:     by_value
      - .address_space:  global
        .offset:         64
        .size:           8
        .value_kind:     global_buffer
      - .actual_access:  read_only
        .address_space:  global
        .offset:         72
        .size:           8
        .value_kind:     global_buffer
      - .address_space:  global
        .offset:         80
        .size:           8
        .value_kind:     global_buffer
      - .offset:         88
        .size:           4
        .value_kind:     by_value
      - .offset:         92
        .size:           4
        .value_kind:     by_value
      - .offset:         96
        .size:           4
        .value_kind:     by_value
      - .offset:         100
        .size:           1
        .value_kind:     by_value
    .group_segment_fixed_size: 6144
    .kernarg_segment_align: 8
    .kernarg_segment_size: 104
    .language:       OpenCL C
    .language_version:
      - 2
      - 0
    .max_flat_workgroup_size: 512
    .name:           _ZN9rocsparseL5csrsmILj512ELj64ELb1Eii21rocsparse_complex_numIfEEEv20rocsparse_operation_T3_S4_NS_24const_host_device_scalarIT4_EEPKT2_PKS4_PKS6_PS6_lPiSC_PS4_21rocsparse_index_base_20rocsparse_fill_mode_20rocsparse_diag_type_b
    .private_segment_fixed_size: 0
    .sgpr_count:     33
    .sgpr_spill_count: 0
    .symbol:         _ZN9rocsparseL5csrsmILj512ELj64ELb1Eii21rocsparse_complex_numIfEEEv20rocsparse_operation_T3_S4_NS_24const_host_device_scalarIT4_EEPKT2_PKS4_PKS6_PS6_lPiSC_PS4_21rocsparse_index_base_20rocsparse_fill_mode_20rocsparse_diag_type_b.kd
    .uniform_work_group_size: 1
    .uses_dynamic_stack: false
    .vgpr_count:     22
    .vgpr_spill_count: 0
    .wavefront_size: 32
  - .args:
      - .offset:         0
        .size:           4
        .value_kind:     by_value
      - .offset:         4
        .size:           4
        .value_kind:     by_value
      - .offset:         8
        .size:           4
        .value_kind:     by_value
      - .offset:         16
        .size:           8
        .value_kind:     by_value
      - .actual_access:  read_only
        .address_space:  global
        .offset:         24
        .size:           8
        .value_kind:     global_buffer
      - .actual_access:  read_only
        .address_space:  global
        .offset:         32
        .size:           8
        .value_kind:     global_buffer
      - .actual_access:  read_only
        .address_space:  global
        .offset:         40
        .size:           8
        .value_kind:     global_buffer
      - .address_space:  global
        .offset:         48
        .size:           8
        .value_kind:     global_buffer
      - .offset:         56
        .size:           8
        .value_kind:     by_value
      - .address_space:  global
        .offset:         64
        .size:           8
        .value_kind:     global_buffer
      - .actual_access:  read_only
        .address_space:  global
        .offset:         72
        .size:           8
        .value_kind:     global_buffer
      - .address_space:  global
        .offset:         80
        .size:           8
        .value_kind:     global_buffer
      - .offset:         88
        .size:           4
        .value_kind:     by_value
      - .offset:         92
        .size:           4
        .value_kind:     by_value
      - .offset:         96
        .size:           4
        .value_kind:     by_value
      - .offset:         100
        .size:           1
        .value_kind:     by_value
    .group_segment_fixed_size: 6144
    .kernarg_segment_align: 8
    .kernarg_segment_size: 104
    .language:       OpenCL C
    .language_version:
      - 2
      - 0
    .max_flat_workgroup_size: 512
    .name:           _ZN9rocsparseL5csrsmILj512ELj64ELb0Eii21rocsparse_complex_numIfEEEv20rocsparse_operation_T3_S4_NS_24const_host_device_scalarIT4_EEPKT2_PKS4_PKS6_PS6_lPiSC_PS4_21rocsparse_index_base_20rocsparse_fill_mode_20rocsparse_diag_type_b
    .private_segment_fixed_size: 0
    .sgpr_count:     33
    .sgpr_spill_count: 0
    .symbol:         _ZN9rocsparseL5csrsmILj512ELj64ELb0Eii21rocsparse_complex_numIfEEEv20rocsparse_operation_T3_S4_NS_24const_host_device_scalarIT4_EEPKT2_PKS4_PKS6_PS6_lPiSC_PS4_21rocsparse_index_base_20rocsparse_fill_mode_20rocsparse_diag_type_b.kd
    .uniform_work_group_size: 1
    .uses_dynamic_stack: false
    .vgpr_count:     22
    .vgpr_spill_count: 0
    .wavefront_size: 32
  - .args:
      - .offset:         0
        .size:           4
        .value_kind:     by_value
      - .offset:         4
        .size:           4
        .value_kind:     by_value
      - .offset:         8
        .size:           4
        .value_kind:     by_value
      - .offset:         16
        .size:           8
        .value_kind:     by_value
      - .actual_access:  read_only
        .address_space:  global
        .offset:         24
        .size:           8
        .value_kind:     global_buffer
      - .actual_access:  read_only
        .address_space:  global
        .offset:         32
        .size:           8
        .value_kind:     global_buffer
      - .actual_access:  read_only
        .address_space:  global
        .offset:         40
        .size:           8
        .value_kind:     global_buffer
      - .address_space:  global
        .offset:         48
        .size:           8
        .value_kind:     global_buffer
      - .offset:         56
        .size:           8
        .value_kind:     by_value
      - .address_space:  global
        .offset:         64
        .size:           8
        .value_kind:     global_buffer
      - .actual_access:  read_only
        .address_space:  global
        .offset:         72
        .size:           8
        .value_kind:     global_buffer
      - .address_space:  global
        .offset:         80
        .size:           8
        .value_kind:     global_buffer
      - .offset:         88
        .size:           4
        .value_kind:     by_value
      - .offset:         92
        .size:           4
        .value_kind:     by_value
      - .offset:         96
        .size:           4
        .value_kind:     by_value
      - .offset:         100
        .size:           1
        .value_kind:     by_value
    .group_segment_fixed_size: 12288
    .kernarg_segment_align: 8
    .kernarg_segment_size: 104
    .language:       OpenCL C
    .language_version:
      - 2
      - 0
    .max_flat_workgroup_size: 1024
    .name:           _ZN9rocsparseL5csrsmILj1024ELj64ELb1Eii21rocsparse_complex_numIfEEEv20rocsparse_operation_T3_S4_NS_24const_host_device_scalarIT4_EEPKT2_PKS4_PKS6_PS6_lPiSC_PS4_21rocsparse_index_base_20rocsparse_fill_mode_20rocsparse_diag_type_b
    .private_segment_fixed_size: 0
    .sgpr_count:     33
    .sgpr_spill_count: 0
    .symbol:         _ZN9rocsparseL5csrsmILj1024ELj64ELb1Eii21rocsparse_complex_numIfEEEv20rocsparse_operation_T3_S4_NS_24const_host_device_scalarIT4_EEPKT2_PKS4_PKS6_PS6_lPiSC_PS4_21rocsparse_index_base_20rocsparse_fill_mode_20rocsparse_diag_type_b.kd
    .uniform_work_group_size: 1
    .uses_dynamic_stack: false
    .vgpr_count:     24
    .vgpr_spill_count: 0
    .wavefront_size: 32
  - .args:
      - .offset:         0
        .size:           4
        .value_kind:     by_value
      - .offset:         4
        .size:           4
        .value_kind:     by_value
      - .offset:         8
        .size:           4
        .value_kind:     by_value
      - .offset:         16
        .size:           8
        .value_kind:     by_value
      - .actual_access:  read_only
        .address_space:  global
        .offset:         24
        .size:           8
        .value_kind:     global_buffer
      - .actual_access:  read_only
        .address_space:  global
        .offset:         32
        .size:           8
        .value_kind:     global_buffer
      - .actual_access:  read_only
        .address_space:  global
        .offset:         40
        .size:           8
        .value_kind:     global_buffer
      - .address_space:  global
        .offset:         48
        .size:           8
        .value_kind:     global_buffer
      - .offset:         56
        .size:           8
        .value_kind:     by_value
      - .address_space:  global
        .offset:         64
        .size:           8
        .value_kind:     global_buffer
      - .actual_access:  read_only
        .address_space:  global
        .offset:         72
        .size:           8
        .value_kind:     global_buffer
      - .address_space:  global
        .offset:         80
        .size:           8
        .value_kind:     global_buffer
      - .offset:         88
        .size:           4
        .value_kind:     by_value
      - .offset:         92
        .size:           4
        .value_kind:     by_value
      - .offset:         96
        .size:           4
        .value_kind:     by_value
      - .offset:         100
        .size:           1
        .value_kind:     by_value
    .group_segment_fixed_size: 12288
    .kernarg_segment_align: 8
    .kernarg_segment_size: 104
    .language:       OpenCL C
    .language_version:
      - 2
      - 0
    .max_flat_workgroup_size: 1024
    .name:           _ZN9rocsparseL5csrsmILj1024ELj64ELb0Eii21rocsparse_complex_numIfEEEv20rocsparse_operation_T3_S4_NS_24const_host_device_scalarIT4_EEPKT2_PKS4_PKS6_PS6_lPiSC_PS4_21rocsparse_index_base_20rocsparse_fill_mode_20rocsparse_diag_type_b
    .private_segment_fixed_size: 0
    .sgpr_count:     33
    .sgpr_spill_count: 0
    .symbol:         _ZN9rocsparseL5csrsmILj1024ELj64ELb0Eii21rocsparse_complex_numIfEEEv20rocsparse_operation_T3_S4_NS_24const_host_device_scalarIT4_EEPKT2_PKS4_PKS6_PS6_lPiSC_PS4_21rocsparse_index_base_20rocsparse_fill_mode_20rocsparse_diag_type_b.kd
    .uniform_work_group_size: 1
    .uses_dynamic_stack: false
    .vgpr_count:     24
    .vgpr_spill_count: 0
    .wavefront_size: 32
  - .args:
      - .offset:         0
        .size:           8
        .value_kind:     by_value
      - .address_space:  global
        .offset:         8
        .size:           8
        .value_kind:     global_buffer
      - .offset:         16
        .size:           8
        .value_kind:     by_value
      - .address_space:  global
        .offset:         24
        .size:           8
        .value_kind:     global_buffer
    .group_segment_fixed_size: 0
    .kernarg_segment_align: 8
    .kernarg_segment_size: 32
    .language:       OpenCL C
    .language_version:
      - 2
      - 0
    .max_flat_workgroup_size: 1024
    .name:           _ZN9rocsparseL23csrsm_solve_copy_y_to_BILj1024E21rocsparse_complex_numIdEEEvlPT0_lPKS3_
    .private_segment_fixed_size: 0
    .sgpr_count:     12
    .sgpr_spill_count: 0
    .symbol:         _ZN9rocsparseL23csrsm_solve_copy_y_to_BILj1024E21rocsparse_complex_numIdEEEvlPT0_lPKS3_.kd
    .uniform_work_group_size: 1
    .uses_dynamic_stack: false
    .vgpr_count:     6
    .vgpr_spill_count: 0
    .wavefront_size: 32
  - .args:
      - .offset:         0
        .size:           4
        .value_kind:     by_value
      - .offset:         4
        .size:           4
        .value_kind:     by_value
      - .offset:         8
        .size:           4
        .value_kind:     by_value
      - .offset:         16
        .size:           16
        .value_kind:     by_value
      - .actual_access:  read_only
        .address_space:  global
        .offset:         32
        .size:           8
        .value_kind:     global_buffer
      - .actual_access:  read_only
        .address_space:  global
        .offset:         40
        .size:           8
        .value_kind:     global_buffer
      - .actual_access:  read_only
        .address_space:  global
        .offset:         48
        .size:           8
        .value_kind:     global_buffer
      - .address_space:  global
        .offset:         56
        .size:           8
        .value_kind:     global_buffer
      - .offset:         64
        .size:           8
        .value_kind:     by_value
      - .address_space:  global
        .offset:         72
        .size:           8
        .value_kind:     global_buffer
      - .actual_access:  read_only
        .address_space:  global
        .offset:         80
        .size:           8
        .value_kind:     global_buffer
      - .address_space:  global
        .offset:         88
        .size:           8
        .value_kind:     global_buffer
      - .offset:         96
        .size:           4
        .value_kind:     by_value
      - .offset:         100
        .size:           4
        .value_kind:     by_value
      - .offset:         104
        .size:           4
        .value_kind:     by_value
      - .offset:         108
        .size:           1
        .value_kind:     by_value
    .group_segment_fixed_size: 1280
    .kernarg_segment_align: 8
    .kernarg_segment_size: 112
    .language:       OpenCL C
    .language_version:
      - 2
      - 0
    .max_flat_workgroup_size: 64
    .name:           _ZN9rocsparseL5csrsmILj64ELj64ELb1Eii21rocsparse_complex_numIdEEEv20rocsparse_operation_T3_S4_NS_24const_host_device_scalarIT4_EEPKT2_PKS4_PKS6_PS6_lPiSC_PS4_21rocsparse_index_base_20rocsparse_fill_mode_20rocsparse_diag_type_b
    .private_segment_fixed_size: 16
    .sgpr_count:     32
    .sgpr_spill_count: 0
    .symbol:         _ZN9rocsparseL5csrsmILj64ELj64ELb1Eii21rocsparse_complex_numIdEEEv20rocsparse_operation_T3_S4_NS_24const_host_device_scalarIT4_EEPKT2_PKS4_PKS6_PS6_lPiSC_PS4_21rocsparse_index_base_20rocsparse_fill_mode_20rocsparse_diag_type_b.kd
    .uniform_work_group_size: 1
    .uses_dynamic_stack: false
    .vgpr_count:     28
    .vgpr_spill_count: 0
    .wavefront_size: 32
  - .args:
      - .offset:         0
        .size:           4
        .value_kind:     by_value
      - .offset:         4
        .size:           4
        .value_kind:     by_value
      - .offset:         8
        .size:           4
        .value_kind:     by_value
      - .offset:         16
        .size:           16
        .value_kind:     by_value
      - .actual_access:  read_only
        .address_space:  global
        .offset:         32
        .size:           8
        .value_kind:     global_buffer
      - .actual_access:  read_only
        .address_space:  global
        .offset:         40
        .size:           8
        .value_kind:     global_buffer
      - .actual_access:  read_only
        .address_space:  global
        .offset:         48
        .size:           8
        .value_kind:     global_buffer
      - .address_space:  global
        .offset:         56
        .size:           8
        .value_kind:     global_buffer
      - .offset:         64
        .size:           8
        .value_kind:     by_value
      - .address_space:  global
        .offset:         72
        .size:           8
        .value_kind:     global_buffer
      - .actual_access:  read_only
        .address_space:  global
        .offset:         80
        .size:           8
        .value_kind:     global_buffer
      - .address_space:  global
        .offset:         88
        .size:           8
        .value_kind:     global_buffer
      - .offset:         96
        .size:           4
        .value_kind:     by_value
      - .offset:         100
        .size:           4
        .value_kind:     by_value
      - .offset:         104
        .size:           4
        .value_kind:     by_value
      - .offset:         108
        .size:           1
        .value_kind:     by_value
    .group_segment_fixed_size: 1280
    .kernarg_segment_align: 8
    .kernarg_segment_size: 112
    .language:       OpenCL C
    .language_version:
      - 2
      - 0
    .max_flat_workgroup_size: 64
    .name:           _ZN9rocsparseL5csrsmILj64ELj64ELb0Eii21rocsparse_complex_numIdEEEv20rocsparse_operation_T3_S4_NS_24const_host_device_scalarIT4_EEPKT2_PKS4_PKS6_PS6_lPiSC_PS4_21rocsparse_index_base_20rocsparse_fill_mode_20rocsparse_diag_type_b
    .private_segment_fixed_size: 16
    .sgpr_count:     32
    .sgpr_spill_count: 0
    .symbol:         _ZN9rocsparseL5csrsmILj64ELj64ELb0Eii21rocsparse_complex_numIdEEEv20rocsparse_operation_T3_S4_NS_24const_host_device_scalarIT4_EEPKT2_PKS4_PKS6_PS6_lPiSC_PS4_21rocsparse_index_base_20rocsparse_fill_mode_20rocsparse_diag_type_b.kd
    .uniform_work_group_size: 1
    .uses_dynamic_stack: false
    .vgpr_count:     28
    .vgpr_spill_count: 0
    .wavefront_size: 32
  - .args:
      - .offset:         0
        .size:           4
        .value_kind:     by_value
      - .offset:         4
        .size:           4
        .value_kind:     by_value
      - .offset:         8
        .size:           4
        .value_kind:     by_value
      - .offset:         16
        .size:           16
        .value_kind:     by_value
      - .actual_access:  read_only
        .address_space:  global
        .offset:         32
        .size:           8
        .value_kind:     global_buffer
      - .actual_access:  read_only
        .address_space:  global
        .offset:         40
        .size:           8
        .value_kind:     global_buffer
      - .actual_access:  read_only
        .address_space:  global
        .offset:         48
        .size:           8
        .value_kind:     global_buffer
      - .address_space:  global
        .offset:         56
        .size:           8
        .value_kind:     global_buffer
      - .offset:         64
        .size:           8
        .value_kind:     by_value
      - .address_space:  global
        .offset:         72
        .size:           8
        .value_kind:     global_buffer
      - .actual_access:  read_only
        .address_space:  global
        .offset:         80
        .size:           8
        .value_kind:     global_buffer
      - .address_space:  global
        .offset:         88
        .size:           8
        .value_kind:     global_buffer
      - .offset:         96
        .size:           4
        .value_kind:     by_value
      - .offset:         100
        .size:           4
        .value_kind:     by_value
      - .offset:         104
        .size:           4
        .value_kind:     by_value
      - .offset:         108
        .size:           1
        .value_kind:     by_value
    .group_segment_fixed_size: 2560
    .kernarg_segment_align: 8
    .kernarg_segment_size: 112
    .language:       OpenCL C
    .language_version:
      - 2
      - 0
    .max_flat_workgroup_size: 128
    .name:           _ZN9rocsparseL5csrsmILj128ELj64ELb1Eii21rocsparse_complex_numIdEEEv20rocsparse_operation_T3_S4_NS_24const_host_device_scalarIT4_EEPKT2_PKS4_PKS6_PS6_lPiSC_PS4_21rocsparse_index_base_20rocsparse_fill_mode_20rocsparse_diag_type_b
    .private_segment_fixed_size: 16
    .sgpr_count:     32
    .sgpr_spill_count: 0
    .symbol:         _ZN9rocsparseL5csrsmILj128ELj64ELb1Eii21rocsparse_complex_numIdEEEv20rocsparse_operation_T3_S4_NS_24const_host_device_scalarIT4_EEPKT2_PKS4_PKS6_PS6_lPiSC_PS4_21rocsparse_index_base_20rocsparse_fill_mode_20rocsparse_diag_type_b.kd
    .uniform_work_group_size: 1
    .uses_dynamic_stack: false
    .vgpr_count:     28
    .vgpr_spill_count: 0
    .wavefront_size: 32
  - .args:
      - .offset:         0
        .size:           4
        .value_kind:     by_value
      - .offset:         4
        .size:           4
        .value_kind:     by_value
      - .offset:         8
        .size:           4
        .value_kind:     by_value
      - .offset:         16
        .size:           16
        .value_kind:     by_value
      - .actual_access:  read_only
        .address_space:  global
        .offset:         32
        .size:           8
        .value_kind:     global_buffer
      - .actual_access:  read_only
        .address_space:  global
        .offset:         40
        .size:           8
        .value_kind:     global_buffer
      - .actual_access:  read_only
        .address_space:  global
        .offset:         48
        .size:           8
        .value_kind:     global_buffer
      - .address_space:  global
        .offset:         56
        .size:           8
        .value_kind:     global_buffer
      - .offset:         64
        .size:           8
        .value_kind:     by_value
      - .address_space:  global
        .offset:         72
        .size:           8
        .value_kind:     global_buffer
      - .actual_access:  read_only
        .address_space:  global
        .offset:         80
        .size:           8
        .value_kind:     global_buffer
      - .address_space:  global
        .offset:         88
        .size:           8
        .value_kind:     global_buffer
      - .offset:         96
        .size:           4
        .value_kind:     by_value
      - .offset:         100
        .size:           4
        .value_kind:     by_value
      - .offset:         104
        .size:           4
        .value_kind:     by_value
      - .offset:         108
        .size:           1
        .value_kind:     by_value
    .group_segment_fixed_size: 2560
    .kernarg_segment_align: 8
    .kernarg_segment_size: 112
    .language:       OpenCL C
    .language_version:
      - 2
      - 0
    .max_flat_workgroup_size: 128
    .name:           _ZN9rocsparseL5csrsmILj128ELj64ELb0Eii21rocsparse_complex_numIdEEEv20rocsparse_operation_T3_S4_NS_24const_host_device_scalarIT4_EEPKT2_PKS4_PKS6_PS6_lPiSC_PS4_21rocsparse_index_base_20rocsparse_fill_mode_20rocsparse_diag_type_b
    .private_segment_fixed_size: 16
    .sgpr_count:     32
    .sgpr_spill_count: 0
    .symbol:         _ZN9rocsparseL5csrsmILj128ELj64ELb0Eii21rocsparse_complex_numIdEEEv20rocsparse_operation_T3_S4_NS_24const_host_device_scalarIT4_EEPKT2_PKS4_PKS6_PS6_lPiSC_PS4_21rocsparse_index_base_20rocsparse_fill_mode_20rocsparse_diag_type_b.kd
    .uniform_work_group_size: 1
    .uses_dynamic_stack: false
    .vgpr_count:     28
    .vgpr_spill_count: 0
    .wavefront_size: 32
  - .args:
      - .offset:         0
        .size:           4
        .value_kind:     by_value
      - .offset:         4
        .size:           4
        .value_kind:     by_value
      - .offset:         8
        .size:           4
        .value_kind:     by_value
      - .offset:         16
        .size:           16
        .value_kind:     by_value
      - .actual_access:  read_only
        .address_space:  global
        .offset:         32
        .size:           8
        .value_kind:     global_buffer
      - .actual_access:  read_only
        .address_space:  global
        .offset:         40
        .size:           8
        .value_kind:     global_buffer
      - .actual_access:  read_only
        .address_space:  global
        .offset:         48
        .size:           8
        .value_kind:     global_buffer
      - .address_space:  global
        .offset:         56
        .size:           8
        .value_kind:     global_buffer
      - .offset:         64
        .size:           8
        .value_kind:     by_value
      - .address_space:  global
        .offset:         72
        .size:           8
        .value_kind:     global_buffer
      - .actual_access:  read_only
        .address_space:  global
        .offset:         80
        .size:           8
        .value_kind:     global_buffer
      - .address_space:  global
        .offset:         88
        .size:           8
        .value_kind:     global_buffer
      - .offset:         96
        .size:           4
        .value_kind:     by_value
      - .offset:         100
        .size:           4
        .value_kind:     by_value
      - .offset:         104
        .size:           4
        .value_kind:     by_value
      - .offset:         108
        .size:           1
        .value_kind:     by_value
    .group_segment_fixed_size: 5120
    .kernarg_segment_align: 8
    .kernarg_segment_size: 112
    .language:       OpenCL C
    .language_version:
      - 2
      - 0
    .max_flat_workgroup_size: 256
    .name:           _ZN9rocsparseL5csrsmILj256ELj64ELb1Eii21rocsparse_complex_numIdEEEv20rocsparse_operation_T3_S4_NS_24const_host_device_scalarIT4_EEPKT2_PKS4_PKS6_PS6_lPiSC_PS4_21rocsparse_index_base_20rocsparse_fill_mode_20rocsparse_diag_type_b
    .private_segment_fixed_size: 16
    .sgpr_count:     32
    .sgpr_spill_count: 0
    .symbol:         _ZN9rocsparseL5csrsmILj256ELj64ELb1Eii21rocsparse_complex_numIdEEEv20rocsparse_operation_T3_S4_NS_24const_host_device_scalarIT4_EEPKT2_PKS4_PKS6_PS6_lPiSC_PS4_21rocsparse_index_base_20rocsparse_fill_mode_20rocsparse_diag_type_b.kd
    .uniform_work_group_size: 1
    .uses_dynamic_stack: false
    .vgpr_count:     28
    .vgpr_spill_count: 0
    .wavefront_size: 32
  - .args:
      - .offset:         0
        .size:           4
        .value_kind:     by_value
      - .offset:         4
        .size:           4
        .value_kind:     by_value
      - .offset:         8
        .size:           4
        .value_kind:     by_value
      - .offset:         16
        .size:           16
        .value_kind:     by_value
      - .actual_access:  read_only
        .address_space:  global
        .offset:         32
        .size:           8
        .value_kind:     global_buffer
      - .actual_access:  read_only
        .address_space:  global
        .offset:         40
        .size:           8
        .value_kind:     global_buffer
      - .actual_access:  read_only
        .address_space:  global
        .offset:         48
        .size:           8
        .value_kind:     global_buffer
      - .address_space:  global
        .offset:         56
        .size:           8
        .value_kind:     global_buffer
      - .offset:         64
        .size:           8
        .value_kind:     by_value
      - .address_space:  global
        .offset:         72
        .size:           8
        .value_kind:     global_buffer
      - .actual_access:  read_only
        .address_space:  global
        .offset:         80
        .size:           8
        .value_kind:     global_buffer
      - .address_space:  global
        .offset:         88
        .size:           8
        .value_kind:     global_buffer
      - .offset:         96
        .size:           4
        .value_kind:     by_value
      - .offset:         100
        .size:           4
        .value_kind:     by_value
      - .offset:         104
        .size:           4
        .value_kind:     by_value
      - .offset:         108
        .size:           1
        .value_kind:     by_value
    .group_segment_fixed_size: 5120
    .kernarg_segment_align: 8
    .kernarg_segment_size: 112
    .language:       OpenCL C
    .language_version:
      - 2
      - 0
    .max_flat_workgroup_size: 256
    .name:           _ZN9rocsparseL5csrsmILj256ELj64ELb0Eii21rocsparse_complex_numIdEEEv20rocsparse_operation_T3_S4_NS_24const_host_device_scalarIT4_EEPKT2_PKS4_PKS6_PS6_lPiSC_PS4_21rocsparse_index_base_20rocsparse_fill_mode_20rocsparse_diag_type_b
    .private_segment_fixed_size: 16
    .sgpr_count:     32
    .sgpr_spill_count: 0
    .symbol:         _ZN9rocsparseL5csrsmILj256ELj64ELb0Eii21rocsparse_complex_numIdEEEv20rocsparse_operation_T3_S4_NS_24const_host_device_scalarIT4_EEPKT2_PKS4_PKS6_PS6_lPiSC_PS4_21rocsparse_index_base_20rocsparse_fill_mode_20rocsparse_diag_type_b.kd
    .uniform_work_group_size: 1
    .uses_dynamic_stack: false
    .vgpr_count:     28
    .vgpr_spill_count: 0
    .wavefront_size: 32
  - .args:
      - .offset:         0
        .size:           4
        .value_kind:     by_value
      - .offset:         4
        .size:           4
        .value_kind:     by_value
      - .offset:         8
        .size:           4
        .value_kind:     by_value
      - .offset:         16
        .size:           16
        .value_kind:     by_value
      - .actual_access:  read_only
        .address_space:  global
        .offset:         32
        .size:           8
        .value_kind:     global_buffer
      - .actual_access:  read_only
        .address_space:  global
        .offset:         40
        .size:           8
        .value_kind:     global_buffer
      - .actual_access:  read_only
        .address_space:  global
        .offset:         48
        .size:           8
        .value_kind:     global_buffer
      - .address_space:  global
        .offset:         56
        .size:           8
        .value_kind:     global_buffer
      - .offset:         64
        .size:           8
        .value_kind:     by_value
      - .address_space:  global
        .offset:         72
        .size:           8
        .value_kind:     global_buffer
      - .actual_access:  read_only
        .address_space:  global
        .offset:         80
        .size:           8
        .value_kind:     global_buffer
      - .address_space:  global
        .offset:         88
        .size:           8
        .value_kind:     global_buffer
      - .offset:         96
        .size:           4
        .value_kind:     by_value
      - .offset:         100
        .size:           4
        .value_kind:     by_value
      - .offset:         104
        .size:           4
        .value_kind:     by_value
      - .offset:         108
        .size:           1
        .value_kind:     by_value
    .group_segment_fixed_size: 10240
    .kernarg_segment_align: 8
    .kernarg_segment_size: 112
    .language:       OpenCL C
    .language_version:
      - 2
      - 0
    .max_flat_workgroup_size: 512
    .name:           _ZN9rocsparseL5csrsmILj512ELj64ELb1Eii21rocsparse_complex_numIdEEEv20rocsparse_operation_T3_S4_NS_24const_host_device_scalarIT4_EEPKT2_PKS4_PKS6_PS6_lPiSC_PS4_21rocsparse_index_base_20rocsparse_fill_mode_20rocsparse_diag_type_b
    .private_segment_fixed_size: 16
    .sgpr_count:     32
    .sgpr_spill_count: 0
    .symbol:         _ZN9rocsparseL5csrsmILj512ELj64ELb1Eii21rocsparse_complex_numIdEEEv20rocsparse_operation_T3_S4_NS_24const_host_device_scalarIT4_EEPKT2_PKS4_PKS6_PS6_lPiSC_PS4_21rocsparse_index_base_20rocsparse_fill_mode_20rocsparse_diag_type_b.kd
    .uniform_work_group_size: 1
    .uses_dynamic_stack: false
    .vgpr_count:     28
    .vgpr_spill_count: 0
    .wavefront_size: 32
  - .args:
      - .offset:         0
        .size:           4
        .value_kind:     by_value
      - .offset:         4
        .size:           4
        .value_kind:     by_value
      - .offset:         8
        .size:           4
        .value_kind:     by_value
      - .offset:         16
        .size:           16
        .value_kind:     by_value
      - .actual_access:  read_only
        .address_space:  global
        .offset:         32
        .size:           8
        .value_kind:     global_buffer
      - .actual_access:  read_only
        .address_space:  global
        .offset:         40
        .size:           8
        .value_kind:     global_buffer
      - .actual_access:  read_only
        .address_space:  global
        .offset:         48
        .size:           8
        .value_kind:     global_buffer
      - .address_space:  global
        .offset:         56
        .size:           8
        .value_kind:     global_buffer
      - .offset:         64
        .size:           8
        .value_kind:     by_value
      - .address_space:  global
        .offset:         72
        .size:           8
        .value_kind:     global_buffer
      - .actual_access:  read_only
        .address_space:  global
        .offset:         80
        .size:           8
        .value_kind:     global_buffer
      - .address_space:  global
        .offset:         88
        .size:           8
        .value_kind:     global_buffer
      - .offset:         96
        .size:           4
        .value_kind:     by_value
      - .offset:         100
        .size:           4
        .value_kind:     by_value
      - .offset:         104
        .size:           4
        .value_kind:     by_value
      - .offset:         108
        .size:           1
        .value_kind:     by_value
    .group_segment_fixed_size: 10240
    .kernarg_segment_align: 8
    .kernarg_segment_size: 112
    .language:       OpenCL C
    .language_version:
      - 2
      - 0
    .max_flat_workgroup_size: 512
    .name:           _ZN9rocsparseL5csrsmILj512ELj64ELb0Eii21rocsparse_complex_numIdEEEv20rocsparse_operation_T3_S4_NS_24const_host_device_scalarIT4_EEPKT2_PKS4_PKS6_PS6_lPiSC_PS4_21rocsparse_index_base_20rocsparse_fill_mode_20rocsparse_diag_type_b
    .private_segment_fixed_size: 16
    .sgpr_count:     32
    .sgpr_spill_count: 0
    .symbol:         _ZN9rocsparseL5csrsmILj512ELj64ELb0Eii21rocsparse_complex_numIdEEEv20rocsparse_operation_T3_S4_NS_24const_host_device_scalarIT4_EEPKT2_PKS4_PKS6_PS6_lPiSC_PS4_21rocsparse_index_base_20rocsparse_fill_mode_20rocsparse_diag_type_b.kd
    .uniform_work_group_size: 1
    .uses_dynamic_stack: false
    .vgpr_count:     28
    .vgpr_spill_count: 0
    .wavefront_size: 32
  - .args:
      - .offset:         0
        .size:           4
        .value_kind:     by_value
      - .offset:         4
        .size:           4
        .value_kind:     by_value
      - .offset:         8
        .size:           4
        .value_kind:     by_value
      - .offset:         16
        .size:           16
        .value_kind:     by_value
      - .actual_access:  read_only
        .address_space:  global
        .offset:         32
        .size:           8
        .value_kind:     global_buffer
      - .actual_access:  read_only
        .address_space:  global
        .offset:         40
        .size:           8
        .value_kind:     global_buffer
      - .actual_access:  read_only
        .address_space:  global
        .offset:         48
        .size:           8
        .value_kind:     global_buffer
      - .address_space:  global
        .offset:         56
        .size:           8
        .value_kind:     global_buffer
      - .offset:         64
        .size:           8
        .value_kind:     by_value
      - .address_space:  global
        .offset:         72
        .size:           8
        .value_kind:     global_buffer
      - .actual_access:  read_only
        .address_space:  global
        .offset:         80
        .size:           8
        .value_kind:     global_buffer
      - .address_space:  global
        .offset:         88
        .size:           8
        .value_kind:     global_buffer
      - .offset:         96
        .size:           4
        .value_kind:     by_value
      - .offset:         100
        .size:           4
        .value_kind:     by_value
      - .offset:         104
        .size:           4
        .value_kind:     by_value
      - .offset:         108
        .size:           1
        .value_kind:     by_value
    .group_segment_fixed_size: 20480
    .kernarg_segment_align: 8
    .kernarg_segment_size: 112
    .language:       OpenCL C
    .language_version:
      - 2
      - 0
    .max_flat_workgroup_size: 1024
    .name:           _ZN9rocsparseL5csrsmILj1024ELj64ELb1Eii21rocsparse_complex_numIdEEEv20rocsparse_operation_T3_S4_NS_24const_host_device_scalarIT4_EEPKT2_PKS4_PKS6_PS6_lPiSC_PS4_21rocsparse_index_base_20rocsparse_fill_mode_20rocsparse_diag_type_b
    .private_segment_fixed_size: 16
    .sgpr_count:     32
    .sgpr_spill_count: 0
    .symbol:         _ZN9rocsparseL5csrsmILj1024ELj64ELb1Eii21rocsparse_complex_numIdEEEv20rocsparse_operation_T3_S4_NS_24const_host_device_scalarIT4_EEPKT2_PKS4_PKS6_PS6_lPiSC_PS4_21rocsparse_index_base_20rocsparse_fill_mode_20rocsparse_diag_type_b.kd
    .uniform_work_group_size: 1
    .uses_dynamic_stack: false
    .vgpr_count:     30
    .vgpr_spill_count: 0
    .wavefront_size: 32
  - .args:
      - .offset:         0
        .size:           4
        .value_kind:     by_value
      - .offset:         4
        .size:           4
        .value_kind:     by_value
      - .offset:         8
        .size:           4
        .value_kind:     by_value
      - .offset:         16
        .size:           16
        .value_kind:     by_value
      - .actual_access:  read_only
        .address_space:  global
        .offset:         32
        .size:           8
        .value_kind:     global_buffer
      - .actual_access:  read_only
        .address_space:  global
        .offset:         40
        .size:           8
        .value_kind:     global_buffer
      - .actual_access:  read_only
        .address_space:  global
        .offset:         48
        .size:           8
        .value_kind:     global_buffer
      - .address_space:  global
        .offset:         56
        .size:           8
        .value_kind:     global_buffer
      - .offset:         64
        .size:           8
        .value_kind:     by_value
      - .address_space:  global
        .offset:         72
        .size:           8
        .value_kind:     global_buffer
      - .actual_access:  read_only
        .address_space:  global
        .offset:         80
        .size:           8
        .value_kind:     global_buffer
      - .address_space:  global
        .offset:         88
        .size:           8
        .value_kind:     global_buffer
      - .offset:         96
        .size:           4
        .value_kind:     by_value
      - .offset:         100
        .size:           4
        .value_kind:     by_value
      - .offset:         104
        .size:           4
        .value_kind:     by_value
      - .offset:         108
        .size:           1
        .value_kind:     by_value
    .group_segment_fixed_size: 20480
    .kernarg_segment_align: 8
    .kernarg_segment_size: 112
    .language:       OpenCL C
    .language_version:
      - 2
      - 0
    .max_flat_workgroup_size: 1024
    .name:           _ZN9rocsparseL5csrsmILj1024ELj64ELb0Eii21rocsparse_complex_numIdEEEv20rocsparse_operation_T3_S4_NS_24const_host_device_scalarIT4_EEPKT2_PKS4_PKS6_PS6_lPiSC_PS4_21rocsparse_index_base_20rocsparse_fill_mode_20rocsparse_diag_type_b
    .private_segment_fixed_size: 16
    .sgpr_count:     32
    .sgpr_spill_count: 0
    .symbol:         _ZN9rocsparseL5csrsmILj1024ELj64ELb0Eii21rocsparse_complex_numIdEEEv20rocsparse_operation_T3_S4_NS_24const_host_device_scalarIT4_EEPKT2_PKS4_PKS6_PS6_lPiSC_PS4_21rocsparse_index_base_20rocsparse_fill_mode_20rocsparse_diag_type_b.kd
    .uniform_work_group_size: 1
    .uses_dynamic_stack: false
    .vgpr_count:     30
    .vgpr_spill_count: 0
    .wavefront_size: 32
  - .args:
      - .offset:         0
        .size:           4
        .value_kind:     by_value
      - .offset:         4
        .size:           4
        .value_kind:     by_value
      - .offset:         8
        .size:           4
        .value_kind:     by_value
      - .offset:         16
        .size:           8
        .value_kind:     by_value
      - .actual_access:  read_only
        .address_space:  global
        .offset:         24
        .size:           8
        .value_kind:     global_buffer
      - .actual_access:  read_only
        .address_space:  global
        .offset:         32
        .size:           8
        .value_kind:     global_buffer
      - .actual_access:  read_only
        .address_space:  global
        .offset:         40
        .size:           8
        .value_kind:     global_buffer
      - .address_space:  global
        .offset:         48
        .size:           8
        .value_kind:     global_buffer
      - .offset:         56
        .size:           8
        .value_kind:     by_value
      - .address_space:  global
        .offset:         64
        .size:           8
        .value_kind:     global_buffer
      - .actual_access:  read_only
        .address_space:  global
        .offset:         72
        .size:           8
        .value_kind:     global_buffer
      - .address_space:  global
        .offset:         80
        .size:           8
        .value_kind:     global_buffer
      - .offset:         88
        .size:           4
        .value_kind:     by_value
      - .offset:         92
        .size:           4
        .value_kind:     by_value
      - .offset:         96
        .size:           4
        .value_kind:     by_value
      - .offset:         100
        .size:           1
        .value_kind:     by_value
    .group_segment_fixed_size: 512
    .kernarg_segment_align: 8
    .kernarg_segment_size: 104
    .language:       OpenCL C
    .language_version:
      - 2
      - 0
    .max_flat_workgroup_size: 64
    .name:           _ZN9rocsparseL5csrsmILj64ELj64ELb1ElifEEv20rocsparse_operation_T3_S2_NS_24const_host_device_scalarIT4_EEPKT2_PKS2_PKS4_PS4_lPiSA_PS2_21rocsparse_index_base_20rocsparse_fill_mode_20rocsparse_diag_type_b
    .private_segment_fixed_size: 0
    .sgpr_count:     34
    .sgpr_spill_count: 0
    .symbol:         _ZN9rocsparseL5csrsmILj64ELj64ELb1ElifEEv20rocsparse_operation_T3_S2_NS_24const_host_device_scalarIT4_EEPKT2_PKS2_PKS4_PS4_lPiSA_PS2_21rocsparse_index_base_20rocsparse_fill_mode_20rocsparse_diag_type_b.kd
    .uniform_work_group_size: 1
    .uses_dynamic_stack: false
    .vgpr_count:     18
    .vgpr_spill_count: 0
    .wavefront_size: 32
  - .args:
      - .offset:         0
        .size:           4
        .value_kind:     by_value
      - .offset:         4
        .size:           4
        .value_kind:     by_value
      - .offset:         8
        .size:           4
        .value_kind:     by_value
      - .offset:         16
        .size:           8
        .value_kind:     by_value
      - .actual_access:  read_only
        .address_space:  global
        .offset:         24
        .size:           8
        .value_kind:     global_buffer
      - .actual_access:  read_only
        .address_space:  global
        .offset:         32
        .size:           8
        .value_kind:     global_buffer
      - .actual_access:  read_only
        .address_space:  global
        .offset:         40
        .size:           8
        .value_kind:     global_buffer
      - .address_space:  global
        .offset:         48
        .size:           8
        .value_kind:     global_buffer
      - .offset:         56
        .size:           8
        .value_kind:     by_value
      - .address_space:  global
        .offset:         64
        .size:           8
        .value_kind:     global_buffer
      - .actual_access:  read_only
        .address_space:  global
        .offset:         72
        .size:           8
        .value_kind:     global_buffer
      - .address_space:  global
        .offset:         80
        .size:           8
        .value_kind:     global_buffer
      - .offset:         88
        .size:           4
        .value_kind:     by_value
      - .offset:         92
        .size:           4
        .value_kind:     by_value
      - .offset:         96
        .size:           4
        .value_kind:     by_value
      - .offset:         100
        .size:           1
        .value_kind:     by_value
    .group_segment_fixed_size: 512
    .kernarg_segment_align: 8
    .kernarg_segment_size: 104
    .language:       OpenCL C
    .language_version:
      - 2
      - 0
    .max_flat_workgroup_size: 64
    .name:           _ZN9rocsparseL5csrsmILj64ELj64ELb0ElifEEv20rocsparse_operation_T3_S2_NS_24const_host_device_scalarIT4_EEPKT2_PKS2_PKS4_PS4_lPiSA_PS2_21rocsparse_index_base_20rocsparse_fill_mode_20rocsparse_diag_type_b
    .private_segment_fixed_size: 0
    .sgpr_count:     34
    .sgpr_spill_count: 0
    .symbol:         _ZN9rocsparseL5csrsmILj64ELj64ELb0ElifEEv20rocsparse_operation_T3_S2_NS_24const_host_device_scalarIT4_EEPKT2_PKS2_PKS4_PS4_lPiSA_PS2_21rocsparse_index_base_20rocsparse_fill_mode_20rocsparse_diag_type_b.kd
    .uniform_work_group_size: 1
    .uses_dynamic_stack: false
    .vgpr_count:     18
    .vgpr_spill_count: 0
    .wavefront_size: 32
  - .args:
      - .offset:         0
        .size:           4
        .value_kind:     by_value
      - .offset:         4
        .size:           4
        .value_kind:     by_value
      - .offset:         8
        .size:           4
        .value_kind:     by_value
      - .offset:         16
        .size:           8
        .value_kind:     by_value
      - .actual_access:  read_only
        .address_space:  global
        .offset:         24
        .size:           8
        .value_kind:     global_buffer
      - .actual_access:  read_only
        .address_space:  global
        .offset:         32
        .size:           8
        .value_kind:     global_buffer
      - .actual_access:  read_only
        .address_space:  global
        .offset:         40
        .size:           8
        .value_kind:     global_buffer
      - .address_space:  global
        .offset:         48
        .size:           8
        .value_kind:     global_buffer
      - .offset:         56
        .size:           8
        .value_kind:     by_value
      - .address_space:  global
        .offset:         64
        .size:           8
        .value_kind:     global_buffer
      - .actual_access:  read_only
        .address_space:  global
        .offset:         72
        .size:           8
        .value_kind:     global_buffer
      - .address_space:  global
        .offset:         80
        .size:           8
        .value_kind:     global_buffer
      - .offset:         88
        .size:           4
        .value_kind:     by_value
      - .offset:         92
        .size:           4
        .value_kind:     by_value
      - .offset:         96
        .size:           4
        .value_kind:     by_value
      - .offset:         100
        .size:           1
        .value_kind:     by_value
    .group_segment_fixed_size: 1024
    .kernarg_segment_align: 8
    .kernarg_segment_size: 104
    .language:       OpenCL C
    .language_version:
      - 2
      - 0
    .max_flat_workgroup_size: 128
    .name:           _ZN9rocsparseL5csrsmILj128ELj64ELb1ElifEEv20rocsparse_operation_T3_S2_NS_24const_host_device_scalarIT4_EEPKT2_PKS2_PKS4_PS4_lPiSA_PS2_21rocsparse_index_base_20rocsparse_fill_mode_20rocsparse_diag_type_b
    .private_segment_fixed_size: 0
    .sgpr_count:     34
    .sgpr_spill_count: 0
    .symbol:         _ZN9rocsparseL5csrsmILj128ELj64ELb1ElifEEv20rocsparse_operation_T3_S2_NS_24const_host_device_scalarIT4_EEPKT2_PKS2_PKS4_PS4_lPiSA_PS2_21rocsparse_index_base_20rocsparse_fill_mode_20rocsparse_diag_type_b.kd
    .uniform_work_group_size: 1
    .uses_dynamic_stack: false
    .vgpr_count:     18
    .vgpr_spill_count: 0
    .wavefront_size: 32
  - .args:
      - .offset:         0
        .size:           4
        .value_kind:     by_value
      - .offset:         4
        .size:           4
        .value_kind:     by_value
      - .offset:         8
        .size:           4
        .value_kind:     by_value
      - .offset:         16
        .size:           8
        .value_kind:     by_value
      - .actual_access:  read_only
        .address_space:  global
        .offset:         24
        .size:           8
        .value_kind:     global_buffer
      - .actual_access:  read_only
        .address_space:  global
        .offset:         32
        .size:           8
        .value_kind:     global_buffer
      - .actual_access:  read_only
        .address_space:  global
        .offset:         40
        .size:           8
        .value_kind:     global_buffer
      - .address_space:  global
        .offset:         48
        .size:           8
        .value_kind:     global_buffer
      - .offset:         56
        .size:           8
        .value_kind:     by_value
      - .address_space:  global
        .offset:         64
        .size:           8
        .value_kind:     global_buffer
      - .actual_access:  read_only
        .address_space:  global
        .offset:         72
        .size:           8
        .value_kind:     global_buffer
      - .address_space:  global
        .offset:         80
        .size:           8
        .value_kind:     global_buffer
      - .offset:         88
        .size:           4
        .value_kind:     by_value
      - .offset:         92
        .size:           4
        .value_kind:     by_value
      - .offset:         96
        .size:           4
        .value_kind:     by_value
      - .offset:         100
        .size:           1
        .value_kind:     by_value
    .group_segment_fixed_size: 1024
    .kernarg_segment_align: 8
    .kernarg_segment_size: 104
    .language:       OpenCL C
    .language_version:
      - 2
      - 0
    .max_flat_workgroup_size: 128
    .name:           _ZN9rocsparseL5csrsmILj128ELj64ELb0ElifEEv20rocsparse_operation_T3_S2_NS_24const_host_device_scalarIT4_EEPKT2_PKS2_PKS4_PS4_lPiSA_PS2_21rocsparse_index_base_20rocsparse_fill_mode_20rocsparse_diag_type_b
    .private_segment_fixed_size: 0
    .sgpr_count:     34
    .sgpr_spill_count: 0
    .symbol:         _ZN9rocsparseL5csrsmILj128ELj64ELb0ElifEEv20rocsparse_operation_T3_S2_NS_24const_host_device_scalarIT4_EEPKT2_PKS2_PKS4_PS4_lPiSA_PS2_21rocsparse_index_base_20rocsparse_fill_mode_20rocsparse_diag_type_b.kd
    .uniform_work_group_size: 1
    .uses_dynamic_stack: false
    .vgpr_count:     18
    .vgpr_spill_count: 0
    .wavefront_size: 32
  - .args:
      - .offset:         0
        .size:           4
        .value_kind:     by_value
      - .offset:         4
        .size:           4
        .value_kind:     by_value
      - .offset:         8
        .size:           4
        .value_kind:     by_value
      - .offset:         16
        .size:           8
        .value_kind:     by_value
      - .actual_access:  read_only
        .address_space:  global
        .offset:         24
        .size:           8
        .value_kind:     global_buffer
      - .actual_access:  read_only
        .address_space:  global
        .offset:         32
        .size:           8
        .value_kind:     global_buffer
      - .actual_access:  read_only
        .address_space:  global
        .offset:         40
        .size:           8
        .value_kind:     global_buffer
      - .address_space:  global
        .offset:         48
        .size:           8
        .value_kind:     global_buffer
      - .offset:         56
        .size:           8
        .value_kind:     by_value
      - .address_space:  global
        .offset:         64
        .size:           8
        .value_kind:     global_buffer
      - .actual_access:  read_only
        .address_space:  global
        .offset:         72
        .size:           8
        .value_kind:     global_buffer
      - .address_space:  global
        .offset:         80
        .size:           8
        .value_kind:     global_buffer
      - .offset:         88
        .size:           4
        .value_kind:     by_value
      - .offset:         92
        .size:           4
        .value_kind:     by_value
      - .offset:         96
        .size:           4
        .value_kind:     by_value
      - .offset:         100
        .size:           1
        .value_kind:     by_value
    .group_segment_fixed_size: 2048
    .kernarg_segment_align: 8
    .kernarg_segment_size: 104
    .language:       OpenCL C
    .language_version:
      - 2
      - 0
    .max_flat_workgroup_size: 256
    .name:           _ZN9rocsparseL5csrsmILj256ELj64ELb1ElifEEv20rocsparse_operation_T3_S2_NS_24const_host_device_scalarIT4_EEPKT2_PKS2_PKS4_PS4_lPiSA_PS2_21rocsparse_index_base_20rocsparse_fill_mode_20rocsparse_diag_type_b
    .private_segment_fixed_size: 0
    .sgpr_count:     34
    .sgpr_spill_count: 0
    .symbol:         _ZN9rocsparseL5csrsmILj256ELj64ELb1ElifEEv20rocsparse_operation_T3_S2_NS_24const_host_device_scalarIT4_EEPKT2_PKS2_PKS4_PS4_lPiSA_PS2_21rocsparse_index_base_20rocsparse_fill_mode_20rocsparse_diag_type_b.kd
    .uniform_work_group_size: 1
    .uses_dynamic_stack: false
    .vgpr_count:     18
    .vgpr_spill_count: 0
    .wavefront_size: 32
  - .args:
      - .offset:         0
        .size:           4
        .value_kind:     by_value
      - .offset:         4
        .size:           4
        .value_kind:     by_value
      - .offset:         8
        .size:           4
        .value_kind:     by_value
      - .offset:         16
        .size:           8
        .value_kind:     by_value
      - .actual_access:  read_only
        .address_space:  global
        .offset:         24
        .size:           8
        .value_kind:     global_buffer
      - .actual_access:  read_only
        .address_space:  global
        .offset:         32
        .size:           8
        .value_kind:     global_buffer
      - .actual_access:  read_only
        .address_space:  global
        .offset:         40
        .size:           8
        .value_kind:     global_buffer
      - .address_space:  global
        .offset:         48
        .size:           8
        .value_kind:     global_buffer
      - .offset:         56
        .size:           8
        .value_kind:     by_value
      - .address_space:  global
        .offset:         64
        .size:           8
        .value_kind:     global_buffer
      - .actual_access:  read_only
        .address_space:  global
        .offset:         72
        .size:           8
        .value_kind:     global_buffer
      - .address_space:  global
        .offset:         80
        .size:           8
        .value_kind:     global_buffer
      - .offset:         88
        .size:           4
        .value_kind:     by_value
      - .offset:         92
        .size:           4
        .value_kind:     by_value
      - .offset:         96
        .size:           4
        .value_kind:     by_value
      - .offset:         100
        .size:           1
        .value_kind:     by_value
    .group_segment_fixed_size: 2048
    .kernarg_segment_align: 8
    .kernarg_segment_size: 104
    .language:       OpenCL C
    .language_version:
      - 2
      - 0
    .max_flat_workgroup_size: 256
    .name:           _ZN9rocsparseL5csrsmILj256ELj64ELb0ElifEEv20rocsparse_operation_T3_S2_NS_24const_host_device_scalarIT4_EEPKT2_PKS2_PKS4_PS4_lPiSA_PS2_21rocsparse_index_base_20rocsparse_fill_mode_20rocsparse_diag_type_b
    .private_segment_fixed_size: 0
    .sgpr_count:     34
    .sgpr_spill_count: 0
    .symbol:         _ZN9rocsparseL5csrsmILj256ELj64ELb0ElifEEv20rocsparse_operation_T3_S2_NS_24const_host_device_scalarIT4_EEPKT2_PKS2_PKS4_PS4_lPiSA_PS2_21rocsparse_index_base_20rocsparse_fill_mode_20rocsparse_diag_type_b.kd
    .uniform_work_group_size: 1
    .uses_dynamic_stack: false
    .vgpr_count:     18
    .vgpr_spill_count: 0
    .wavefront_size: 32
  - .args:
      - .offset:         0
        .size:           4
        .value_kind:     by_value
      - .offset:         4
        .size:           4
        .value_kind:     by_value
      - .offset:         8
        .size:           4
        .value_kind:     by_value
      - .offset:         16
        .size:           8
        .value_kind:     by_value
      - .actual_access:  read_only
        .address_space:  global
        .offset:         24
        .size:           8
        .value_kind:     global_buffer
      - .actual_access:  read_only
        .address_space:  global
        .offset:         32
        .size:           8
        .value_kind:     global_buffer
      - .actual_access:  read_only
        .address_space:  global
        .offset:         40
        .size:           8
        .value_kind:     global_buffer
      - .address_space:  global
        .offset:         48
        .size:           8
        .value_kind:     global_buffer
      - .offset:         56
        .size:           8
        .value_kind:     by_value
      - .address_space:  global
        .offset:         64
        .size:           8
        .value_kind:     global_buffer
      - .actual_access:  read_only
        .address_space:  global
        .offset:         72
        .size:           8
        .value_kind:     global_buffer
      - .address_space:  global
        .offset:         80
        .size:           8
        .value_kind:     global_buffer
      - .offset:         88
        .size:           4
        .value_kind:     by_value
      - .offset:         92
        .size:           4
        .value_kind:     by_value
      - .offset:         96
        .size:           4
        .value_kind:     by_value
      - .offset:         100
        .size:           1
        .value_kind:     by_value
    .group_segment_fixed_size: 4096
    .kernarg_segment_align: 8
    .kernarg_segment_size: 104
    .language:       OpenCL C
    .language_version:
      - 2
      - 0
    .max_flat_workgroup_size: 512
    .name:           _ZN9rocsparseL5csrsmILj512ELj64ELb1ElifEEv20rocsparse_operation_T3_S2_NS_24const_host_device_scalarIT4_EEPKT2_PKS2_PKS4_PS4_lPiSA_PS2_21rocsparse_index_base_20rocsparse_fill_mode_20rocsparse_diag_type_b
    .private_segment_fixed_size: 0
    .sgpr_count:     34
    .sgpr_spill_count: 0
    .symbol:         _ZN9rocsparseL5csrsmILj512ELj64ELb1ElifEEv20rocsparse_operation_T3_S2_NS_24const_host_device_scalarIT4_EEPKT2_PKS2_PKS4_PS4_lPiSA_PS2_21rocsparse_index_base_20rocsparse_fill_mode_20rocsparse_diag_type_b.kd
    .uniform_work_group_size: 1
    .uses_dynamic_stack: false
    .vgpr_count:     18
    .vgpr_spill_count: 0
    .wavefront_size: 32
  - .args:
      - .offset:         0
        .size:           4
        .value_kind:     by_value
      - .offset:         4
        .size:           4
        .value_kind:     by_value
      - .offset:         8
        .size:           4
        .value_kind:     by_value
      - .offset:         16
        .size:           8
        .value_kind:     by_value
      - .actual_access:  read_only
        .address_space:  global
        .offset:         24
        .size:           8
        .value_kind:     global_buffer
      - .actual_access:  read_only
        .address_space:  global
        .offset:         32
        .size:           8
        .value_kind:     global_buffer
      - .actual_access:  read_only
        .address_space:  global
        .offset:         40
        .size:           8
        .value_kind:     global_buffer
      - .address_space:  global
        .offset:         48
        .size:           8
        .value_kind:     global_buffer
      - .offset:         56
        .size:           8
        .value_kind:     by_value
      - .address_space:  global
        .offset:         64
        .size:           8
        .value_kind:     global_buffer
      - .actual_access:  read_only
        .address_space:  global
        .offset:         72
        .size:           8
        .value_kind:     global_buffer
      - .address_space:  global
        .offset:         80
        .size:           8
        .value_kind:     global_buffer
      - .offset:         88
        .size:           4
        .value_kind:     by_value
      - .offset:         92
        .size:           4
        .value_kind:     by_value
      - .offset:         96
        .size:           4
        .value_kind:     by_value
      - .offset:         100
        .size:           1
        .value_kind:     by_value
    .group_segment_fixed_size: 4096
    .kernarg_segment_align: 8
    .kernarg_segment_size: 104
    .language:       OpenCL C
    .language_version:
      - 2
      - 0
    .max_flat_workgroup_size: 512
    .name:           _ZN9rocsparseL5csrsmILj512ELj64ELb0ElifEEv20rocsparse_operation_T3_S2_NS_24const_host_device_scalarIT4_EEPKT2_PKS2_PKS4_PS4_lPiSA_PS2_21rocsparse_index_base_20rocsparse_fill_mode_20rocsparse_diag_type_b
    .private_segment_fixed_size: 0
    .sgpr_count:     34
    .sgpr_spill_count: 0
    .symbol:         _ZN9rocsparseL5csrsmILj512ELj64ELb0ElifEEv20rocsparse_operation_T3_S2_NS_24const_host_device_scalarIT4_EEPKT2_PKS2_PKS4_PS4_lPiSA_PS2_21rocsparse_index_base_20rocsparse_fill_mode_20rocsparse_diag_type_b.kd
    .uniform_work_group_size: 1
    .uses_dynamic_stack: false
    .vgpr_count:     18
    .vgpr_spill_count: 0
    .wavefront_size: 32
  - .args:
      - .offset:         0
        .size:           4
        .value_kind:     by_value
      - .offset:         4
        .size:           4
        .value_kind:     by_value
      - .offset:         8
        .size:           4
        .value_kind:     by_value
      - .offset:         16
        .size:           8
        .value_kind:     by_value
      - .actual_access:  read_only
        .address_space:  global
        .offset:         24
        .size:           8
        .value_kind:     global_buffer
      - .actual_access:  read_only
        .address_space:  global
        .offset:         32
        .size:           8
        .value_kind:     global_buffer
      - .actual_access:  read_only
        .address_space:  global
        .offset:         40
        .size:           8
        .value_kind:     global_buffer
      - .address_space:  global
        .offset:         48
        .size:           8
        .value_kind:     global_buffer
      - .offset:         56
        .size:           8
        .value_kind:     by_value
      - .address_space:  global
        .offset:         64
        .size:           8
        .value_kind:     global_buffer
      - .actual_access:  read_only
        .address_space:  global
        .offset:         72
        .size:           8
        .value_kind:     global_buffer
      - .address_space:  global
        .offset:         80
        .size:           8
        .value_kind:     global_buffer
      - .offset:         88
        .size:           4
        .value_kind:     by_value
      - .offset:         92
        .size:           4
        .value_kind:     by_value
      - .offset:         96
        .size:           4
        .value_kind:     by_value
      - .offset:         100
        .size:           1
        .value_kind:     by_value
    .group_segment_fixed_size: 8192
    .kernarg_segment_align: 8
    .kernarg_segment_size: 104
    .language:       OpenCL C
    .language_version:
      - 2
      - 0
    .max_flat_workgroup_size: 1024
    .name:           _ZN9rocsparseL5csrsmILj1024ELj64ELb1ElifEEv20rocsparse_operation_T3_S2_NS_24const_host_device_scalarIT4_EEPKT2_PKS2_PKS4_PS4_lPiSA_PS2_21rocsparse_index_base_20rocsparse_fill_mode_20rocsparse_diag_type_b
    .private_segment_fixed_size: 0
    .sgpr_count:     34
    .sgpr_spill_count: 0
    .symbol:         _ZN9rocsparseL5csrsmILj1024ELj64ELb1ElifEEv20rocsparse_operation_T3_S2_NS_24const_host_device_scalarIT4_EEPKT2_PKS2_PKS4_PS4_lPiSA_PS2_21rocsparse_index_base_20rocsparse_fill_mode_20rocsparse_diag_type_b.kd
    .uniform_work_group_size: 1
    .uses_dynamic_stack: false
    .vgpr_count:     18
    .vgpr_spill_count: 0
    .wavefront_size: 32
  - .args:
      - .offset:         0
        .size:           4
        .value_kind:     by_value
      - .offset:         4
        .size:           4
        .value_kind:     by_value
      - .offset:         8
        .size:           4
        .value_kind:     by_value
      - .offset:         16
        .size:           8
        .value_kind:     by_value
      - .actual_access:  read_only
        .address_space:  global
        .offset:         24
        .size:           8
        .value_kind:     global_buffer
      - .actual_access:  read_only
        .address_space:  global
        .offset:         32
        .size:           8
        .value_kind:     global_buffer
      - .actual_access:  read_only
        .address_space:  global
        .offset:         40
        .size:           8
        .value_kind:     global_buffer
      - .address_space:  global
        .offset:         48
        .size:           8
        .value_kind:     global_buffer
      - .offset:         56
        .size:           8
        .value_kind:     by_value
      - .address_space:  global
        .offset:         64
        .size:           8
        .value_kind:     global_buffer
      - .actual_access:  read_only
        .address_space:  global
        .offset:         72
        .size:           8
        .value_kind:     global_buffer
      - .address_space:  global
        .offset:         80
        .size:           8
        .value_kind:     global_buffer
      - .offset:         88
        .size:           4
        .value_kind:     by_value
      - .offset:         92
        .size:           4
        .value_kind:     by_value
      - .offset:         96
        .size:           4
        .value_kind:     by_value
      - .offset:         100
        .size:           1
        .value_kind:     by_value
    .group_segment_fixed_size: 8192
    .kernarg_segment_align: 8
    .kernarg_segment_size: 104
    .language:       OpenCL C
    .language_version:
      - 2
      - 0
    .max_flat_workgroup_size: 1024
    .name:           _ZN9rocsparseL5csrsmILj1024ELj64ELb0ElifEEv20rocsparse_operation_T3_S2_NS_24const_host_device_scalarIT4_EEPKT2_PKS2_PKS4_PS4_lPiSA_PS2_21rocsparse_index_base_20rocsparse_fill_mode_20rocsparse_diag_type_b
    .private_segment_fixed_size: 0
    .sgpr_count:     34
    .sgpr_spill_count: 0
    .symbol:         _ZN9rocsparseL5csrsmILj1024ELj64ELb0ElifEEv20rocsparse_operation_T3_S2_NS_24const_host_device_scalarIT4_EEPKT2_PKS2_PKS4_PS4_lPiSA_PS2_21rocsparse_index_base_20rocsparse_fill_mode_20rocsparse_diag_type_b.kd
    .uniform_work_group_size: 1
    .uses_dynamic_stack: false
    .vgpr_count:     18
    .vgpr_spill_count: 0
    .wavefront_size: 32
  - .args:
      - .offset:         0
        .size:           4
        .value_kind:     by_value
      - .offset:         4
        .size:           4
        .value_kind:     by_value
      - .offset:         8
        .size:           4
        .value_kind:     by_value
      - .offset:         16
        .size:           8
        .value_kind:     by_value
      - .actual_access:  read_only
        .address_space:  global
        .offset:         24
        .size:           8
        .value_kind:     global_buffer
      - .actual_access:  read_only
        .address_space:  global
        .offset:         32
        .size:           8
        .value_kind:     global_buffer
      - .actual_access:  read_only
        .address_space:  global
        .offset:         40
        .size:           8
        .value_kind:     global_buffer
      - .address_space:  global
        .offset:         48
        .size:           8
        .value_kind:     global_buffer
      - .offset:         56
        .size:           8
        .value_kind:     by_value
      - .address_space:  global
        .offset:         64
        .size:           8
        .value_kind:     global_buffer
      - .actual_access:  read_only
        .address_space:  global
        .offset:         72
        .size:           8
        .value_kind:     global_buffer
      - .address_space:  global
        .offset:         80
        .size:           8
        .value_kind:     global_buffer
      - .offset:         88
        .size:           4
        .value_kind:     by_value
      - .offset:         92
        .size:           4
        .value_kind:     by_value
      - .offset:         96
        .size:           4
        .value_kind:     by_value
      - .offset:         100
        .size:           1
        .value_kind:     by_value
    .group_segment_fixed_size: 768
    .kernarg_segment_align: 8
    .kernarg_segment_size: 104
    .language:       OpenCL C
    .language_version:
      - 2
      - 0
    .max_flat_workgroup_size: 64
    .name:           _ZN9rocsparseL5csrsmILj64ELj64ELb1ElidEEv20rocsparse_operation_T3_S2_NS_24const_host_device_scalarIT4_EEPKT2_PKS2_PKS4_PS4_lPiSA_PS2_21rocsparse_index_base_20rocsparse_fill_mode_20rocsparse_diag_type_b
    .private_segment_fixed_size: 0
    .sgpr_count:     32
    .sgpr_spill_count: 0
    .symbol:         _ZN9rocsparseL5csrsmILj64ELj64ELb1ElidEEv20rocsparse_operation_T3_S2_NS_24const_host_device_scalarIT4_EEPKT2_PKS2_PKS4_PS4_lPiSA_PS2_21rocsparse_index_base_20rocsparse_fill_mode_20rocsparse_diag_type_b.kd
    .uniform_work_group_size: 1
    .uses_dynamic_stack: false
    .vgpr_count:     26
    .vgpr_spill_count: 0
    .wavefront_size: 32
  - .args:
      - .offset:         0
        .size:           4
        .value_kind:     by_value
      - .offset:         4
        .size:           4
        .value_kind:     by_value
      - .offset:         8
        .size:           4
        .value_kind:     by_value
      - .offset:         16
        .size:           8
        .value_kind:     by_value
      - .actual_access:  read_only
        .address_space:  global
        .offset:         24
        .size:           8
        .value_kind:     global_buffer
      - .actual_access:  read_only
        .address_space:  global
        .offset:         32
        .size:           8
        .value_kind:     global_buffer
      - .actual_access:  read_only
        .address_space:  global
        .offset:         40
        .size:           8
        .value_kind:     global_buffer
      - .address_space:  global
        .offset:         48
        .size:           8
        .value_kind:     global_buffer
      - .offset:         56
        .size:           8
        .value_kind:     by_value
      - .address_space:  global
        .offset:         64
        .size:           8
        .value_kind:     global_buffer
      - .actual_access:  read_only
        .address_space:  global
        .offset:         72
        .size:           8
        .value_kind:     global_buffer
      - .address_space:  global
        .offset:         80
        .size:           8
        .value_kind:     global_buffer
      - .offset:         88
        .size:           4
        .value_kind:     by_value
      - .offset:         92
        .size:           4
        .value_kind:     by_value
      - .offset:         96
        .size:           4
        .value_kind:     by_value
      - .offset:         100
        .size:           1
        .value_kind:     by_value
    .group_segment_fixed_size: 768
    .kernarg_segment_align: 8
    .kernarg_segment_size: 104
    .language:       OpenCL C
    .language_version:
      - 2
      - 0
    .max_flat_workgroup_size: 64
    .name:           _ZN9rocsparseL5csrsmILj64ELj64ELb0ElidEEv20rocsparse_operation_T3_S2_NS_24const_host_device_scalarIT4_EEPKT2_PKS2_PKS4_PS4_lPiSA_PS2_21rocsparse_index_base_20rocsparse_fill_mode_20rocsparse_diag_type_b
    .private_segment_fixed_size: 0
    .sgpr_count:     31
    .sgpr_spill_count: 0
    .symbol:         _ZN9rocsparseL5csrsmILj64ELj64ELb0ElidEEv20rocsparse_operation_T3_S2_NS_24const_host_device_scalarIT4_EEPKT2_PKS2_PKS4_PS4_lPiSA_PS2_21rocsparse_index_base_20rocsparse_fill_mode_20rocsparse_diag_type_b.kd
    .uniform_work_group_size: 1
    .uses_dynamic_stack: false
    .vgpr_count:     26
    .vgpr_spill_count: 0
    .wavefront_size: 32
  - .args:
      - .offset:         0
        .size:           4
        .value_kind:     by_value
      - .offset:         4
        .size:           4
        .value_kind:     by_value
      - .offset:         8
        .size:           4
        .value_kind:     by_value
      - .offset:         16
        .size:           8
        .value_kind:     by_value
      - .actual_access:  read_only
        .address_space:  global
        .offset:         24
        .size:           8
        .value_kind:     global_buffer
      - .actual_access:  read_only
        .address_space:  global
        .offset:         32
        .size:           8
        .value_kind:     global_buffer
      - .actual_access:  read_only
        .address_space:  global
        .offset:         40
        .size:           8
        .value_kind:     global_buffer
      - .address_space:  global
        .offset:         48
        .size:           8
        .value_kind:     global_buffer
      - .offset:         56
        .size:           8
        .value_kind:     by_value
      - .address_space:  global
        .offset:         64
        .size:           8
        .value_kind:     global_buffer
      - .actual_access:  read_only
        .address_space:  global
        .offset:         72
        .size:           8
        .value_kind:     global_buffer
      - .address_space:  global
        .offset:         80
        .size:           8
        .value_kind:     global_buffer
      - .offset:         88
        .size:           4
        .value_kind:     by_value
      - .offset:         92
        .size:           4
        .value_kind:     by_value
      - .offset:         96
        .size:           4
        .value_kind:     by_value
      - .offset:         100
        .size:           1
        .value_kind:     by_value
    .group_segment_fixed_size: 1536
    .kernarg_segment_align: 8
    .kernarg_segment_size: 104
    .language:       OpenCL C
    .language_version:
      - 2
      - 0
    .max_flat_workgroup_size: 128
    .name:           _ZN9rocsparseL5csrsmILj128ELj64ELb1ElidEEv20rocsparse_operation_T3_S2_NS_24const_host_device_scalarIT4_EEPKT2_PKS2_PKS4_PS4_lPiSA_PS2_21rocsparse_index_base_20rocsparse_fill_mode_20rocsparse_diag_type_b
    .private_segment_fixed_size: 0
    .sgpr_count:     32
    .sgpr_spill_count: 0
    .symbol:         _ZN9rocsparseL5csrsmILj128ELj64ELb1ElidEEv20rocsparse_operation_T3_S2_NS_24const_host_device_scalarIT4_EEPKT2_PKS2_PKS4_PS4_lPiSA_PS2_21rocsparse_index_base_20rocsparse_fill_mode_20rocsparse_diag_type_b.kd
    .uniform_work_group_size: 1
    .uses_dynamic_stack: false
    .vgpr_count:     26
    .vgpr_spill_count: 0
    .wavefront_size: 32
  - .args:
      - .offset:         0
        .size:           4
        .value_kind:     by_value
      - .offset:         4
        .size:           4
        .value_kind:     by_value
      - .offset:         8
        .size:           4
        .value_kind:     by_value
      - .offset:         16
        .size:           8
        .value_kind:     by_value
      - .actual_access:  read_only
        .address_space:  global
        .offset:         24
        .size:           8
        .value_kind:     global_buffer
      - .actual_access:  read_only
        .address_space:  global
        .offset:         32
        .size:           8
        .value_kind:     global_buffer
      - .actual_access:  read_only
        .address_space:  global
        .offset:         40
        .size:           8
        .value_kind:     global_buffer
      - .address_space:  global
        .offset:         48
        .size:           8
        .value_kind:     global_buffer
      - .offset:         56
        .size:           8
        .value_kind:     by_value
      - .address_space:  global
        .offset:         64
        .size:           8
        .value_kind:     global_buffer
      - .actual_access:  read_only
        .address_space:  global
        .offset:         72
        .size:           8
        .value_kind:     global_buffer
      - .address_space:  global
        .offset:         80
        .size:           8
        .value_kind:     global_buffer
      - .offset:         88
        .size:           4
        .value_kind:     by_value
      - .offset:         92
        .size:           4
        .value_kind:     by_value
      - .offset:         96
        .size:           4
        .value_kind:     by_value
      - .offset:         100
        .size:           1
        .value_kind:     by_value
    .group_segment_fixed_size: 1536
    .kernarg_segment_align: 8
    .kernarg_segment_size: 104
    .language:       OpenCL C
    .language_version:
      - 2
      - 0
    .max_flat_workgroup_size: 128
    .name:           _ZN9rocsparseL5csrsmILj128ELj64ELb0ElidEEv20rocsparse_operation_T3_S2_NS_24const_host_device_scalarIT4_EEPKT2_PKS2_PKS4_PS4_lPiSA_PS2_21rocsparse_index_base_20rocsparse_fill_mode_20rocsparse_diag_type_b
    .private_segment_fixed_size: 0
    .sgpr_count:     31
    .sgpr_spill_count: 0
    .symbol:         _ZN9rocsparseL5csrsmILj128ELj64ELb0ElidEEv20rocsparse_operation_T3_S2_NS_24const_host_device_scalarIT4_EEPKT2_PKS2_PKS4_PS4_lPiSA_PS2_21rocsparse_index_base_20rocsparse_fill_mode_20rocsparse_diag_type_b.kd
    .uniform_work_group_size: 1
    .uses_dynamic_stack: false
    .vgpr_count:     26
    .vgpr_spill_count: 0
    .wavefront_size: 32
  - .args:
      - .offset:         0
        .size:           4
        .value_kind:     by_value
      - .offset:         4
        .size:           4
        .value_kind:     by_value
      - .offset:         8
        .size:           4
        .value_kind:     by_value
      - .offset:         16
        .size:           8
        .value_kind:     by_value
      - .actual_access:  read_only
        .address_space:  global
        .offset:         24
        .size:           8
        .value_kind:     global_buffer
      - .actual_access:  read_only
        .address_space:  global
        .offset:         32
        .size:           8
        .value_kind:     global_buffer
      - .actual_access:  read_only
        .address_space:  global
        .offset:         40
        .size:           8
        .value_kind:     global_buffer
      - .address_space:  global
        .offset:         48
        .size:           8
        .value_kind:     global_buffer
      - .offset:         56
        .size:           8
        .value_kind:     by_value
      - .address_space:  global
        .offset:         64
        .size:           8
        .value_kind:     global_buffer
      - .actual_access:  read_only
        .address_space:  global
        .offset:         72
        .size:           8
        .value_kind:     global_buffer
      - .address_space:  global
        .offset:         80
        .size:           8
        .value_kind:     global_buffer
      - .offset:         88
        .size:           4
        .value_kind:     by_value
      - .offset:         92
        .size:           4
        .value_kind:     by_value
      - .offset:         96
        .size:           4
        .value_kind:     by_value
      - .offset:         100
        .size:           1
        .value_kind:     by_value
    .group_segment_fixed_size: 3072
    .kernarg_segment_align: 8
    .kernarg_segment_size: 104
    .language:       OpenCL C
    .language_version:
      - 2
      - 0
    .max_flat_workgroup_size: 256
    .name:           _ZN9rocsparseL5csrsmILj256ELj64ELb1ElidEEv20rocsparse_operation_T3_S2_NS_24const_host_device_scalarIT4_EEPKT2_PKS2_PKS4_PS4_lPiSA_PS2_21rocsparse_index_base_20rocsparse_fill_mode_20rocsparse_diag_type_b
    .private_segment_fixed_size: 0
    .sgpr_count:     32
    .sgpr_spill_count: 0
    .symbol:         _ZN9rocsparseL5csrsmILj256ELj64ELb1ElidEEv20rocsparse_operation_T3_S2_NS_24const_host_device_scalarIT4_EEPKT2_PKS2_PKS4_PS4_lPiSA_PS2_21rocsparse_index_base_20rocsparse_fill_mode_20rocsparse_diag_type_b.kd
    .uniform_work_group_size: 1
    .uses_dynamic_stack: false
    .vgpr_count:     26
    .vgpr_spill_count: 0
    .wavefront_size: 32
  - .args:
      - .offset:         0
        .size:           4
        .value_kind:     by_value
      - .offset:         4
        .size:           4
        .value_kind:     by_value
      - .offset:         8
        .size:           4
        .value_kind:     by_value
      - .offset:         16
        .size:           8
        .value_kind:     by_value
      - .actual_access:  read_only
        .address_space:  global
        .offset:         24
        .size:           8
        .value_kind:     global_buffer
      - .actual_access:  read_only
        .address_space:  global
        .offset:         32
        .size:           8
        .value_kind:     global_buffer
      - .actual_access:  read_only
        .address_space:  global
        .offset:         40
        .size:           8
        .value_kind:     global_buffer
      - .address_space:  global
        .offset:         48
        .size:           8
        .value_kind:     global_buffer
      - .offset:         56
        .size:           8
        .value_kind:     by_value
      - .address_space:  global
        .offset:         64
        .size:           8
        .value_kind:     global_buffer
      - .actual_access:  read_only
        .address_space:  global
        .offset:         72
        .size:           8
        .value_kind:     global_buffer
      - .address_space:  global
        .offset:         80
        .size:           8
        .value_kind:     global_buffer
      - .offset:         88
        .size:           4
        .value_kind:     by_value
      - .offset:         92
        .size:           4
        .value_kind:     by_value
      - .offset:         96
        .size:           4
        .value_kind:     by_value
      - .offset:         100
        .size:           1
        .value_kind:     by_value
    .group_segment_fixed_size: 3072
    .kernarg_segment_align: 8
    .kernarg_segment_size: 104
    .language:       OpenCL C
    .language_version:
      - 2
      - 0
    .max_flat_workgroup_size: 256
    .name:           _ZN9rocsparseL5csrsmILj256ELj64ELb0ElidEEv20rocsparse_operation_T3_S2_NS_24const_host_device_scalarIT4_EEPKT2_PKS2_PKS4_PS4_lPiSA_PS2_21rocsparse_index_base_20rocsparse_fill_mode_20rocsparse_diag_type_b
    .private_segment_fixed_size: 0
    .sgpr_count:     31
    .sgpr_spill_count: 0
    .symbol:         _ZN9rocsparseL5csrsmILj256ELj64ELb0ElidEEv20rocsparse_operation_T3_S2_NS_24const_host_device_scalarIT4_EEPKT2_PKS2_PKS4_PS4_lPiSA_PS2_21rocsparse_index_base_20rocsparse_fill_mode_20rocsparse_diag_type_b.kd
    .uniform_work_group_size: 1
    .uses_dynamic_stack: false
    .vgpr_count:     26
    .vgpr_spill_count: 0
    .wavefront_size: 32
  - .args:
      - .offset:         0
        .size:           4
        .value_kind:     by_value
      - .offset:         4
        .size:           4
        .value_kind:     by_value
      - .offset:         8
        .size:           4
        .value_kind:     by_value
      - .offset:         16
        .size:           8
        .value_kind:     by_value
      - .actual_access:  read_only
        .address_space:  global
        .offset:         24
        .size:           8
        .value_kind:     global_buffer
      - .actual_access:  read_only
        .address_space:  global
        .offset:         32
        .size:           8
        .value_kind:     global_buffer
      - .actual_access:  read_only
        .address_space:  global
        .offset:         40
        .size:           8
        .value_kind:     global_buffer
      - .address_space:  global
        .offset:         48
        .size:           8
        .value_kind:     global_buffer
      - .offset:         56
        .size:           8
        .value_kind:     by_value
      - .address_space:  global
        .offset:         64
        .size:           8
        .value_kind:     global_buffer
      - .actual_access:  read_only
        .address_space:  global
        .offset:         72
        .size:           8
        .value_kind:     global_buffer
      - .address_space:  global
        .offset:         80
        .size:           8
        .value_kind:     global_buffer
      - .offset:         88
        .size:           4
        .value_kind:     by_value
      - .offset:         92
        .size:           4
        .value_kind:     by_value
      - .offset:         96
        .size:           4
        .value_kind:     by_value
      - .offset:         100
        .size:           1
        .value_kind:     by_value
    .group_segment_fixed_size: 6144
    .kernarg_segment_align: 8
    .kernarg_segment_size: 104
    .language:       OpenCL C
    .language_version:
      - 2
      - 0
    .max_flat_workgroup_size: 512
    .name:           _ZN9rocsparseL5csrsmILj512ELj64ELb1ElidEEv20rocsparse_operation_T3_S2_NS_24const_host_device_scalarIT4_EEPKT2_PKS2_PKS4_PS4_lPiSA_PS2_21rocsparse_index_base_20rocsparse_fill_mode_20rocsparse_diag_type_b
    .private_segment_fixed_size: 0
    .sgpr_count:     32
    .sgpr_spill_count: 0
    .symbol:         _ZN9rocsparseL5csrsmILj512ELj64ELb1ElidEEv20rocsparse_operation_T3_S2_NS_24const_host_device_scalarIT4_EEPKT2_PKS2_PKS4_PS4_lPiSA_PS2_21rocsparse_index_base_20rocsparse_fill_mode_20rocsparse_diag_type_b.kd
    .uniform_work_group_size: 1
    .uses_dynamic_stack: false
    .vgpr_count:     26
    .vgpr_spill_count: 0
    .wavefront_size: 32
  - .args:
      - .offset:         0
        .size:           4
        .value_kind:     by_value
      - .offset:         4
        .size:           4
        .value_kind:     by_value
      - .offset:         8
        .size:           4
        .value_kind:     by_value
      - .offset:         16
        .size:           8
        .value_kind:     by_value
      - .actual_access:  read_only
        .address_space:  global
        .offset:         24
        .size:           8
        .value_kind:     global_buffer
      - .actual_access:  read_only
        .address_space:  global
        .offset:         32
        .size:           8
        .value_kind:     global_buffer
      - .actual_access:  read_only
        .address_space:  global
        .offset:         40
        .size:           8
        .value_kind:     global_buffer
      - .address_space:  global
        .offset:         48
        .size:           8
        .value_kind:     global_buffer
      - .offset:         56
        .size:           8
        .value_kind:     by_value
      - .address_space:  global
        .offset:         64
        .size:           8
        .value_kind:     global_buffer
      - .actual_access:  read_only
        .address_space:  global
        .offset:         72
        .size:           8
        .value_kind:     global_buffer
      - .address_space:  global
        .offset:         80
        .size:           8
        .value_kind:     global_buffer
      - .offset:         88
        .size:           4
        .value_kind:     by_value
      - .offset:         92
        .size:           4
        .value_kind:     by_value
      - .offset:         96
        .size:           4
        .value_kind:     by_value
      - .offset:         100
        .size:           1
        .value_kind:     by_value
    .group_segment_fixed_size: 6144
    .kernarg_segment_align: 8
    .kernarg_segment_size: 104
    .language:       OpenCL C
    .language_version:
      - 2
      - 0
    .max_flat_workgroup_size: 512
    .name:           _ZN9rocsparseL5csrsmILj512ELj64ELb0ElidEEv20rocsparse_operation_T3_S2_NS_24const_host_device_scalarIT4_EEPKT2_PKS2_PKS4_PS4_lPiSA_PS2_21rocsparse_index_base_20rocsparse_fill_mode_20rocsparse_diag_type_b
    .private_segment_fixed_size: 0
    .sgpr_count:     31
    .sgpr_spill_count: 0
    .symbol:         _ZN9rocsparseL5csrsmILj512ELj64ELb0ElidEEv20rocsparse_operation_T3_S2_NS_24const_host_device_scalarIT4_EEPKT2_PKS2_PKS4_PS4_lPiSA_PS2_21rocsparse_index_base_20rocsparse_fill_mode_20rocsparse_diag_type_b.kd
    .uniform_work_group_size: 1
    .uses_dynamic_stack: false
    .vgpr_count:     26
    .vgpr_spill_count: 0
    .wavefront_size: 32
  - .args:
      - .offset:         0
        .size:           4
        .value_kind:     by_value
      - .offset:         4
        .size:           4
        .value_kind:     by_value
      - .offset:         8
        .size:           4
        .value_kind:     by_value
      - .offset:         16
        .size:           8
        .value_kind:     by_value
      - .actual_access:  read_only
        .address_space:  global
        .offset:         24
        .size:           8
        .value_kind:     global_buffer
      - .actual_access:  read_only
        .address_space:  global
        .offset:         32
        .size:           8
        .value_kind:     global_buffer
      - .actual_access:  read_only
        .address_space:  global
        .offset:         40
        .size:           8
        .value_kind:     global_buffer
      - .address_space:  global
        .offset:         48
        .size:           8
        .value_kind:     global_buffer
      - .offset:         56
        .size:           8
        .value_kind:     by_value
      - .address_space:  global
        .offset:         64
        .size:           8
        .value_kind:     global_buffer
      - .actual_access:  read_only
        .address_space:  global
        .offset:         72
        .size:           8
        .value_kind:     global_buffer
      - .address_space:  global
        .offset:         80
        .size:           8
        .value_kind:     global_buffer
      - .offset:         88
        .size:           4
        .value_kind:     by_value
      - .offset:         92
        .size:           4
        .value_kind:     by_value
      - .offset:         96
        .size:           4
        .value_kind:     by_value
      - .offset:         100
        .size:           1
        .value_kind:     by_value
    .group_segment_fixed_size: 12288
    .kernarg_segment_align: 8
    .kernarg_segment_size: 104
    .language:       OpenCL C
    .language_version:
      - 2
      - 0
    .max_flat_workgroup_size: 1024
    .name:           _ZN9rocsparseL5csrsmILj1024ELj64ELb1ElidEEv20rocsparse_operation_T3_S2_NS_24const_host_device_scalarIT4_EEPKT2_PKS2_PKS4_PS4_lPiSA_PS2_21rocsparse_index_base_20rocsparse_fill_mode_20rocsparse_diag_type_b
    .private_segment_fixed_size: 0
    .sgpr_count:     32
    .sgpr_spill_count: 0
    .symbol:         _ZN9rocsparseL5csrsmILj1024ELj64ELb1ElidEEv20rocsparse_operation_T3_S2_NS_24const_host_device_scalarIT4_EEPKT2_PKS2_PKS4_PS4_lPiSA_PS2_21rocsparse_index_base_20rocsparse_fill_mode_20rocsparse_diag_type_b.kd
    .uniform_work_group_size: 1
    .uses_dynamic_stack: false
    .vgpr_count:     26
    .vgpr_spill_count: 0
    .wavefront_size: 32
  - .args:
      - .offset:         0
        .size:           4
        .value_kind:     by_value
      - .offset:         4
        .size:           4
        .value_kind:     by_value
      - .offset:         8
        .size:           4
        .value_kind:     by_value
      - .offset:         16
        .size:           8
        .value_kind:     by_value
      - .actual_access:  read_only
        .address_space:  global
        .offset:         24
        .size:           8
        .value_kind:     global_buffer
      - .actual_access:  read_only
        .address_space:  global
        .offset:         32
        .size:           8
        .value_kind:     global_buffer
      - .actual_access:  read_only
        .address_space:  global
        .offset:         40
        .size:           8
        .value_kind:     global_buffer
      - .address_space:  global
        .offset:         48
        .size:           8
        .value_kind:     global_buffer
      - .offset:         56
        .size:           8
        .value_kind:     by_value
      - .address_space:  global
        .offset:         64
        .size:           8
        .value_kind:     global_buffer
      - .actual_access:  read_only
        .address_space:  global
        .offset:         72
        .size:           8
        .value_kind:     global_buffer
      - .address_space:  global
        .offset:         80
        .size:           8
        .value_kind:     global_buffer
      - .offset:         88
        .size:           4
        .value_kind:     by_value
      - .offset:         92
        .size:           4
        .value_kind:     by_value
      - .offset:         96
        .size:           4
        .value_kind:     by_value
      - .offset:         100
        .size:           1
        .value_kind:     by_value
    .group_segment_fixed_size: 12288
    .kernarg_segment_align: 8
    .kernarg_segment_size: 104
    .language:       OpenCL C
    .language_version:
      - 2
      - 0
    .max_flat_workgroup_size: 1024
    .name:           _ZN9rocsparseL5csrsmILj1024ELj64ELb0ElidEEv20rocsparse_operation_T3_S2_NS_24const_host_device_scalarIT4_EEPKT2_PKS2_PKS4_PS4_lPiSA_PS2_21rocsparse_index_base_20rocsparse_fill_mode_20rocsparse_diag_type_b
    .private_segment_fixed_size: 0
    .sgpr_count:     31
    .sgpr_spill_count: 0
    .symbol:         _ZN9rocsparseL5csrsmILj1024ELj64ELb0ElidEEv20rocsparse_operation_T3_S2_NS_24const_host_device_scalarIT4_EEPKT2_PKS2_PKS4_PS4_lPiSA_PS2_21rocsparse_index_base_20rocsparse_fill_mode_20rocsparse_diag_type_b.kd
    .uniform_work_group_size: 1
    .uses_dynamic_stack: false
    .vgpr_count:     26
    .vgpr_spill_count: 0
    .wavefront_size: 32
  - .args:
      - .offset:         0
        .size:           4
        .value_kind:     by_value
      - .offset:         4
        .size:           4
        .value_kind:     by_value
      - .offset:         8
        .size:           4
        .value_kind:     by_value
      - .offset:         16
        .size:           8
        .value_kind:     by_value
      - .actual_access:  read_only
        .address_space:  global
        .offset:         24
        .size:           8
        .value_kind:     global_buffer
      - .actual_access:  read_only
        .address_space:  global
        .offset:         32
        .size:           8
        .value_kind:     global_buffer
      - .actual_access:  read_only
        .address_space:  global
        .offset:         40
        .size:           8
        .value_kind:     global_buffer
      - .address_space:  global
        .offset:         48
        .size:           8
        .value_kind:     global_buffer
      - .offset:         56
        .size:           8
        .value_kind:     by_value
      - .address_space:  global
        .offset:         64
        .size:           8
        .value_kind:     global_buffer
      - .actual_access:  read_only
        .address_space:  global
        .offset:         72
        .size:           8
        .value_kind:     global_buffer
      - .address_space:  global
        .offset:         80
        .size:           8
        .value_kind:     global_buffer
      - .offset:         88
        .size:           4
        .value_kind:     by_value
      - .offset:         92
        .size:           4
        .value_kind:     by_value
      - .offset:         96
        .size:           4
        .value_kind:     by_value
      - .offset:         100
        .size:           1
        .value_kind:     by_value
    .group_segment_fixed_size: 768
    .kernarg_segment_align: 8
    .kernarg_segment_size: 104
    .language:       OpenCL C
    .language_version:
      - 2
      - 0
    .max_flat_workgroup_size: 64
    .name:           _ZN9rocsparseL5csrsmILj64ELj64ELb1Eli21rocsparse_complex_numIfEEEv20rocsparse_operation_T3_S4_NS_24const_host_device_scalarIT4_EEPKT2_PKS4_PKS6_PS6_lPiSC_PS4_21rocsparse_index_base_20rocsparse_fill_mode_20rocsparse_diag_type_b
    .private_segment_fixed_size: 0
    .sgpr_count:     31
    .sgpr_spill_count: 0
    .symbol:         _ZN9rocsparseL5csrsmILj64ELj64ELb1Eli21rocsparse_complex_numIfEEEv20rocsparse_operation_T3_S4_NS_24const_host_device_scalarIT4_EEPKT2_PKS4_PKS6_PS6_lPiSC_PS4_21rocsparse_index_base_20rocsparse_fill_mode_20rocsparse_diag_type_b.kd
    .uniform_work_group_size: 1
    .uses_dynamic_stack: false
    .vgpr_count:     26
    .vgpr_spill_count: 0
    .wavefront_size: 32
  - .args:
      - .offset:         0
        .size:           4
        .value_kind:     by_value
      - .offset:         4
        .size:           4
        .value_kind:     by_value
      - .offset:         8
        .size:           4
        .value_kind:     by_value
      - .offset:         16
        .size:           8
        .value_kind:     by_value
      - .actual_access:  read_only
        .address_space:  global
        .offset:         24
        .size:           8
        .value_kind:     global_buffer
      - .actual_access:  read_only
        .address_space:  global
        .offset:         32
        .size:           8
        .value_kind:     global_buffer
      - .actual_access:  read_only
        .address_space:  global
        .offset:         40
        .size:           8
        .value_kind:     global_buffer
      - .address_space:  global
        .offset:         48
        .size:           8
        .value_kind:     global_buffer
      - .offset:         56
        .size:           8
        .value_kind:     by_value
      - .address_space:  global
        .offset:         64
        .size:           8
        .value_kind:     global_buffer
      - .actual_access:  read_only
        .address_space:  global
        .offset:         72
        .size:           8
        .value_kind:     global_buffer
      - .address_space:  global
        .offset:         80
        .size:           8
        .value_kind:     global_buffer
      - .offset:         88
        .size:           4
        .value_kind:     by_value
      - .offset:         92
        .size:           4
        .value_kind:     by_value
      - .offset:         96
        .size:           4
        .value_kind:     by_value
      - .offset:         100
        .size:           1
        .value_kind:     by_value
    .group_segment_fixed_size: 768
    .kernarg_segment_align: 8
    .kernarg_segment_size: 104
    .language:       OpenCL C
    .language_version:
      - 2
      - 0
    .max_flat_workgroup_size: 64
    .name:           _ZN9rocsparseL5csrsmILj64ELj64ELb0Eli21rocsparse_complex_numIfEEEv20rocsparse_operation_T3_S4_NS_24const_host_device_scalarIT4_EEPKT2_PKS4_PKS6_PS6_lPiSC_PS4_21rocsparse_index_base_20rocsparse_fill_mode_20rocsparse_diag_type_b
    .private_segment_fixed_size: 0
    .sgpr_count:     31
    .sgpr_spill_count: 0
    .symbol:         _ZN9rocsparseL5csrsmILj64ELj64ELb0Eli21rocsparse_complex_numIfEEEv20rocsparse_operation_T3_S4_NS_24const_host_device_scalarIT4_EEPKT2_PKS4_PKS6_PS6_lPiSC_PS4_21rocsparse_index_base_20rocsparse_fill_mode_20rocsparse_diag_type_b.kd
    .uniform_work_group_size: 1
    .uses_dynamic_stack: false
    .vgpr_count:     26
    .vgpr_spill_count: 0
    .wavefront_size: 32
  - .args:
      - .offset:         0
        .size:           4
        .value_kind:     by_value
      - .offset:         4
        .size:           4
        .value_kind:     by_value
      - .offset:         8
        .size:           4
        .value_kind:     by_value
      - .offset:         16
        .size:           8
        .value_kind:     by_value
      - .actual_access:  read_only
        .address_space:  global
        .offset:         24
        .size:           8
        .value_kind:     global_buffer
      - .actual_access:  read_only
        .address_space:  global
        .offset:         32
        .size:           8
        .value_kind:     global_buffer
      - .actual_access:  read_only
        .address_space:  global
        .offset:         40
        .size:           8
        .value_kind:     global_buffer
      - .address_space:  global
        .offset:         48
        .size:           8
        .value_kind:     global_buffer
      - .offset:         56
        .size:           8
        .value_kind:     by_value
      - .address_space:  global
        .offset:         64
        .size:           8
        .value_kind:     global_buffer
      - .actual_access:  read_only
        .address_space:  global
        .offset:         72
        .size:           8
        .value_kind:     global_buffer
      - .address_space:  global
        .offset:         80
        .size:           8
        .value_kind:     global_buffer
      - .offset:         88
        .size:           4
        .value_kind:     by_value
      - .offset:         92
        .size:           4
        .value_kind:     by_value
      - .offset:         96
        .size:           4
        .value_kind:     by_value
      - .offset:         100
        .size:           1
        .value_kind:     by_value
    .group_segment_fixed_size: 1536
    .kernarg_segment_align: 8
    .kernarg_segment_size: 104
    .language:       OpenCL C
    .language_version:
      - 2
      - 0
    .max_flat_workgroup_size: 128
    .name:           _ZN9rocsparseL5csrsmILj128ELj64ELb1Eli21rocsparse_complex_numIfEEEv20rocsparse_operation_T3_S4_NS_24const_host_device_scalarIT4_EEPKT2_PKS4_PKS6_PS6_lPiSC_PS4_21rocsparse_index_base_20rocsparse_fill_mode_20rocsparse_diag_type_b
    .private_segment_fixed_size: 0
    .sgpr_count:     31
    .sgpr_spill_count: 0
    .symbol:         _ZN9rocsparseL5csrsmILj128ELj64ELb1Eli21rocsparse_complex_numIfEEEv20rocsparse_operation_T3_S4_NS_24const_host_device_scalarIT4_EEPKT2_PKS4_PKS6_PS6_lPiSC_PS4_21rocsparse_index_base_20rocsparse_fill_mode_20rocsparse_diag_type_b.kd
    .uniform_work_group_size: 1
    .uses_dynamic_stack: false
    .vgpr_count:     26
    .vgpr_spill_count: 0
    .wavefront_size: 32
  - .args:
      - .offset:         0
        .size:           4
        .value_kind:     by_value
      - .offset:         4
        .size:           4
        .value_kind:     by_value
      - .offset:         8
        .size:           4
        .value_kind:     by_value
      - .offset:         16
        .size:           8
        .value_kind:     by_value
      - .actual_access:  read_only
        .address_space:  global
        .offset:         24
        .size:           8
        .value_kind:     global_buffer
      - .actual_access:  read_only
        .address_space:  global
        .offset:         32
        .size:           8
        .value_kind:     global_buffer
      - .actual_access:  read_only
        .address_space:  global
        .offset:         40
        .size:           8
        .value_kind:     global_buffer
      - .address_space:  global
        .offset:         48
        .size:           8
        .value_kind:     global_buffer
      - .offset:         56
        .size:           8
        .value_kind:     by_value
      - .address_space:  global
        .offset:         64
        .size:           8
        .value_kind:     global_buffer
      - .actual_access:  read_only
        .address_space:  global
        .offset:         72
        .size:           8
        .value_kind:     global_buffer
      - .address_space:  global
        .offset:         80
        .size:           8
        .value_kind:     global_buffer
      - .offset:         88
        .size:           4
        .value_kind:     by_value
      - .offset:         92
        .size:           4
        .value_kind:     by_value
      - .offset:         96
        .size:           4
        .value_kind:     by_value
      - .offset:         100
        .size:           1
        .value_kind:     by_value
    .group_segment_fixed_size: 1536
    .kernarg_segment_align: 8
    .kernarg_segment_size: 104
    .language:       OpenCL C
    .language_version:
      - 2
      - 0
    .max_flat_workgroup_size: 128
    .name:           _ZN9rocsparseL5csrsmILj128ELj64ELb0Eli21rocsparse_complex_numIfEEEv20rocsparse_operation_T3_S4_NS_24const_host_device_scalarIT4_EEPKT2_PKS4_PKS6_PS6_lPiSC_PS4_21rocsparse_index_base_20rocsparse_fill_mode_20rocsparse_diag_type_b
    .private_segment_fixed_size: 0
    .sgpr_count:     31
    .sgpr_spill_count: 0
    .symbol:         _ZN9rocsparseL5csrsmILj128ELj64ELb0Eli21rocsparse_complex_numIfEEEv20rocsparse_operation_T3_S4_NS_24const_host_device_scalarIT4_EEPKT2_PKS4_PKS6_PS6_lPiSC_PS4_21rocsparse_index_base_20rocsparse_fill_mode_20rocsparse_diag_type_b.kd
    .uniform_work_group_size: 1
    .uses_dynamic_stack: false
    .vgpr_count:     26
    .vgpr_spill_count: 0
    .wavefront_size: 32
  - .args:
      - .offset:         0
        .size:           4
        .value_kind:     by_value
      - .offset:         4
        .size:           4
        .value_kind:     by_value
      - .offset:         8
        .size:           4
        .value_kind:     by_value
      - .offset:         16
        .size:           8
        .value_kind:     by_value
      - .actual_access:  read_only
        .address_space:  global
        .offset:         24
        .size:           8
        .value_kind:     global_buffer
      - .actual_access:  read_only
        .address_space:  global
        .offset:         32
        .size:           8
        .value_kind:     global_buffer
      - .actual_access:  read_only
        .address_space:  global
        .offset:         40
        .size:           8
        .value_kind:     global_buffer
      - .address_space:  global
        .offset:         48
        .size:           8
        .value_kind:     global_buffer
      - .offset:         56
        .size:           8
        .value_kind:     by_value
      - .address_space:  global
        .offset:         64
        .size:           8
        .value_kind:     global_buffer
      - .actual_access:  read_only
        .address_space:  global
        .offset:         72
        .size:           8
        .value_kind:     global_buffer
      - .address_space:  global
        .offset:         80
        .size:           8
        .value_kind:     global_buffer
      - .offset:         88
        .size:           4
        .value_kind:     by_value
      - .offset:         92
        .size:           4
        .value_kind:     by_value
      - .offset:         96
        .size:           4
        .value_kind:     by_value
      - .offset:         100
        .size:           1
        .value_kind:     by_value
    .group_segment_fixed_size: 3072
    .kernarg_segment_align: 8
    .kernarg_segment_size: 104
    .language:       OpenCL C
    .language_version:
      - 2
      - 0
    .max_flat_workgroup_size: 256
    .name:           _ZN9rocsparseL5csrsmILj256ELj64ELb1Eli21rocsparse_complex_numIfEEEv20rocsparse_operation_T3_S4_NS_24const_host_device_scalarIT4_EEPKT2_PKS4_PKS6_PS6_lPiSC_PS4_21rocsparse_index_base_20rocsparse_fill_mode_20rocsparse_diag_type_b
    .private_segment_fixed_size: 0
    .sgpr_count:     31
    .sgpr_spill_count: 0
    .symbol:         _ZN9rocsparseL5csrsmILj256ELj64ELb1Eli21rocsparse_complex_numIfEEEv20rocsparse_operation_T3_S4_NS_24const_host_device_scalarIT4_EEPKT2_PKS4_PKS6_PS6_lPiSC_PS4_21rocsparse_index_base_20rocsparse_fill_mode_20rocsparse_diag_type_b.kd
    .uniform_work_group_size: 1
    .uses_dynamic_stack: false
    .vgpr_count:     26
    .vgpr_spill_count: 0
    .wavefront_size: 32
  - .args:
      - .offset:         0
        .size:           4
        .value_kind:     by_value
      - .offset:         4
        .size:           4
        .value_kind:     by_value
      - .offset:         8
        .size:           4
        .value_kind:     by_value
      - .offset:         16
        .size:           8
        .value_kind:     by_value
      - .actual_access:  read_only
        .address_space:  global
        .offset:         24
        .size:           8
        .value_kind:     global_buffer
      - .actual_access:  read_only
        .address_space:  global
        .offset:         32
        .size:           8
        .value_kind:     global_buffer
      - .actual_access:  read_only
        .address_space:  global
        .offset:         40
        .size:           8
        .value_kind:     global_buffer
      - .address_space:  global
        .offset:         48
        .size:           8
        .value_kind:     global_buffer
      - .offset:         56
        .size:           8
        .value_kind:     by_value
      - .address_space:  global
        .offset:         64
        .size:           8
        .value_kind:     global_buffer
      - .actual_access:  read_only
        .address_space:  global
        .offset:         72
        .size:           8
        .value_kind:     global_buffer
      - .address_space:  global
        .offset:         80
        .size:           8
        .value_kind:     global_buffer
      - .offset:         88
        .size:           4
        .value_kind:     by_value
      - .offset:         92
        .size:           4
        .value_kind:     by_value
      - .offset:         96
        .size:           4
        .value_kind:     by_value
      - .offset:         100
        .size:           1
        .value_kind:     by_value
    .group_segment_fixed_size: 3072
    .kernarg_segment_align: 8
    .kernarg_segment_size: 104
    .language:       OpenCL C
    .language_version:
      - 2
      - 0
    .max_flat_workgroup_size: 256
    .name:           _ZN9rocsparseL5csrsmILj256ELj64ELb0Eli21rocsparse_complex_numIfEEEv20rocsparse_operation_T3_S4_NS_24const_host_device_scalarIT4_EEPKT2_PKS4_PKS6_PS6_lPiSC_PS4_21rocsparse_index_base_20rocsparse_fill_mode_20rocsparse_diag_type_b
    .private_segment_fixed_size: 0
    .sgpr_count:     31
    .sgpr_spill_count: 0
    .symbol:         _ZN9rocsparseL5csrsmILj256ELj64ELb0Eli21rocsparse_complex_numIfEEEv20rocsparse_operation_T3_S4_NS_24const_host_device_scalarIT4_EEPKT2_PKS4_PKS6_PS6_lPiSC_PS4_21rocsparse_index_base_20rocsparse_fill_mode_20rocsparse_diag_type_b.kd
    .uniform_work_group_size: 1
    .uses_dynamic_stack: false
    .vgpr_count:     26
    .vgpr_spill_count: 0
    .wavefront_size: 32
  - .args:
      - .offset:         0
        .size:           4
        .value_kind:     by_value
      - .offset:         4
        .size:           4
        .value_kind:     by_value
      - .offset:         8
        .size:           4
        .value_kind:     by_value
      - .offset:         16
        .size:           8
        .value_kind:     by_value
      - .actual_access:  read_only
        .address_space:  global
        .offset:         24
        .size:           8
        .value_kind:     global_buffer
      - .actual_access:  read_only
        .address_space:  global
        .offset:         32
        .size:           8
        .value_kind:     global_buffer
      - .actual_access:  read_only
        .address_space:  global
        .offset:         40
        .size:           8
        .value_kind:     global_buffer
      - .address_space:  global
        .offset:         48
        .size:           8
        .value_kind:     global_buffer
      - .offset:         56
        .size:           8
        .value_kind:     by_value
      - .address_space:  global
        .offset:         64
        .size:           8
        .value_kind:     global_buffer
      - .actual_access:  read_only
        .address_space:  global
        .offset:         72
        .size:           8
        .value_kind:     global_buffer
      - .address_space:  global
        .offset:         80
        .size:           8
        .value_kind:     global_buffer
      - .offset:         88
        .size:           4
        .value_kind:     by_value
      - .offset:         92
        .size:           4
        .value_kind:     by_value
      - .offset:         96
        .size:           4
        .value_kind:     by_value
      - .offset:         100
        .size:           1
        .value_kind:     by_value
    .group_segment_fixed_size: 6144
    .kernarg_segment_align: 8
    .kernarg_segment_size: 104
    .language:       OpenCL C
    .language_version:
      - 2
      - 0
    .max_flat_workgroup_size: 512
    .name:           _ZN9rocsparseL5csrsmILj512ELj64ELb1Eli21rocsparse_complex_numIfEEEv20rocsparse_operation_T3_S4_NS_24const_host_device_scalarIT4_EEPKT2_PKS4_PKS6_PS6_lPiSC_PS4_21rocsparse_index_base_20rocsparse_fill_mode_20rocsparse_diag_type_b
    .private_segment_fixed_size: 0
    .sgpr_count:     31
    .sgpr_spill_count: 0
    .symbol:         _ZN9rocsparseL5csrsmILj512ELj64ELb1Eli21rocsparse_complex_numIfEEEv20rocsparse_operation_T3_S4_NS_24const_host_device_scalarIT4_EEPKT2_PKS4_PKS6_PS6_lPiSC_PS4_21rocsparse_index_base_20rocsparse_fill_mode_20rocsparse_diag_type_b.kd
    .uniform_work_group_size: 1
    .uses_dynamic_stack: false
    .vgpr_count:     26
    .vgpr_spill_count: 0
    .wavefront_size: 32
  - .args:
      - .offset:         0
        .size:           4
        .value_kind:     by_value
      - .offset:         4
        .size:           4
        .value_kind:     by_value
      - .offset:         8
        .size:           4
        .value_kind:     by_value
      - .offset:         16
        .size:           8
        .value_kind:     by_value
      - .actual_access:  read_only
        .address_space:  global
        .offset:         24
        .size:           8
        .value_kind:     global_buffer
      - .actual_access:  read_only
        .address_space:  global
        .offset:         32
        .size:           8
        .value_kind:     global_buffer
      - .actual_access:  read_only
        .address_space:  global
        .offset:         40
        .size:           8
        .value_kind:     global_buffer
      - .address_space:  global
        .offset:         48
        .size:           8
        .value_kind:     global_buffer
      - .offset:         56
        .size:           8
        .value_kind:     by_value
      - .address_space:  global
        .offset:         64
        .size:           8
        .value_kind:     global_buffer
      - .actual_access:  read_only
        .address_space:  global
        .offset:         72
        .size:           8
        .value_kind:     global_buffer
      - .address_space:  global
        .offset:         80
        .size:           8
        .value_kind:     global_buffer
      - .offset:         88
        .size:           4
        .value_kind:     by_value
      - .offset:         92
        .size:           4
        .value_kind:     by_value
      - .offset:         96
        .size:           4
        .value_kind:     by_value
      - .offset:         100
        .size:           1
        .value_kind:     by_value
    .group_segment_fixed_size: 6144
    .kernarg_segment_align: 8
    .kernarg_segment_size: 104
    .language:       OpenCL C
    .language_version:
      - 2
      - 0
    .max_flat_workgroup_size: 512
    .name:           _ZN9rocsparseL5csrsmILj512ELj64ELb0Eli21rocsparse_complex_numIfEEEv20rocsparse_operation_T3_S4_NS_24const_host_device_scalarIT4_EEPKT2_PKS4_PKS6_PS6_lPiSC_PS4_21rocsparse_index_base_20rocsparse_fill_mode_20rocsparse_diag_type_b
    .private_segment_fixed_size: 0
    .sgpr_count:     31
    .sgpr_spill_count: 0
    .symbol:         _ZN9rocsparseL5csrsmILj512ELj64ELb0Eli21rocsparse_complex_numIfEEEv20rocsparse_operation_T3_S4_NS_24const_host_device_scalarIT4_EEPKT2_PKS4_PKS6_PS6_lPiSC_PS4_21rocsparse_index_base_20rocsparse_fill_mode_20rocsparse_diag_type_b.kd
    .uniform_work_group_size: 1
    .uses_dynamic_stack: false
    .vgpr_count:     26
    .vgpr_spill_count: 0
    .wavefront_size: 32
  - .args:
      - .offset:         0
        .size:           4
        .value_kind:     by_value
      - .offset:         4
        .size:           4
        .value_kind:     by_value
      - .offset:         8
        .size:           4
        .value_kind:     by_value
      - .offset:         16
        .size:           8
        .value_kind:     by_value
      - .actual_access:  read_only
        .address_space:  global
        .offset:         24
        .size:           8
        .value_kind:     global_buffer
      - .actual_access:  read_only
        .address_space:  global
        .offset:         32
        .size:           8
        .value_kind:     global_buffer
      - .actual_access:  read_only
        .address_space:  global
        .offset:         40
        .size:           8
        .value_kind:     global_buffer
      - .address_space:  global
        .offset:         48
        .size:           8
        .value_kind:     global_buffer
      - .offset:         56
        .size:           8
        .value_kind:     by_value
      - .address_space:  global
        .offset:         64
        .size:           8
        .value_kind:     global_buffer
      - .actual_access:  read_only
        .address_space:  global
        .offset:         72
        .size:           8
        .value_kind:     global_buffer
      - .address_space:  global
        .offset:         80
        .size:           8
        .value_kind:     global_buffer
      - .offset:         88
        .size:           4
        .value_kind:     by_value
      - .offset:         92
        .size:           4
        .value_kind:     by_value
      - .offset:         96
        .size:           4
        .value_kind:     by_value
      - .offset:         100
        .size:           1
        .value_kind:     by_value
    .group_segment_fixed_size: 12288
    .kernarg_segment_align: 8
    .kernarg_segment_size: 104
    .language:       OpenCL C
    .language_version:
      - 2
      - 0
    .max_flat_workgroup_size: 1024
    .name:           _ZN9rocsparseL5csrsmILj1024ELj64ELb1Eli21rocsparse_complex_numIfEEEv20rocsparse_operation_T3_S4_NS_24const_host_device_scalarIT4_EEPKT2_PKS4_PKS6_PS6_lPiSC_PS4_21rocsparse_index_base_20rocsparse_fill_mode_20rocsparse_diag_type_b
    .private_segment_fixed_size: 0
    .sgpr_count:     31
    .sgpr_spill_count: 0
    .symbol:         _ZN9rocsparseL5csrsmILj1024ELj64ELb1Eli21rocsparse_complex_numIfEEEv20rocsparse_operation_T3_S4_NS_24const_host_device_scalarIT4_EEPKT2_PKS4_PKS6_PS6_lPiSC_PS4_21rocsparse_index_base_20rocsparse_fill_mode_20rocsparse_diag_type_b.kd
    .uniform_work_group_size: 1
    .uses_dynamic_stack: false
    .vgpr_count:     28
    .vgpr_spill_count: 0
    .wavefront_size: 32
  - .args:
      - .offset:         0
        .size:           4
        .value_kind:     by_value
      - .offset:         4
        .size:           4
        .value_kind:     by_value
      - .offset:         8
        .size:           4
        .value_kind:     by_value
      - .offset:         16
        .size:           8
        .value_kind:     by_value
      - .actual_access:  read_only
        .address_space:  global
        .offset:         24
        .size:           8
        .value_kind:     global_buffer
      - .actual_access:  read_only
        .address_space:  global
        .offset:         32
        .size:           8
        .value_kind:     global_buffer
      - .actual_access:  read_only
        .address_space:  global
        .offset:         40
        .size:           8
        .value_kind:     global_buffer
      - .address_space:  global
        .offset:         48
        .size:           8
        .value_kind:     global_buffer
      - .offset:         56
        .size:           8
        .value_kind:     by_value
      - .address_space:  global
        .offset:         64
        .size:           8
        .value_kind:     global_buffer
      - .actual_access:  read_only
        .address_space:  global
        .offset:         72
        .size:           8
        .value_kind:     global_buffer
      - .address_space:  global
        .offset:         80
        .size:           8
        .value_kind:     global_buffer
      - .offset:         88
        .size:           4
        .value_kind:     by_value
      - .offset:         92
        .size:           4
        .value_kind:     by_value
      - .offset:         96
        .size:           4
        .value_kind:     by_value
      - .offset:         100
        .size:           1
        .value_kind:     by_value
    .group_segment_fixed_size: 12288
    .kernarg_segment_align: 8
    .kernarg_segment_size: 104
    .language:       OpenCL C
    .language_version:
      - 2
      - 0
    .max_flat_workgroup_size: 1024
    .name:           _ZN9rocsparseL5csrsmILj1024ELj64ELb0Eli21rocsparse_complex_numIfEEEv20rocsparse_operation_T3_S4_NS_24const_host_device_scalarIT4_EEPKT2_PKS4_PKS6_PS6_lPiSC_PS4_21rocsparse_index_base_20rocsparse_fill_mode_20rocsparse_diag_type_b
    .private_segment_fixed_size: 0
    .sgpr_count:     31
    .sgpr_spill_count: 0
    .symbol:         _ZN9rocsparseL5csrsmILj1024ELj64ELb0Eli21rocsparse_complex_numIfEEEv20rocsparse_operation_T3_S4_NS_24const_host_device_scalarIT4_EEPKT2_PKS4_PKS6_PS6_lPiSC_PS4_21rocsparse_index_base_20rocsparse_fill_mode_20rocsparse_diag_type_b.kd
    .uniform_work_group_size: 1
    .uses_dynamic_stack: false
    .vgpr_count:     28
    .vgpr_spill_count: 0
    .wavefront_size: 32
  - .args:
      - .offset:         0
        .size:           4
        .value_kind:     by_value
      - .offset:         4
        .size:           4
        .value_kind:     by_value
      - .offset:         8
        .size:           4
        .value_kind:     by_value
      - .offset:         16
        .size:           16
        .value_kind:     by_value
      - .actual_access:  read_only
        .address_space:  global
        .offset:         32
        .size:           8
        .value_kind:     global_buffer
      - .actual_access:  read_only
        .address_space:  global
        .offset:         40
        .size:           8
        .value_kind:     global_buffer
      - .actual_access:  read_only
        .address_space:  global
        .offset:         48
        .size:           8
        .value_kind:     global_buffer
      - .address_space:  global
        .offset:         56
        .size:           8
        .value_kind:     global_buffer
      - .offset:         64
        .size:           8
        .value_kind:     by_value
      - .address_space:  global
        .offset:         72
        .size:           8
        .value_kind:     global_buffer
      - .actual_access:  read_only
        .address_space:  global
        .offset:         80
        .size:           8
        .value_kind:     global_buffer
      - .address_space:  global
        .offset:         88
        .size:           8
        .value_kind:     global_buffer
      - .offset:         96
        .size:           4
        .value_kind:     by_value
      - .offset:         100
        .size:           4
        .value_kind:     by_value
      - .offset:         104
        .size:           4
        .value_kind:     by_value
      - .offset:         108
        .size:           1
        .value_kind:     by_value
    .group_segment_fixed_size: 1280
    .kernarg_segment_align: 8
    .kernarg_segment_size: 112
    .language:       OpenCL C
    .language_version:
      - 2
      - 0
    .max_flat_workgroup_size: 64
    .name:           _ZN9rocsparseL5csrsmILj64ELj64ELb1Eli21rocsparse_complex_numIdEEEv20rocsparse_operation_T3_S4_NS_24const_host_device_scalarIT4_EEPKT2_PKS4_PKS6_PS6_lPiSC_PS4_21rocsparse_index_base_20rocsparse_fill_mode_20rocsparse_diag_type_b
    .private_segment_fixed_size: 16
    .sgpr_count:     30
    .sgpr_spill_count: 0
    .symbol:         _ZN9rocsparseL5csrsmILj64ELj64ELb1Eli21rocsparse_complex_numIdEEEv20rocsparse_operation_T3_S4_NS_24const_host_device_scalarIT4_EEPKT2_PKS4_PKS6_PS6_lPiSC_PS4_21rocsparse_index_base_20rocsparse_fill_mode_20rocsparse_diag_type_b.kd
    .uniform_work_group_size: 1
    .uses_dynamic_stack: false
    .vgpr_count:     34
    .vgpr_spill_count: 0
    .wavefront_size: 32
  - .args:
      - .offset:         0
        .size:           4
        .value_kind:     by_value
      - .offset:         4
        .size:           4
        .value_kind:     by_value
      - .offset:         8
        .size:           4
        .value_kind:     by_value
      - .offset:         16
        .size:           16
        .value_kind:     by_value
      - .actual_access:  read_only
        .address_space:  global
        .offset:         32
        .size:           8
        .value_kind:     global_buffer
      - .actual_access:  read_only
        .address_space:  global
        .offset:         40
        .size:           8
        .value_kind:     global_buffer
      - .actual_access:  read_only
        .address_space:  global
        .offset:         48
        .size:           8
        .value_kind:     global_buffer
      - .address_space:  global
        .offset:         56
        .size:           8
        .value_kind:     global_buffer
      - .offset:         64
        .size:           8
        .value_kind:     by_value
      - .address_space:  global
        .offset:         72
        .size:           8
        .value_kind:     global_buffer
      - .actual_access:  read_only
        .address_space:  global
        .offset:         80
        .size:           8
        .value_kind:     global_buffer
      - .address_space:  global
        .offset:         88
        .size:           8
        .value_kind:     global_buffer
      - .offset:         96
        .size:           4
        .value_kind:     by_value
      - .offset:         100
        .size:           4
        .value_kind:     by_value
      - .offset:         104
        .size:           4
        .value_kind:     by_value
      - .offset:         108
        .size:           1
        .value_kind:     by_value
    .group_segment_fixed_size: 1280
    .kernarg_segment_align: 8
    .kernarg_segment_size: 112
    .language:       OpenCL C
    .language_version:
      - 2
      - 0
    .max_flat_workgroup_size: 64
    .name:           _ZN9rocsparseL5csrsmILj64ELj64ELb0Eli21rocsparse_complex_numIdEEEv20rocsparse_operation_T3_S4_NS_24const_host_device_scalarIT4_EEPKT2_PKS4_PKS6_PS6_lPiSC_PS4_21rocsparse_index_base_20rocsparse_fill_mode_20rocsparse_diag_type_b
    .private_segment_fixed_size: 16
    .sgpr_count:     30
    .sgpr_spill_count: 0
    .symbol:         _ZN9rocsparseL5csrsmILj64ELj64ELb0Eli21rocsparse_complex_numIdEEEv20rocsparse_operation_T3_S4_NS_24const_host_device_scalarIT4_EEPKT2_PKS4_PKS6_PS6_lPiSC_PS4_21rocsparse_index_base_20rocsparse_fill_mode_20rocsparse_diag_type_b.kd
    .uniform_work_group_size: 1
    .uses_dynamic_stack: false
    .vgpr_count:     34
    .vgpr_spill_count: 0
    .wavefront_size: 32
  - .args:
      - .offset:         0
        .size:           4
        .value_kind:     by_value
      - .offset:         4
        .size:           4
        .value_kind:     by_value
      - .offset:         8
        .size:           4
        .value_kind:     by_value
      - .offset:         16
        .size:           16
        .value_kind:     by_value
      - .actual_access:  read_only
        .address_space:  global
        .offset:         32
        .size:           8
        .value_kind:     global_buffer
      - .actual_access:  read_only
        .address_space:  global
        .offset:         40
        .size:           8
        .value_kind:     global_buffer
      - .actual_access:  read_only
        .address_space:  global
        .offset:         48
        .size:           8
        .value_kind:     global_buffer
      - .address_space:  global
        .offset:         56
        .size:           8
        .value_kind:     global_buffer
      - .offset:         64
        .size:           8
        .value_kind:     by_value
      - .address_space:  global
        .offset:         72
        .size:           8
        .value_kind:     global_buffer
      - .actual_access:  read_only
        .address_space:  global
        .offset:         80
        .size:           8
        .value_kind:     global_buffer
      - .address_space:  global
        .offset:         88
        .size:           8
        .value_kind:     global_buffer
      - .offset:         96
        .size:           4
        .value_kind:     by_value
      - .offset:         100
        .size:           4
        .value_kind:     by_value
      - .offset:         104
        .size:           4
        .value_kind:     by_value
      - .offset:         108
        .size:           1
        .value_kind:     by_value
    .group_segment_fixed_size: 2560
    .kernarg_segment_align: 8
    .kernarg_segment_size: 112
    .language:       OpenCL C
    .language_version:
      - 2
      - 0
    .max_flat_workgroup_size: 128
    .name:           _ZN9rocsparseL5csrsmILj128ELj64ELb1Eli21rocsparse_complex_numIdEEEv20rocsparse_operation_T3_S4_NS_24const_host_device_scalarIT4_EEPKT2_PKS4_PKS6_PS6_lPiSC_PS4_21rocsparse_index_base_20rocsparse_fill_mode_20rocsparse_diag_type_b
    .private_segment_fixed_size: 16
    .sgpr_count:     30
    .sgpr_spill_count: 0
    .symbol:         _ZN9rocsparseL5csrsmILj128ELj64ELb1Eli21rocsparse_complex_numIdEEEv20rocsparse_operation_T3_S4_NS_24const_host_device_scalarIT4_EEPKT2_PKS4_PKS6_PS6_lPiSC_PS4_21rocsparse_index_base_20rocsparse_fill_mode_20rocsparse_diag_type_b.kd
    .uniform_work_group_size: 1
    .uses_dynamic_stack: false
    .vgpr_count:     34
    .vgpr_spill_count: 0
    .wavefront_size: 32
  - .args:
      - .offset:         0
        .size:           4
        .value_kind:     by_value
      - .offset:         4
        .size:           4
        .value_kind:     by_value
      - .offset:         8
        .size:           4
        .value_kind:     by_value
      - .offset:         16
        .size:           16
        .value_kind:     by_value
      - .actual_access:  read_only
        .address_space:  global
        .offset:         32
        .size:           8
        .value_kind:     global_buffer
      - .actual_access:  read_only
        .address_space:  global
        .offset:         40
        .size:           8
        .value_kind:     global_buffer
      - .actual_access:  read_only
        .address_space:  global
        .offset:         48
        .size:           8
        .value_kind:     global_buffer
      - .address_space:  global
        .offset:         56
        .size:           8
        .value_kind:     global_buffer
      - .offset:         64
        .size:           8
        .value_kind:     by_value
      - .address_space:  global
        .offset:         72
        .size:           8
        .value_kind:     global_buffer
      - .actual_access:  read_only
        .address_space:  global
        .offset:         80
        .size:           8
        .value_kind:     global_buffer
      - .address_space:  global
        .offset:         88
        .size:           8
        .value_kind:     global_buffer
      - .offset:         96
        .size:           4
        .value_kind:     by_value
      - .offset:         100
        .size:           4
        .value_kind:     by_value
      - .offset:         104
        .size:           4
        .value_kind:     by_value
      - .offset:         108
        .size:           1
        .value_kind:     by_value
    .group_segment_fixed_size: 2560
    .kernarg_segment_align: 8
    .kernarg_segment_size: 112
    .language:       OpenCL C
    .language_version:
      - 2
      - 0
    .max_flat_workgroup_size: 128
    .name:           _ZN9rocsparseL5csrsmILj128ELj64ELb0Eli21rocsparse_complex_numIdEEEv20rocsparse_operation_T3_S4_NS_24const_host_device_scalarIT4_EEPKT2_PKS4_PKS6_PS6_lPiSC_PS4_21rocsparse_index_base_20rocsparse_fill_mode_20rocsparse_diag_type_b
    .private_segment_fixed_size: 16
    .sgpr_count:     30
    .sgpr_spill_count: 0
    .symbol:         _ZN9rocsparseL5csrsmILj128ELj64ELb0Eli21rocsparse_complex_numIdEEEv20rocsparse_operation_T3_S4_NS_24const_host_device_scalarIT4_EEPKT2_PKS4_PKS6_PS6_lPiSC_PS4_21rocsparse_index_base_20rocsparse_fill_mode_20rocsparse_diag_type_b.kd
    .uniform_work_group_size: 1
    .uses_dynamic_stack: false
    .vgpr_count:     34
    .vgpr_spill_count: 0
    .wavefront_size: 32
  - .args:
      - .offset:         0
        .size:           4
        .value_kind:     by_value
      - .offset:         4
        .size:           4
        .value_kind:     by_value
      - .offset:         8
        .size:           4
        .value_kind:     by_value
      - .offset:         16
        .size:           16
        .value_kind:     by_value
      - .actual_access:  read_only
        .address_space:  global
        .offset:         32
        .size:           8
        .value_kind:     global_buffer
      - .actual_access:  read_only
        .address_space:  global
        .offset:         40
        .size:           8
        .value_kind:     global_buffer
      - .actual_access:  read_only
        .address_space:  global
        .offset:         48
        .size:           8
        .value_kind:     global_buffer
      - .address_space:  global
        .offset:         56
        .size:           8
        .value_kind:     global_buffer
      - .offset:         64
        .size:           8
        .value_kind:     by_value
      - .address_space:  global
        .offset:         72
        .size:           8
        .value_kind:     global_buffer
      - .actual_access:  read_only
        .address_space:  global
        .offset:         80
        .size:           8
        .value_kind:     global_buffer
      - .address_space:  global
        .offset:         88
        .size:           8
        .value_kind:     global_buffer
      - .offset:         96
        .size:           4
        .value_kind:     by_value
      - .offset:         100
        .size:           4
        .value_kind:     by_value
      - .offset:         104
        .size:           4
        .value_kind:     by_value
      - .offset:         108
        .size:           1
        .value_kind:     by_value
    .group_segment_fixed_size: 5120
    .kernarg_segment_align: 8
    .kernarg_segment_size: 112
    .language:       OpenCL C
    .language_version:
      - 2
      - 0
    .max_flat_workgroup_size: 256
    .name:           _ZN9rocsparseL5csrsmILj256ELj64ELb1Eli21rocsparse_complex_numIdEEEv20rocsparse_operation_T3_S4_NS_24const_host_device_scalarIT4_EEPKT2_PKS4_PKS6_PS6_lPiSC_PS4_21rocsparse_index_base_20rocsparse_fill_mode_20rocsparse_diag_type_b
    .private_segment_fixed_size: 16
    .sgpr_count:     30
    .sgpr_spill_count: 0
    .symbol:         _ZN9rocsparseL5csrsmILj256ELj64ELb1Eli21rocsparse_complex_numIdEEEv20rocsparse_operation_T3_S4_NS_24const_host_device_scalarIT4_EEPKT2_PKS4_PKS6_PS6_lPiSC_PS4_21rocsparse_index_base_20rocsparse_fill_mode_20rocsparse_diag_type_b.kd
    .uniform_work_group_size: 1
    .uses_dynamic_stack: false
    .vgpr_count:     34
    .vgpr_spill_count: 0
    .wavefront_size: 32
  - .args:
      - .offset:         0
        .size:           4
        .value_kind:     by_value
      - .offset:         4
        .size:           4
        .value_kind:     by_value
      - .offset:         8
        .size:           4
        .value_kind:     by_value
      - .offset:         16
        .size:           16
        .value_kind:     by_value
      - .actual_access:  read_only
        .address_space:  global
        .offset:         32
        .size:           8
        .value_kind:     global_buffer
      - .actual_access:  read_only
        .address_space:  global
        .offset:         40
        .size:           8
        .value_kind:     global_buffer
      - .actual_access:  read_only
        .address_space:  global
        .offset:         48
        .size:           8
        .value_kind:     global_buffer
      - .address_space:  global
        .offset:         56
        .size:           8
        .value_kind:     global_buffer
      - .offset:         64
        .size:           8
        .value_kind:     by_value
      - .address_space:  global
        .offset:         72
        .size:           8
        .value_kind:     global_buffer
      - .actual_access:  read_only
        .address_space:  global
        .offset:         80
        .size:           8
        .value_kind:     global_buffer
      - .address_space:  global
        .offset:         88
        .size:           8
        .value_kind:     global_buffer
      - .offset:         96
        .size:           4
        .value_kind:     by_value
      - .offset:         100
        .size:           4
        .value_kind:     by_value
      - .offset:         104
        .size:           4
        .value_kind:     by_value
      - .offset:         108
        .size:           1
        .value_kind:     by_value
    .group_segment_fixed_size: 5120
    .kernarg_segment_align: 8
    .kernarg_segment_size: 112
    .language:       OpenCL C
    .language_version:
      - 2
      - 0
    .max_flat_workgroup_size: 256
    .name:           _ZN9rocsparseL5csrsmILj256ELj64ELb0Eli21rocsparse_complex_numIdEEEv20rocsparse_operation_T3_S4_NS_24const_host_device_scalarIT4_EEPKT2_PKS4_PKS6_PS6_lPiSC_PS4_21rocsparse_index_base_20rocsparse_fill_mode_20rocsparse_diag_type_b
    .private_segment_fixed_size: 16
    .sgpr_count:     30
    .sgpr_spill_count: 0
    .symbol:         _ZN9rocsparseL5csrsmILj256ELj64ELb0Eli21rocsparse_complex_numIdEEEv20rocsparse_operation_T3_S4_NS_24const_host_device_scalarIT4_EEPKT2_PKS4_PKS6_PS6_lPiSC_PS4_21rocsparse_index_base_20rocsparse_fill_mode_20rocsparse_diag_type_b.kd
    .uniform_work_group_size: 1
    .uses_dynamic_stack: false
    .vgpr_count:     34
    .vgpr_spill_count: 0
    .wavefront_size: 32
  - .args:
      - .offset:         0
        .size:           4
        .value_kind:     by_value
      - .offset:         4
        .size:           4
        .value_kind:     by_value
      - .offset:         8
        .size:           4
        .value_kind:     by_value
      - .offset:         16
        .size:           16
        .value_kind:     by_value
      - .actual_access:  read_only
        .address_space:  global
        .offset:         32
        .size:           8
        .value_kind:     global_buffer
      - .actual_access:  read_only
        .address_space:  global
        .offset:         40
        .size:           8
        .value_kind:     global_buffer
      - .actual_access:  read_only
        .address_space:  global
        .offset:         48
        .size:           8
        .value_kind:     global_buffer
      - .address_space:  global
        .offset:         56
        .size:           8
        .value_kind:     global_buffer
      - .offset:         64
        .size:           8
        .value_kind:     by_value
      - .address_space:  global
        .offset:         72
        .size:           8
        .value_kind:     global_buffer
      - .actual_access:  read_only
        .address_space:  global
        .offset:         80
        .size:           8
        .value_kind:     global_buffer
      - .address_space:  global
        .offset:         88
        .size:           8
        .value_kind:     global_buffer
      - .offset:         96
        .size:           4
        .value_kind:     by_value
      - .offset:         100
        .size:           4
        .value_kind:     by_value
      - .offset:         104
        .size:           4
        .value_kind:     by_value
      - .offset:         108
        .size:           1
        .value_kind:     by_value
    .group_segment_fixed_size: 10240
    .kernarg_segment_align: 8
    .kernarg_segment_size: 112
    .language:       OpenCL C
    .language_version:
      - 2
      - 0
    .max_flat_workgroup_size: 512
    .name:           _ZN9rocsparseL5csrsmILj512ELj64ELb1Eli21rocsparse_complex_numIdEEEv20rocsparse_operation_T3_S4_NS_24const_host_device_scalarIT4_EEPKT2_PKS4_PKS6_PS6_lPiSC_PS4_21rocsparse_index_base_20rocsparse_fill_mode_20rocsparse_diag_type_b
    .private_segment_fixed_size: 16
    .sgpr_count:     30
    .sgpr_spill_count: 0
    .symbol:         _ZN9rocsparseL5csrsmILj512ELj64ELb1Eli21rocsparse_complex_numIdEEEv20rocsparse_operation_T3_S4_NS_24const_host_device_scalarIT4_EEPKT2_PKS4_PKS6_PS6_lPiSC_PS4_21rocsparse_index_base_20rocsparse_fill_mode_20rocsparse_diag_type_b.kd
    .uniform_work_group_size: 1
    .uses_dynamic_stack: false
    .vgpr_count:     34
    .vgpr_spill_count: 0
    .wavefront_size: 32
  - .args:
      - .offset:         0
        .size:           4
        .value_kind:     by_value
      - .offset:         4
        .size:           4
        .value_kind:     by_value
      - .offset:         8
        .size:           4
        .value_kind:     by_value
      - .offset:         16
        .size:           16
        .value_kind:     by_value
      - .actual_access:  read_only
        .address_space:  global
        .offset:         32
        .size:           8
        .value_kind:     global_buffer
      - .actual_access:  read_only
        .address_space:  global
        .offset:         40
        .size:           8
        .value_kind:     global_buffer
      - .actual_access:  read_only
        .address_space:  global
        .offset:         48
        .size:           8
        .value_kind:     global_buffer
      - .address_space:  global
        .offset:         56
        .size:           8
        .value_kind:     global_buffer
      - .offset:         64
        .size:           8
        .value_kind:     by_value
      - .address_space:  global
        .offset:         72
        .size:           8
        .value_kind:     global_buffer
      - .actual_access:  read_only
        .address_space:  global
        .offset:         80
        .size:           8
        .value_kind:     global_buffer
      - .address_space:  global
        .offset:         88
        .size:           8
        .value_kind:     global_buffer
      - .offset:         96
        .size:           4
        .value_kind:     by_value
      - .offset:         100
        .size:           4
        .value_kind:     by_value
      - .offset:         104
        .size:           4
        .value_kind:     by_value
      - .offset:         108
        .size:           1
        .value_kind:     by_value
    .group_segment_fixed_size: 10240
    .kernarg_segment_align: 8
    .kernarg_segment_size: 112
    .language:       OpenCL C
    .language_version:
      - 2
      - 0
    .max_flat_workgroup_size: 512
    .name:           _ZN9rocsparseL5csrsmILj512ELj64ELb0Eli21rocsparse_complex_numIdEEEv20rocsparse_operation_T3_S4_NS_24const_host_device_scalarIT4_EEPKT2_PKS4_PKS6_PS6_lPiSC_PS4_21rocsparse_index_base_20rocsparse_fill_mode_20rocsparse_diag_type_b
    .private_segment_fixed_size: 16
    .sgpr_count:     30
    .sgpr_spill_count: 0
    .symbol:         _ZN9rocsparseL5csrsmILj512ELj64ELb0Eli21rocsparse_complex_numIdEEEv20rocsparse_operation_T3_S4_NS_24const_host_device_scalarIT4_EEPKT2_PKS4_PKS6_PS6_lPiSC_PS4_21rocsparse_index_base_20rocsparse_fill_mode_20rocsparse_diag_type_b.kd
    .uniform_work_group_size: 1
    .uses_dynamic_stack: false
    .vgpr_count:     34
    .vgpr_spill_count: 0
    .wavefront_size: 32
  - .args:
      - .offset:         0
        .size:           4
        .value_kind:     by_value
      - .offset:         4
        .size:           4
        .value_kind:     by_value
      - .offset:         8
        .size:           4
        .value_kind:     by_value
      - .offset:         16
        .size:           16
        .value_kind:     by_value
      - .actual_access:  read_only
        .address_space:  global
        .offset:         32
        .size:           8
        .value_kind:     global_buffer
      - .actual_access:  read_only
        .address_space:  global
        .offset:         40
        .size:           8
        .value_kind:     global_buffer
      - .actual_access:  read_only
        .address_space:  global
        .offset:         48
        .size:           8
        .value_kind:     global_buffer
      - .address_space:  global
        .offset:         56
        .size:           8
        .value_kind:     global_buffer
      - .offset:         64
        .size:           8
        .value_kind:     by_value
      - .address_space:  global
        .offset:         72
        .size:           8
        .value_kind:     global_buffer
      - .actual_access:  read_only
        .address_space:  global
        .offset:         80
        .size:           8
        .value_kind:     global_buffer
      - .address_space:  global
        .offset:         88
        .size:           8
        .value_kind:     global_buffer
      - .offset:         96
        .size:           4
        .value_kind:     by_value
      - .offset:         100
        .size:           4
        .value_kind:     by_value
      - .offset:         104
        .size:           4
        .value_kind:     by_value
      - .offset:         108
        .size:           1
        .value_kind:     by_value
    .group_segment_fixed_size: 20480
    .kernarg_segment_align: 8
    .kernarg_segment_size: 112
    .language:       OpenCL C
    .language_version:
      - 2
      - 0
    .max_flat_workgroup_size: 1024
    .name:           _ZN9rocsparseL5csrsmILj1024ELj64ELb1Eli21rocsparse_complex_numIdEEEv20rocsparse_operation_T3_S4_NS_24const_host_device_scalarIT4_EEPKT2_PKS4_PKS6_PS6_lPiSC_PS4_21rocsparse_index_base_20rocsparse_fill_mode_20rocsparse_diag_type_b
    .private_segment_fixed_size: 16
    .sgpr_count:     30
    .sgpr_spill_count: 0
    .symbol:         _ZN9rocsparseL5csrsmILj1024ELj64ELb1Eli21rocsparse_complex_numIdEEEv20rocsparse_operation_T3_S4_NS_24const_host_device_scalarIT4_EEPKT2_PKS4_PKS6_PS6_lPiSC_PS4_21rocsparse_index_base_20rocsparse_fill_mode_20rocsparse_diag_type_b.kd
    .uniform_work_group_size: 1
    .uses_dynamic_stack: false
    .vgpr_count:     36
    .vgpr_spill_count: 0
    .wavefront_size: 32
  - .args:
      - .offset:         0
        .size:           4
        .value_kind:     by_value
      - .offset:         4
        .size:           4
        .value_kind:     by_value
      - .offset:         8
        .size:           4
        .value_kind:     by_value
      - .offset:         16
        .size:           16
        .value_kind:     by_value
      - .actual_access:  read_only
        .address_space:  global
        .offset:         32
        .size:           8
        .value_kind:     global_buffer
      - .actual_access:  read_only
        .address_space:  global
        .offset:         40
        .size:           8
        .value_kind:     global_buffer
      - .actual_access:  read_only
        .address_space:  global
        .offset:         48
        .size:           8
        .value_kind:     global_buffer
      - .address_space:  global
        .offset:         56
        .size:           8
        .value_kind:     global_buffer
      - .offset:         64
        .size:           8
        .value_kind:     by_value
      - .address_space:  global
        .offset:         72
        .size:           8
        .value_kind:     global_buffer
      - .actual_access:  read_only
        .address_space:  global
        .offset:         80
        .size:           8
        .value_kind:     global_buffer
      - .address_space:  global
        .offset:         88
        .size:           8
        .value_kind:     global_buffer
      - .offset:         96
        .size:           4
        .value_kind:     by_value
      - .offset:         100
        .size:           4
        .value_kind:     by_value
      - .offset:         104
        .size:           4
        .value_kind:     by_value
      - .offset:         108
        .size:           1
        .value_kind:     by_value
    .group_segment_fixed_size: 20480
    .kernarg_segment_align: 8
    .kernarg_segment_size: 112
    .language:       OpenCL C
    .language_version:
      - 2
      - 0
    .max_flat_workgroup_size: 1024
    .name:           _ZN9rocsparseL5csrsmILj1024ELj64ELb0Eli21rocsparse_complex_numIdEEEv20rocsparse_operation_T3_S4_NS_24const_host_device_scalarIT4_EEPKT2_PKS4_PKS6_PS6_lPiSC_PS4_21rocsparse_index_base_20rocsparse_fill_mode_20rocsparse_diag_type_b
    .private_segment_fixed_size: 16
    .sgpr_count:     30
    .sgpr_spill_count: 0
    .symbol:         _ZN9rocsparseL5csrsmILj1024ELj64ELb0Eli21rocsparse_complex_numIdEEEv20rocsparse_operation_T3_S4_NS_24const_host_device_scalarIT4_EEPKT2_PKS4_PKS6_PS6_lPiSC_PS4_21rocsparse_index_base_20rocsparse_fill_mode_20rocsparse_diag_type_b.kd
    .uniform_work_group_size: 1
    .uses_dynamic_stack: false
    .vgpr_count:     36
    .vgpr_spill_count: 0
    .wavefront_size: 32
  - .args:
      - .offset:         0
        .size:           4
        .value_kind:     by_value
      - .offset:         8
        .size:           8
        .value_kind:     by_value
      - .offset:         16
        .size:           8
        .value_kind:     by_value
      - .offset:         24
        .size:           8
        .value_kind:     by_value
      - .actual_access:  read_only
        .address_space:  global
        .offset:         32
        .size:           8
        .value_kind:     global_buffer
      - .actual_access:  read_only
        .address_space:  global
        .offset:         40
        .size:           8
        .value_kind:     global_buffer
      - .actual_access:  read_only
        .address_space:  global
        .offset:         48
        .size:           8
        .value_kind:     global_buffer
      - .address_space:  global
        .offset:         56
        .size:           8
        .value_kind:     global_buffer
      - .offset:         64
        .size:           8
        .value_kind:     by_value
      - .address_space:  global
        .offset:         72
        .size:           8
        .value_kind:     global_buffer
      - .actual_access:  read_only
        .address_space:  global
        .offset:         80
        .size:           8
        .value_kind:     global_buffer
      - .address_space:  global
        .offset:         88
        .size:           8
        .value_kind:     global_buffer
      - .offset:         96
        .size:           4
        .value_kind:     by_value
      - .offset:         100
        .size:           4
        .value_kind:     by_value
      - .offset:         104
        .size:           4
        .value_kind:     by_value
      - .offset:         108
        .size:           1
        .value_kind:     by_value
    .group_segment_fixed_size: 768
    .kernarg_segment_align: 8
    .kernarg_segment_size: 112
    .language:       OpenCL C
    .language_version:
      - 2
      - 0
    .max_flat_workgroup_size: 64
    .name:           _ZN9rocsparseL5csrsmILj64ELj64ELb1EllfEEv20rocsparse_operation_T3_S2_NS_24const_host_device_scalarIT4_EEPKT2_PKS2_PKS4_PS4_lPiSA_PS2_21rocsparse_index_base_20rocsparse_fill_mode_20rocsparse_diag_type_b
    .private_segment_fixed_size: 0
    .sgpr_count:     40
    .sgpr_spill_count: 0
    .symbol:         _ZN9rocsparseL5csrsmILj64ELj64ELb1EllfEEv20rocsparse_operation_T3_S2_NS_24const_host_device_scalarIT4_EEPKT2_PKS2_PKS4_PS4_lPiSA_PS2_21rocsparse_index_base_20rocsparse_fill_mode_20rocsparse_diag_type_b.kd
    .uniform_work_group_size: 1
    .uses_dynamic_stack: false
    .vgpr_count:     19
    .vgpr_spill_count: 0
    .wavefront_size: 32
  - .args:
      - .offset:         0
        .size:           4
        .value_kind:     by_value
      - .offset:         8
        .size:           8
        .value_kind:     by_value
      - .offset:         16
        .size:           8
        .value_kind:     by_value
      - .offset:         24
        .size:           8
        .value_kind:     by_value
      - .actual_access:  read_only
        .address_space:  global
        .offset:         32
        .size:           8
        .value_kind:     global_buffer
      - .actual_access:  read_only
        .address_space:  global
        .offset:         40
        .size:           8
        .value_kind:     global_buffer
      - .actual_access:  read_only
        .address_space:  global
        .offset:         48
        .size:           8
        .value_kind:     global_buffer
      - .address_space:  global
        .offset:         56
        .size:           8
        .value_kind:     global_buffer
      - .offset:         64
        .size:           8
        .value_kind:     by_value
      - .address_space:  global
        .offset:         72
        .size:           8
        .value_kind:     global_buffer
      - .actual_access:  read_only
        .address_space:  global
        .offset:         80
        .size:           8
        .value_kind:     global_buffer
      - .address_space:  global
        .offset:         88
        .size:           8
        .value_kind:     global_buffer
      - .offset:         96
        .size:           4
        .value_kind:     by_value
      - .offset:         100
        .size:           4
        .value_kind:     by_value
      - .offset:         104
        .size:           4
        .value_kind:     by_value
      - .offset:         108
        .size:           1
        .value_kind:     by_value
    .group_segment_fixed_size: 768
    .kernarg_segment_align: 8
    .kernarg_segment_size: 112
    .language:       OpenCL C
    .language_version:
      - 2
      - 0
    .max_flat_workgroup_size: 64
    .name:           _ZN9rocsparseL5csrsmILj64ELj64ELb0EllfEEv20rocsparse_operation_T3_S2_NS_24const_host_device_scalarIT4_EEPKT2_PKS2_PKS4_PS4_lPiSA_PS2_21rocsparse_index_base_20rocsparse_fill_mode_20rocsparse_diag_type_b
    .private_segment_fixed_size: 0
    .sgpr_count:     40
    .sgpr_spill_count: 0
    .symbol:         _ZN9rocsparseL5csrsmILj64ELj64ELb0EllfEEv20rocsparse_operation_T3_S2_NS_24const_host_device_scalarIT4_EEPKT2_PKS2_PKS4_PS4_lPiSA_PS2_21rocsparse_index_base_20rocsparse_fill_mode_20rocsparse_diag_type_b.kd
    .uniform_work_group_size: 1
    .uses_dynamic_stack: false
    .vgpr_count:     19
    .vgpr_spill_count: 0
    .wavefront_size: 32
  - .args:
      - .offset:         0
        .size:           4
        .value_kind:     by_value
      - .offset:         8
        .size:           8
        .value_kind:     by_value
      - .offset:         16
        .size:           8
        .value_kind:     by_value
      - .offset:         24
        .size:           8
        .value_kind:     by_value
      - .actual_access:  read_only
        .address_space:  global
        .offset:         32
        .size:           8
        .value_kind:     global_buffer
      - .actual_access:  read_only
        .address_space:  global
        .offset:         40
        .size:           8
        .value_kind:     global_buffer
      - .actual_access:  read_only
        .address_space:  global
        .offset:         48
        .size:           8
        .value_kind:     global_buffer
      - .address_space:  global
        .offset:         56
        .size:           8
        .value_kind:     global_buffer
      - .offset:         64
        .size:           8
        .value_kind:     by_value
      - .address_space:  global
        .offset:         72
        .size:           8
        .value_kind:     global_buffer
      - .actual_access:  read_only
        .address_space:  global
        .offset:         80
        .size:           8
        .value_kind:     global_buffer
      - .address_space:  global
        .offset:         88
        .size:           8
        .value_kind:     global_buffer
      - .offset:         96
        .size:           4
        .value_kind:     by_value
      - .offset:         100
        .size:           4
        .value_kind:     by_value
      - .offset:         104
        .size:           4
        .value_kind:     by_value
      - .offset:         108
        .size:           1
        .value_kind:     by_value
    .group_segment_fixed_size: 1536
    .kernarg_segment_align: 8
    .kernarg_segment_size: 112
    .language:       OpenCL C
    .language_version:
      - 2
      - 0
    .max_flat_workgroup_size: 128
    .name:           _ZN9rocsparseL5csrsmILj128ELj64ELb1EllfEEv20rocsparse_operation_T3_S2_NS_24const_host_device_scalarIT4_EEPKT2_PKS2_PKS4_PS4_lPiSA_PS2_21rocsparse_index_base_20rocsparse_fill_mode_20rocsparse_diag_type_b
    .private_segment_fixed_size: 0
    .sgpr_count:     40
    .sgpr_spill_count: 0
    .symbol:         _ZN9rocsparseL5csrsmILj128ELj64ELb1EllfEEv20rocsparse_operation_T3_S2_NS_24const_host_device_scalarIT4_EEPKT2_PKS2_PKS4_PS4_lPiSA_PS2_21rocsparse_index_base_20rocsparse_fill_mode_20rocsparse_diag_type_b.kd
    .uniform_work_group_size: 1
    .uses_dynamic_stack: false
    .vgpr_count:     19
    .vgpr_spill_count: 0
    .wavefront_size: 32
  - .args:
      - .offset:         0
        .size:           4
        .value_kind:     by_value
      - .offset:         8
        .size:           8
        .value_kind:     by_value
      - .offset:         16
        .size:           8
        .value_kind:     by_value
      - .offset:         24
        .size:           8
        .value_kind:     by_value
      - .actual_access:  read_only
        .address_space:  global
        .offset:         32
        .size:           8
        .value_kind:     global_buffer
      - .actual_access:  read_only
        .address_space:  global
        .offset:         40
        .size:           8
        .value_kind:     global_buffer
      - .actual_access:  read_only
        .address_space:  global
        .offset:         48
        .size:           8
        .value_kind:     global_buffer
      - .address_space:  global
        .offset:         56
        .size:           8
        .value_kind:     global_buffer
      - .offset:         64
        .size:           8
        .value_kind:     by_value
      - .address_space:  global
        .offset:         72
        .size:           8
        .value_kind:     global_buffer
      - .actual_access:  read_only
        .address_space:  global
        .offset:         80
        .size:           8
        .value_kind:     global_buffer
      - .address_space:  global
        .offset:         88
        .size:           8
        .value_kind:     global_buffer
      - .offset:         96
        .size:           4
        .value_kind:     by_value
      - .offset:         100
        .size:           4
        .value_kind:     by_value
      - .offset:         104
        .size:           4
        .value_kind:     by_value
      - .offset:         108
        .size:           1
        .value_kind:     by_value
    .group_segment_fixed_size: 1536
    .kernarg_segment_align: 8
    .kernarg_segment_size: 112
    .language:       OpenCL C
    .language_version:
      - 2
      - 0
    .max_flat_workgroup_size: 128
    .name:           _ZN9rocsparseL5csrsmILj128ELj64ELb0EllfEEv20rocsparse_operation_T3_S2_NS_24const_host_device_scalarIT4_EEPKT2_PKS2_PKS4_PS4_lPiSA_PS2_21rocsparse_index_base_20rocsparse_fill_mode_20rocsparse_diag_type_b
    .private_segment_fixed_size: 0
    .sgpr_count:     40
    .sgpr_spill_count: 0
    .symbol:         _ZN9rocsparseL5csrsmILj128ELj64ELb0EllfEEv20rocsparse_operation_T3_S2_NS_24const_host_device_scalarIT4_EEPKT2_PKS2_PKS4_PS4_lPiSA_PS2_21rocsparse_index_base_20rocsparse_fill_mode_20rocsparse_diag_type_b.kd
    .uniform_work_group_size: 1
    .uses_dynamic_stack: false
    .vgpr_count:     19
    .vgpr_spill_count: 0
    .wavefront_size: 32
  - .args:
      - .offset:         0
        .size:           4
        .value_kind:     by_value
      - .offset:         8
        .size:           8
        .value_kind:     by_value
      - .offset:         16
        .size:           8
        .value_kind:     by_value
      - .offset:         24
        .size:           8
        .value_kind:     by_value
      - .actual_access:  read_only
        .address_space:  global
        .offset:         32
        .size:           8
        .value_kind:     global_buffer
      - .actual_access:  read_only
        .address_space:  global
        .offset:         40
        .size:           8
        .value_kind:     global_buffer
      - .actual_access:  read_only
        .address_space:  global
        .offset:         48
        .size:           8
        .value_kind:     global_buffer
      - .address_space:  global
        .offset:         56
        .size:           8
        .value_kind:     global_buffer
      - .offset:         64
        .size:           8
        .value_kind:     by_value
      - .address_space:  global
        .offset:         72
        .size:           8
        .value_kind:     global_buffer
      - .actual_access:  read_only
        .address_space:  global
        .offset:         80
        .size:           8
        .value_kind:     global_buffer
      - .address_space:  global
        .offset:         88
        .size:           8
        .value_kind:     global_buffer
      - .offset:         96
        .size:           4
        .value_kind:     by_value
      - .offset:         100
        .size:           4
        .value_kind:     by_value
      - .offset:         104
        .size:           4
        .value_kind:     by_value
      - .offset:         108
        .size:           1
        .value_kind:     by_value
    .group_segment_fixed_size: 3072
    .kernarg_segment_align: 8
    .kernarg_segment_size: 112
    .language:       OpenCL C
    .language_version:
      - 2
      - 0
    .max_flat_workgroup_size: 256
    .name:           _ZN9rocsparseL5csrsmILj256ELj64ELb1EllfEEv20rocsparse_operation_T3_S2_NS_24const_host_device_scalarIT4_EEPKT2_PKS2_PKS4_PS4_lPiSA_PS2_21rocsparse_index_base_20rocsparse_fill_mode_20rocsparse_diag_type_b
    .private_segment_fixed_size: 0
    .sgpr_count:     40
    .sgpr_spill_count: 0
    .symbol:         _ZN9rocsparseL5csrsmILj256ELj64ELb1EllfEEv20rocsparse_operation_T3_S2_NS_24const_host_device_scalarIT4_EEPKT2_PKS2_PKS4_PS4_lPiSA_PS2_21rocsparse_index_base_20rocsparse_fill_mode_20rocsparse_diag_type_b.kd
    .uniform_work_group_size: 1
    .uses_dynamic_stack: false
    .vgpr_count:     19
    .vgpr_spill_count: 0
    .wavefront_size: 32
  - .args:
      - .offset:         0
        .size:           4
        .value_kind:     by_value
      - .offset:         8
        .size:           8
        .value_kind:     by_value
      - .offset:         16
        .size:           8
        .value_kind:     by_value
      - .offset:         24
        .size:           8
        .value_kind:     by_value
      - .actual_access:  read_only
        .address_space:  global
        .offset:         32
        .size:           8
        .value_kind:     global_buffer
      - .actual_access:  read_only
        .address_space:  global
        .offset:         40
        .size:           8
        .value_kind:     global_buffer
      - .actual_access:  read_only
        .address_space:  global
        .offset:         48
        .size:           8
        .value_kind:     global_buffer
      - .address_space:  global
        .offset:         56
        .size:           8
        .value_kind:     global_buffer
      - .offset:         64
        .size:           8
        .value_kind:     by_value
      - .address_space:  global
        .offset:         72
        .size:           8
        .value_kind:     global_buffer
      - .actual_access:  read_only
        .address_space:  global
        .offset:         80
        .size:           8
        .value_kind:     global_buffer
      - .address_space:  global
        .offset:         88
        .size:           8
        .value_kind:     global_buffer
      - .offset:         96
        .size:           4
        .value_kind:     by_value
      - .offset:         100
        .size:           4
        .value_kind:     by_value
      - .offset:         104
        .size:           4
        .value_kind:     by_value
      - .offset:         108
        .size:           1
        .value_kind:     by_value
    .group_segment_fixed_size: 3072
    .kernarg_segment_align: 8
    .kernarg_segment_size: 112
    .language:       OpenCL C
    .language_version:
      - 2
      - 0
    .max_flat_workgroup_size: 256
    .name:           _ZN9rocsparseL5csrsmILj256ELj64ELb0EllfEEv20rocsparse_operation_T3_S2_NS_24const_host_device_scalarIT4_EEPKT2_PKS2_PKS4_PS4_lPiSA_PS2_21rocsparse_index_base_20rocsparse_fill_mode_20rocsparse_diag_type_b
    .private_segment_fixed_size: 0
    .sgpr_count:     40
    .sgpr_spill_count: 0
    .symbol:         _ZN9rocsparseL5csrsmILj256ELj64ELb0EllfEEv20rocsparse_operation_T3_S2_NS_24const_host_device_scalarIT4_EEPKT2_PKS2_PKS4_PS4_lPiSA_PS2_21rocsparse_index_base_20rocsparse_fill_mode_20rocsparse_diag_type_b.kd
    .uniform_work_group_size: 1
    .uses_dynamic_stack: false
    .vgpr_count:     19
    .vgpr_spill_count: 0
    .wavefront_size: 32
  - .args:
      - .offset:         0
        .size:           4
        .value_kind:     by_value
      - .offset:         8
        .size:           8
        .value_kind:     by_value
      - .offset:         16
        .size:           8
        .value_kind:     by_value
      - .offset:         24
        .size:           8
        .value_kind:     by_value
      - .actual_access:  read_only
        .address_space:  global
        .offset:         32
        .size:           8
        .value_kind:     global_buffer
      - .actual_access:  read_only
        .address_space:  global
        .offset:         40
        .size:           8
        .value_kind:     global_buffer
      - .actual_access:  read_only
        .address_space:  global
        .offset:         48
        .size:           8
        .value_kind:     global_buffer
      - .address_space:  global
        .offset:         56
        .size:           8
        .value_kind:     global_buffer
      - .offset:         64
        .size:           8
        .value_kind:     by_value
      - .address_space:  global
        .offset:         72
        .size:           8
        .value_kind:     global_buffer
      - .actual_access:  read_only
        .address_space:  global
        .offset:         80
        .size:           8
        .value_kind:     global_buffer
      - .address_space:  global
        .offset:         88
        .size:           8
        .value_kind:     global_buffer
      - .offset:         96
        .size:           4
        .value_kind:     by_value
      - .offset:         100
        .size:           4
        .value_kind:     by_value
      - .offset:         104
        .size:           4
        .value_kind:     by_value
      - .offset:         108
        .size:           1
        .value_kind:     by_value
    .group_segment_fixed_size: 6144
    .kernarg_segment_align: 8
    .kernarg_segment_size: 112
    .language:       OpenCL C
    .language_version:
      - 2
      - 0
    .max_flat_workgroup_size: 512
    .name:           _ZN9rocsparseL5csrsmILj512ELj64ELb1EllfEEv20rocsparse_operation_T3_S2_NS_24const_host_device_scalarIT4_EEPKT2_PKS2_PKS4_PS4_lPiSA_PS2_21rocsparse_index_base_20rocsparse_fill_mode_20rocsparse_diag_type_b
    .private_segment_fixed_size: 0
    .sgpr_count:     40
    .sgpr_spill_count: 0
    .symbol:         _ZN9rocsparseL5csrsmILj512ELj64ELb1EllfEEv20rocsparse_operation_T3_S2_NS_24const_host_device_scalarIT4_EEPKT2_PKS2_PKS4_PS4_lPiSA_PS2_21rocsparse_index_base_20rocsparse_fill_mode_20rocsparse_diag_type_b.kd
    .uniform_work_group_size: 1
    .uses_dynamic_stack: false
    .vgpr_count:     19
    .vgpr_spill_count: 0
    .wavefront_size: 32
  - .args:
      - .offset:         0
        .size:           4
        .value_kind:     by_value
      - .offset:         8
        .size:           8
        .value_kind:     by_value
      - .offset:         16
        .size:           8
        .value_kind:     by_value
      - .offset:         24
        .size:           8
        .value_kind:     by_value
      - .actual_access:  read_only
        .address_space:  global
        .offset:         32
        .size:           8
        .value_kind:     global_buffer
      - .actual_access:  read_only
        .address_space:  global
        .offset:         40
        .size:           8
        .value_kind:     global_buffer
      - .actual_access:  read_only
        .address_space:  global
        .offset:         48
        .size:           8
        .value_kind:     global_buffer
      - .address_space:  global
        .offset:         56
        .size:           8
        .value_kind:     global_buffer
      - .offset:         64
        .size:           8
        .value_kind:     by_value
      - .address_space:  global
        .offset:         72
        .size:           8
        .value_kind:     global_buffer
      - .actual_access:  read_only
        .address_space:  global
        .offset:         80
        .size:           8
        .value_kind:     global_buffer
      - .address_space:  global
        .offset:         88
        .size:           8
        .value_kind:     global_buffer
      - .offset:         96
        .size:           4
        .value_kind:     by_value
      - .offset:         100
        .size:           4
        .value_kind:     by_value
      - .offset:         104
        .size:           4
        .value_kind:     by_value
      - .offset:         108
        .size:           1
        .value_kind:     by_value
    .group_segment_fixed_size: 6144
    .kernarg_segment_align: 8
    .kernarg_segment_size: 112
    .language:       OpenCL C
    .language_version:
      - 2
      - 0
    .max_flat_workgroup_size: 512
    .name:           _ZN9rocsparseL5csrsmILj512ELj64ELb0EllfEEv20rocsparse_operation_T3_S2_NS_24const_host_device_scalarIT4_EEPKT2_PKS2_PKS4_PS4_lPiSA_PS2_21rocsparse_index_base_20rocsparse_fill_mode_20rocsparse_diag_type_b
    .private_segment_fixed_size: 0
    .sgpr_count:     40
    .sgpr_spill_count: 0
    .symbol:         _ZN9rocsparseL5csrsmILj512ELj64ELb0EllfEEv20rocsparse_operation_T3_S2_NS_24const_host_device_scalarIT4_EEPKT2_PKS2_PKS4_PS4_lPiSA_PS2_21rocsparse_index_base_20rocsparse_fill_mode_20rocsparse_diag_type_b.kd
    .uniform_work_group_size: 1
    .uses_dynamic_stack: false
    .vgpr_count:     19
    .vgpr_spill_count: 0
    .wavefront_size: 32
  - .args:
      - .offset:         0
        .size:           4
        .value_kind:     by_value
      - .offset:         8
        .size:           8
        .value_kind:     by_value
      - .offset:         16
        .size:           8
        .value_kind:     by_value
      - .offset:         24
        .size:           8
        .value_kind:     by_value
      - .actual_access:  read_only
        .address_space:  global
        .offset:         32
        .size:           8
        .value_kind:     global_buffer
      - .actual_access:  read_only
        .address_space:  global
        .offset:         40
        .size:           8
        .value_kind:     global_buffer
      - .actual_access:  read_only
        .address_space:  global
        .offset:         48
        .size:           8
        .value_kind:     global_buffer
      - .address_space:  global
        .offset:         56
        .size:           8
        .value_kind:     global_buffer
      - .offset:         64
        .size:           8
        .value_kind:     by_value
      - .address_space:  global
        .offset:         72
        .size:           8
        .value_kind:     global_buffer
      - .actual_access:  read_only
        .address_space:  global
        .offset:         80
        .size:           8
        .value_kind:     global_buffer
      - .address_space:  global
        .offset:         88
        .size:           8
        .value_kind:     global_buffer
      - .offset:         96
        .size:           4
        .value_kind:     by_value
      - .offset:         100
        .size:           4
        .value_kind:     by_value
      - .offset:         104
        .size:           4
        .value_kind:     by_value
      - .offset:         108
        .size:           1
        .value_kind:     by_value
    .group_segment_fixed_size: 12288
    .kernarg_segment_align: 8
    .kernarg_segment_size: 112
    .language:       OpenCL C
    .language_version:
      - 2
      - 0
    .max_flat_workgroup_size: 1024
    .name:           _ZN9rocsparseL5csrsmILj1024ELj64ELb1EllfEEv20rocsparse_operation_T3_S2_NS_24const_host_device_scalarIT4_EEPKT2_PKS2_PKS4_PS4_lPiSA_PS2_21rocsparse_index_base_20rocsparse_fill_mode_20rocsparse_diag_type_b
    .private_segment_fixed_size: 0
    .sgpr_count:     40
    .sgpr_spill_count: 0
    .symbol:         _ZN9rocsparseL5csrsmILj1024ELj64ELb1EllfEEv20rocsparse_operation_T3_S2_NS_24const_host_device_scalarIT4_EEPKT2_PKS2_PKS4_PS4_lPiSA_PS2_21rocsparse_index_base_20rocsparse_fill_mode_20rocsparse_diag_type_b.kd
    .uniform_work_group_size: 1
    .uses_dynamic_stack: false
    .vgpr_count:     19
    .vgpr_spill_count: 0
    .wavefront_size: 32
  - .args:
      - .offset:         0
        .size:           4
        .value_kind:     by_value
      - .offset:         8
        .size:           8
        .value_kind:     by_value
      - .offset:         16
        .size:           8
        .value_kind:     by_value
      - .offset:         24
        .size:           8
        .value_kind:     by_value
      - .actual_access:  read_only
        .address_space:  global
        .offset:         32
        .size:           8
        .value_kind:     global_buffer
      - .actual_access:  read_only
        .address_space:  global
        .offset:         40
        .size:           8
        .value_kind:     global_buffer
      - .actual_access:  read_only
        .address_space:  global
        .offset:         48
        .size:           8
        .value_kind:     global_buffer
      - .address_space:  global
        .offset:         56
        .size:           8
        .value_kind:     global_buffer
      - .offset:         64
        .size:           8
        .value_kind:     by_value
      - .address_space:  global
        .offset:         72
        .size:           8
        .value_kind:     global_buffer
      - .actual_access:  read_only
        .address_space:  global
        .offset:         80
        .size:           8
        .value_kind:     global_buffer
      - .address_space:  global
        .offset:         88
        .size:           8
        .value_kind:     global_buffer
      - .offset:         96
        .size:           4
        .value_kind:     by_value
      - .offset:         100
        .size:           4
        .value_kind:     by_value
      - .offset:         104
        .size:           4
        .value_kind:     by_value
      - .offset:         108
        .size:           1
        .value_kind:     by_value
    .group_segment_fixed_size: 12288
    .kernarg_segment_align: 8
    .kernarg_segment_size: 112
    .language:       OpenCL C
    .language_version:
      - 2
      - 0
    .max_flat_workgroup_size: 1024
    .name:           _ZN9rocsparseL5csrsmILj1024ELj64ELb0EllfEEv20rocsparse_operation_T3_S2_NS_24const_host_device_scalarIT4_EEPKT2_PKS2_PKS4_PS4_lPiSA_PS2_21rocsparse_index_base_20rocsparse_fill_mode_20rocsparse_diag_type_b
    .private_segment_fixed_size: 0
    .sgpr_count:     40
    .sgpr_spill_count: 0
    .symbol:         _ZN9rocsparseL5csrsmILj1024ELj64ELb0EllfEEv20rocsparse_operation_T3_S2_NS_24const_host_device_scalarIT4_EEPKT2_PKS2_PKS4_PS4_lPiSA_PS2_21rocsparse_index_base_20rocsparse_fill_mode_20rocsparse_diag_type_b.kd
    .uniform_work_group_size: 1
    .uses_dynamic_stack: false
    .vgpr_count:     19
    .vgpr_spill_count: 0
    .wavefront_size: 32
  - .args:
      - .offset:         0
        .size:           4
        .value_kind:     by_value
      - .offset:         8
        .size:           8
        .value_kind:     by_value
      - .offset:         16
        .size:           8
        .value_kind:     by_value
      - .offset:         24
        .size:           8
        .value_kind:     by_value
      - .actual_access:  read_only
        .address_space:  global
        .offset:         32
        .size:           8
        .value_kind:     global_buffer
      - .actual_access:  read_only
        .address_space:  global
        .offset:         40
        .size:           8
        .value_kind:     global_buffer
      - .actual_access:  read_only
        .address_space:  global
        .offset:         48
        .size:           8
        .value_kind:     global_buffer
      - .address_space:  global
        .offset:         56
        .size:           8
        .value_kind:     global_buffer
      - .offset:         64
        .size:           8
        .value_kind:     by_value
      - .address_space:  global
        .offset:         72
        .size:           8
        .value_kind:     global_buffer
      - .actual_access:  read_only
        .address_space:  global
        .offset:         80
        .size:           8
        .value_kind:     global_buffer
      - .address_space:  global
        .offset:         88
        .size:           8
        .value_kind:     global_buffer
      - .offset:         96
        .size:           4
        .value_kind:     by_value
      - .offset:         100
        .size:           4
        .value_kind:     by_value
      - .offset:         104
        .size:           4
        .value_kind:     by_value
      - .offset:         108
        .size:           1
        .value_kind:     by_value
    .group_segment_fixed_size: 1024
    .kernarg_segment_align: 8
    .kernarg_segment_size: 112
    .language:       OpenCL C
    .language_version:
      - 2
      - 0
    .max_flat_workgroup_size: 64
    .name:           _ZN9rocsparseL5csrsmILj64ELj64ELb1ElldEEv20rocsparse_operation_T3_S2_NS_24const_host_device_scalarIT4_EEPKT2_PKS2_PKS4_PS4_lPiSA_PS2_21rocsparse_index_base_20rocsparse_fill_mode_20rocsparse_diag_type_b
    .private_segment_fixed_size: 0
    .sgpr_count:     40
    .sgpr_spill_count: 0
    .symbol:         _ZN9rocsparseL5csrsmILj64ELj64ELb1ElldEEv20rocsparse_operation_T3_S2_NS_24const_host_device_scalarIT4_EEPKT2_PKS2_PKS4_PS4_lPiSA_PS2_21rocsparse_index_base_20rocsparse_fill_mode_20rocsparse_diag_type_b.kd
    .uniform_work_group_size: 1
    .uses_dynamic_stack: false
    .vgpr_count:     26
    .vgpr_spill_count: 0
    .wavefront_size: 32
  - .args:
      - .offset:         0
        .size:           4
        .value_kind:     by_value
      - .offset:         8
        .size:           8
        .value_kind:     by_value
      - .offset:         16
        .size:           8
        .value_kind:     by_value
      - .offset:         24
        .size:           8
        .value_kind:     by_value
      - .actual_access:  read_only
        .address_space:  global
        .offset:         32
        .size:           8
        .value_kind:     global_buffer
      - .actual_access:  read_only
        .address_space:  global
        .offset:         40
        .size:           8
        .value_kind:     global_buffer
      - .actual_access:  read_only
        .address_space:  global
        .offset:         48
        .size:           8
        .value_kind:     global_buffer
      - .address_space:  global
        .offset:         56
        .size:           8
        .value_kind:     global_buffer
      - .offset:         64
        .size:           8
        .value_kind:     by_value
      - .address_space:  global
        .offset:         72
        .size:           8
        .value_kind:     global_buffer
      - .actual_access:  read_only
        .address_space:  global
        .offset:         80
        .size:           8
        .value_kind:     global_buffer
      - .address_space:  global
        .offset:         88
        .size:           8
        .value_kind:     global_buffer
      - .offset:         96
        .size:           4
        .value_kind:     by_value
      - .offset:         100
        .size:           4
        .value_kind:     by_value
      - .offset:         104
        .size:           4
        .value_kind:     by_value
      - .offset:         108
        .size:           1
        .value_kind:     by_value
    .group_segment_fixed_size: 1024
    .kernarg_segment_align: 8
    .kernarg_segment_size: 112
    .language:       OpenCL C
    .language_version:
      - 2
      - 0
    .max_flat_workgroup_size: 64
    .name:           _ZN9rocsparseL5csrsmILj64ELj64ELb0ElldEEv20rocsparse_operation_T3_S2_NS_24const_host_device_scalarIT4_EEPKT2_PKS2_PKS4_PS4_lPiSA_PS2_21rocsparse_index_base_20rocsparse_fill_mode_20rocsparse_diag_type_b
    .private_segment_fixed_size: 0
    .sgpr_count:     40
    .sgpr_spill_count: 0
    .symbol:         _ZN9rocsparseL5csrsmILj64ELj64ELb0ElldEEv20rocsparse_operation_T3_S2_NS_24const_host_device_scalarIT4_EEPKT2_PKS2_PKS4_PS4_lPiSA_PS2_21rocsparse_index_base_20rocsparse_fill_mode_20rocsparse_diag_type_b.kd
    .uniform_work_group_size: 1
    .uses_dynamic_stack: false
    .vgpr_count:     26
    .vgpr_spill_count: 0
    .wavefront_size: 32
  - .args:
      - .offset:         0
        .size:           4
        .value_kind:     by_value
      - .offset:         8
        .size:           8
        .value_kind:     by_value
      - .offset:         16
        .size:           8
        .value_kind:     by_value
      - .offset:         24
        .size:           8
        .value_kind:     by_value
      - .actual_access:  read_only
        .address_space:  global
        .offset:         32
        .size:           8
        .value_kind:     global_buffer
      - .actual_access:  read_only
        .address_space:  global
        .offset:         40
        .size:           8
        .value_kind:     global_buffer
      - .actual_access:  read_only
        .address_space:  global
        .offset:         48
        .size:           8
        .value_kind:     global_buffer
      - .address_space:  global
        .offset:         56
        .size:           8
        .value_kind:     global_buffer
      - .offset:         64
        .size:           8
        .value_kind:     by_value
      - .address_space:  global
        .offset:         72
        .size:           8
        .value_kind:     global_buffer
      - .actual_access:  read_only
        .address_space:  global
        .offset:         80
        .size:           8
        .value_kind:     global_buffer
      - .address_space:  global
        .offset:         88
        .size:           8
        .value_kind:     global_buffer
      - .offset:         96
        .size:           4
        .value_kind:     by_value
      - .offset:         100
        .size:           4
        .value_kind:     by_value
      - .offset:         104
        .size:           4
        .value_kind:     by_value
      - .offset:         108
        .size:           1
        .value_kind:     by_value
    .group_segment_fixed_size: 2048
    .kernarg_segment_align: 8
    .kernarg_segment_size: 112
    .language:       OpenCL C
    .language_version:
      - 2
      - 0
    .max_flat_workgroup_size: 128
    .name:           _ZN9rocsparseL5csrsmILj128ELj64ELb1ElldEEv20rocsparse_operation_T3_S2_NS_24const_host_device_scalarIT4_EEPKT2_PKS2_PKS4_PS4_lPiSA_PS2_21rocsparse_index_base_20rocsparse_fill_mode_20rocsparse_diag_type_b
    .private_segment_fixed_size: 0
    .sgpr_count:     40
    .sgpr_spill_count: 0
    .symbol:         _ZN9rocsparseL5csrsmILj128ELj64ELb1ElldEEv20rocsparse_operation_T3_S2_NS_24const_host_device_scalarIT4_EEPKT2_PKS2_PKS4_PS4_lPiSA_PS2_21rocsparse_index_base_20rocsparse_fill_mode_20rocsparse_diag_type_b.kd
    .uniform_work_group_size: 1
    .uses_dynamic_stack: false
    .vgpr_count:     26
    .vgpr_spill_count: 0
    .wavefront_size: 32
  - .args:
      - .offset:         0
        .size:           4
        .value_kind:     by_value
      - .offset:         8
        .size:           8
        .value_kind:     by_value
      - .offset:         16
        .size:           8
        .value_kind:     by_value
      - .offset:         24
        .size:           8
        .value_kind:     by_value
      - .actual_access:  read_only
        .address_space:  global
        .offset:         32
        .size:           8
        .value_kind:     global_buffer
      - .actual_access:  read_only
        .address_space:  global
        .offset:         40
        .size:           8
        .value_kind:     global_buffer
      - .actual_access:  read_only
        .address_space:  global
        .offset:         48
        .size:           8
        .value_kind:     global_buffer
      - .address_space:  global
        .offset:         56
        .size:           8
        .value_kind:     global_buffer
      - .offset:         64
        .size:           8
        .value_kind:     by_value
      - .address_space:  global
        .offset:         72
        .size:           8
        .value_kind:     global_buffer
      - .actual_access:  read_only
        .address_space:  global
        .offset:         80
        .size:           8
        .value_kind:     global_buffer
      - .address_space:  global
        .offset:         88
        .size:           8
        .value_kind:     global_buffer
      - .offset:         96
        .size:           4
        .value_kind:     by_value
      - .offset:         100
        .size:           4
        .value_kind:     by_value
      - .offset:         104
        .size:           4
        .value_kind:     by_value
      - .offset:         108
        .size:           1
        .value_kind:     by_value
    .group_segment_fixed_size: 2048
    .kernarg_segment_align: 8
    .kernarg_segment_size: 112
    .language:       OpenCL C
    .language_version:
      - 2
      - 0
    .max_flat_workgroup_size: 128
    .name:           _ZN9rocsparseL5csrsmILj128ELj64ELb0ElldEEv20rocsparse_operation_T3_S2_NS_24const_host_device_scalarIT4_EEPKT2_PKS2_PKS4_PS4_lPiSA_PS2_21rocsparse_index_base_20rocsparse_fill_mode_20rocsparse_diag_type_b
    .private_segment_fixed_size: 0
    .sgpr_count:     40
    .sgpr_spill_count: 0
    .symbol:         _ZN9rocsparseL5csrsmILj128ELj64ELb0ElldEEv20rocsparse_operation_T3_S2_NS_24const_host_device_scalarIT4_EEPKT2_PKS2_PKS4_PS4_lPiSA_PS2_21rocsparse_index_base_20rocsparse_fill_mode_20rocsparse_diag_type_b.kd
    .uniform_work_group_size: 1
    .uses_dynamic_stack: false
    .vgpr_count:     26
    .vgpr_spill_count: 0
    .wavefront_size: 32
  - .args:
      - .offset:         0
        .size:           4
        .value_kind:     by_value
      - .offset:         8
        .size:           8
        .value_kind:     by_value
      - .offset:         16
        .size:           8
        .value_kind:     by_value
      - .offset:         24
        .size:           8
        .value_kind:     by_value
      - .actual_access:  read_only
        .address_space:  global
        .offset:         32
        .size:           8
        .value_kind:     global_buffer
      - .actual_access:  read_only
        .address_space:  global
        .offset:         40
        .size:           8
        .value_kind:     global_buffer
      - .actual_access:  read_only
        .address_space:  global
        .offset:         48
        .size:           8
        .value_kind:     global_buffer
      - .address_space:  global
        .offset:         56
        .size:           8
        .value_kind:     global_buffer
      - .offset:         64
        .size:           8
        .value_kind:     by_value
      - .address_space:  global
        .offset:         72
        .size:           8
        .value_kind:     global_buffer
      - .actual_access:  read_only
        .address_space:  global
        .offset:         80
        .size:           8
        .value_kind:     global_buffer
      - .address_space:  global
        .offset:         88
        .size:           8
        .value_kind:     global_buffer
      - .offset:         96
        .size:           4
        .value_kind:     by_value
      - .offset:         100
        .size:           4
        .value_kind:     by_value
      - .offset:         104
        .size:           4
        .value_kind:     by_value
      - .offset:         108
        .size:           1
        .value_kind:     by_value
    .group_segment_fixed_size: 4096
    .kernarg_segment_align: 8
    .kernarg_segment_size: 112
    .language:       OpenCL C
    .language_version:
      - 2
      - 0
    .max_flat_workgroup_size: 256
    .name:           _ZN9rocsparseL5csrsmILj256ELj64ELb1ElldEEv20rocsparse_operation_T3_S2_NS_24const_host_device_scalarIT4_EEPKT2_PKS2_PKS4_PS4_lPiSA_PS2_21rocsparse_index_base_20rocsparse_fill_mode_20rocsparse_diag_type_b
    .private_segment_fixed_size: 0
    .sgpr_count:     40
    .sgpr_spill_count: 0
    .symbol:         _ZN9rocsparseL5csrsmILj256ELj64ELb1ElldEEv20rocsparse_operation_T3_S2_NS_24const_host_device_scalarIT4_EEPKT2_PKS2_PKS4_PS4_lPiSA_PS2_21rocsparse_index_base_20rocsparse_fill_mode_20rocsparse_diag_type_b.kd
    .uniform_work_group_size: 1
    .uses_dynamic_stack: false
    .vgpr_count:     26
    .vgpr_spill_count: 0
    .wavefront_size: 32
  - .args:
      - .offset:         0
        .size:           4
        .value_kind:     by_value
      - .offset:         8
        .size:           8
        .value_kind:     by_value
      - .offset:         16
        .size:           8
        .value_kind:     by_value
      - .offset:         24
        .size:           8
        .value_kind:     by_value
      - .actual_access:  read_only
        .address_space:  global
        .offset:         32
        .size:           8
        .value_kind:     global_buffer
      - .actual_access:  read_only
        .address_space:  global
        .offset:         40
        .size:           8
        .value_kind:     global_buffer
      - .actual_access:  read_only
        .address_space:  global
        .offset:         48
        .size:           8
        .value_kind:     global_buffer
      - .address_space:  global
        .offset:         56
        .size:           8
        .value_kind:     global_buffer
      - .offset:         64
        .size:           8
        .value_kind:     by_value
      - .address_space:  global
        .offset:         72
        .size:           8
        .value_kind:     global_buffer
      - .actual_access:  read_only
        .address_space:  global
        .offset:         80
        .size:           8
        .value_kind:     global_buffer
      - .address_space:  global
        .offset:         88
        .size:           8
        .value_kind:     global_buffer
      - .offset:         96
        .size:           4
        .value_kind:     by_value
      - .offset:         100
        .size:           4
        .value_kind:     by_value
      - .offset:         104
        .size:           4
        .value_kind:     by_value
      - .offset:         108
        .size:           1
        .value_kind:     by_value
    .group_segment_fixed_size: 4096
    .kernarg_segment_align: 8
    .kernarg_segment_size: 112
    .language:       OpenCL C
    .language_version:
      - 2
      - 0
    .max_flat_workgroup_size: 256
    .name:           _ZN9rocsparseL5csrsmILj256ELj64ELb0ElldEEv20rocsparse_operation_T3_S2_NS_24const_host_device_scalarIT4_EEPKT2_PKS2_PKS4_PS4_lPiSA_PS2_21rocsparse_index_base_20rocsparse_fill_mode_20rocsparse_diag_type_b
    .private_segment_fixed_size: 0
    .sgpr_count:     40
    .sgpr_spill_count: 0
    .symbol:         _ZN9rocsparseL5csrsmILj256ELj64ELb0ElldEEv20rocsparse_operation_T3_S2_NS_24const_host_device_scalarIT4_EEPKT2_PKS2_PKS4_PS4_lPiSA_PS2_21rocsparse_index_base_20rocsparse_fill_mode_20rocsparse_diag_type_b.kd
    .uniform_work_group_size: 1
    .uses_dynamic_stack: false
    .vgpr_count:     26
    .vgpr_spill_count: 0
    .wavefront_size: 32
  - .args:
      - .offset:         0
        .size:           4
        .value_kind:     by_value
      - .offset:         8
        .size:           8
        .value_kind:     by_value
      - .offset:         16
        .size:           8
        .value_kind:     by_value
      - .offset:         24
        .size:           8
        .value_kind:     by_value
      - .actual_access:  read_only
        .address_space:  global
        .offset:         32
        .size:           8
        .value_kind:     global_buffer
      - .actual_access:  read_only
        .address_space:  global
        .offset:         40
        .size:           8
        .value_kind:     global_buffer
      - .actual_access:  read_only
        .address_space:  global
        .offset:         48
        .size:           8
        .value_kind:     global_buffer
      - .address_space:  global
        .offset:         56
        .size:           8
        .value_kind:     global_buffer
      - .offset:         64
        .size:           8
        .value_kind:     by_value
      - .address_space:  global
        .offset:         72
        .size:           8
        .value_kind:     global_buffer
      - .actual_access:  read_only
        .address_space:  global
        .offset:         80
        .size:           8
        .value_kind:     global_buffer
      - .address_space:  global
        .offset:         88
        .size:           8
        .value_kind:     global_buffer
      - .offset:         96
        .size:           4
        .value_kind:     by_value
      - .offset:         100
        .size:           4
        .value_kind:     by_value
      - .offset:         104
        .size:           4
        .value_kind:     by_value
      - .offset:         108
        .size:           1
        .value_kind:     by_value
    .group_segment_fixed_size: 8192
    .kernarg_segment_align: 8
    .kernarg_segment_size: 112
    .language:       OpenCL C
    .language_version:
      - 2
      - 0
    .max_flat_workgroup_size: 512
    .name:           _ZN9rocsparseL5csrsmILj512ELj64ELb1ElldEEv20rocsparse_operation_T3_S2_NS_24const_host_device_scalarIT4_EEPKT2_PKS2_PKS4_PS4_lPiSA_PS2_21rocsparse_index_base_20rocsparse_fill_mode_20rocsparse_diag_type_b
    .private_segment_fixed_size: 0
    .sgpr_count:     40
    .sgpr_spill_count: 0
    .symbol:         _ZN9rocsparseL5csrsmILj512ELj64ELb1ElldEEv20rocsparse_operation_T3_S2_NS_24const_host_device_scalarIT4_EEPKT2_PKS2_PKS4_PS4_lPiSA_PS2_21rocsparse_index_base_20rocsparse_fill_mode_20rocsparse_diag_type_b.kd
    .uniform_work_group_size: 1
    .uses_dynamic_stack: false
    .vgpr_count:     26
    .vgpr_spill_count: 0
    .wavefront_size: 32
  - .args:
      - .offset:         0
        .size:           4
        .value_kind:     by_value
      - .offset:         8
        .size:           8
        .value_kind:     by_value
      - .offset:         16
        .size:           8
        .value_kind:     by_value
      - .offset:         24
        .size:           8
        .value_kind:     by_value
      - .actual_access:  read_only
        .address_space:  global
        .offset:         32
        .size:           8
        .value_kind:     global_buffer
      - .actual_access:  read_only
        .address_space:  global
        .offset:         40
        .size:           8
        .value_kind:     global_buffer
      - .actual_access:  read_only
        .address_space:  global
        .offset:         48
        .size:           8
        .value_kind:     global_buffer
      - .address_space:  global
        .offset:         56
        .size:           8
        .value_kind:     global_buffer
      - .offset:         64
        .size:           8
        .value_kind:     by_value
      - .address_space:  global
        .offset:         72
        .size:           8
        .value_kind:     global_buffer
      - .actual_access:  read_only
        .address_space:  global
        .offset:         80
        .size:           8
        .value_kind:     global_buffer
      - .address_space:  global
        .offset:         88
        .size:           8
        .value_kind:     global_buffer
      - .offset:         96
        .size:           4
        .value_kind:     by_value
      - .offset:         100
        .size:           4
        .value_kind:     by_value
      - .offset:         104
        .size:           4
        .value_kind:     by_value
      - .offset:         108
        .size:           1
        .value_kind:     by_value
    .group_segment_fixed_size: 8192
    .kernarg_segment_align: 8
    .kernarg_segment_size: 112
    .language:       OpenCL C
    .language_version:
      - 2
      - 0
    .max_flat_workgroup_size: 512
    .name:           _ZN9rocsparseL5csrsmILj512ELj64ELb0ElldEEv20rocsparse_operation_T3_S2_NS_24const_host_device_scalarIT4_EEPKT2_PKS2_PKS4_PS4_lPiSA_PS2_21rocsparse_index_base_20rocsparse_fill_mode_20rocsparse_diag_type_b
    .private_segment_fixed_size: 0
    .sgpr_count:     40
    .sgpr_spill_count: 0
    .symbol:         _ZN9rocsparseL5csrsmILj512ELj64ELb0ElldEEv20rocsparse_operation_T3_S2_NS_24const_host_device_scalarIT4_EEPKT2_PKS2_PKS4_PS4_lPiSA_PS2_21rocsparse_index_base_20rocsparse_fill_mode_20rocsparse_diag_type_b.kd
    .uniform_work_group_size: 1
    .uses_dynamic_stack: false
    .vgpr_count:     26
    .vgpr_spill_count: 0
    .wavefront_size: 32
  - .args:
      - .offset:         0
        .size:           4
        .value_kind:     by_value
      - .offset:         8
        .size:           8
        .value_kind:     by_value
      - .offset:         16
        .size:           8
        .value_kind:     by_value
      - .offset:         24
        .size:           8
        .value_kind:     by_value
      - .actual_access:  read_only
        .address_space:  global
        .offset:         32
        .size:           8
        .value_kind:     global_buffer
      - .actual_access:  read_only
        .address_space:  global
        .offset:         40
        .size:           8
        .value_kind:     global_buffer
      - .actual_access:  read_only
        .address_space:  global
        .offset:         48
        .size:           8
        .value_kind:     global_buffer
      - .address_space:  global
        .offset:         56
        .size:           8
        .value_kind:     global_buffer
      - .offset:         64
        .size:           8
        .value_kind:     by_value
      - .address_space:  global
        .offset:         72
        .size:           8
        .value_kind:     global_buffer
      - .actual_access:  read_only
        .address_space:  global
        .offset:         80
        .size:           8
        .value_kind:     global_buffer
      - .address_space:  global
        .offset:         88
        .size:           8
        .value_kind:     global_buffer
      - .offset:         96
        .size:           4
        .value_kind:     by_value
      - .offset:         100
        .size:           4
        .value_kind:     by_value
      - .offset:         104
        .size:           4
        .value_kind:     by_value
      - .offset:         108
        .size:           1
        .value_kind:     by_value
    .group_segment_fixed_size: 16384
    .kernarg_segment_align: 8
    .kernarg_segment_size: 112
    .language:       OpenCL C
    .language_version:
      - 2
      - 0
    .max_flat_workgroup_size: 1024
    .name:           _ZN9rocsparseL5csrsmILj1024ELj64ELb1ElldEEv20rocsparse_operation_T3_S2_NS_24const_host_device_scalarIT4_EEPKT2_PKS2_PKS4_PS4_lPiSA_PS2_21rocsparse_index_base_20rocsparse_fill_mode_20rocsparse_diag_type_b
    .private_segment_fixed_size: 0
    .sgpr_count:     40
    .sgpr_spill_count: 0
    .symbol:         _ZN9rocsparseL5csrsmILj1024ELj64ELb1ElldEEv20rocsparse_operation_T3_S2_NS_24const_host_device_scalarIT4_EEPKT2_PKS2_PKS4_PS4_lPiSA_PS2_21rocsparse_index_base_20rocsparse_fill_mode_20rocsparse_diag_type_b.kd
    .uniform_work_group_size: 1
    .uses_dynamic_stack: false
    .vgpr_count:     26
    .vgpr_spill_count: 0
    .wavefront_size: 32
  - .args:
      - .offset:         0
        .size:           4
        .value_kind:     by_value
      - .offset:         8
        .size:           8
        .value_kind:     by_value
      - .offset:         16
        .size:           8
        .value_kind:     by_value
      - .offset:         24
        .size:           8
        .value_kind:     by_value
      - .actual_access:  read_only
        .address_space:  global
        .offset:         32
        .size:           8
        .value_kind:     global_buffer
      - .actual_access:  read_only
        .address_space:  global
        .offset:         40
        .size:           8
        .value_kind:     global_buffer
      - .actual_access:  read_only
        .address_space:  global
        .offset:         48
        .size:           8
        .value_kind:     global_buffer
      - .address_space:  global
        .offset:         56
        .size:           8
        .value_kind:     global_buffer
      - .offset:         64
        .size:           8
        .value_kind:     by_value
      - .address_space:  global
        .offset:         72
        .size:           8
        .value_kind:     global_buffer
      - .actual_access:  read_only
        .address_space:  global
        .offset:         80
        .size:           8
        .value_kind:     global_buffer
      - .address_space:  global
        .offset:         88
        .size:           8
        .value_kind:     global_buffer
      - .offset:         96
        .size:           4
        .value_kind:     by_value
      - .offset:         100
        .size:           4
        .value_kind:     by_value
      - .offset:         104
        .size:           4
        .value_kind:     by_value
      - .offset:         108
        .size:           1
        .value_kind:     by_value
    .group_segment_fixed_size: 16384
    .kernarg_segment_align: 8
    .kernarg_segment_size: 112
    .language:       OpenCL C
    .language_version:
      - 2
      - 0
    .max_flat_workgroup_size: 1024
    .name:           _ZN9rocsparseL5csrsmILj1024ELj64ELb0ElldEEv20rocsparse_operation_T3_S2_NS_24const_host_device_scalarIT4_EEPKT2_PKS2_PKS4_PS4_lPiSA_PS2_21rocsparse_index_base_20rocsparse_fill_mode_20rocsparse_diag_type_b
    .private_segment_fixed_size: 0
    .sgpr_count:     40
    .sgpr_spill_count: 0
    .symbol:         _ZN9rocsparseL5csrsmILj1024ELj64ELb0ElldEEv20rocsparse_operation_T3_S2_NS_24const_host_device_scalarIT4_EEPKT2_PKS2_PKS4_PS4_lPiSA_PS2_21rocsparse_index_base_20rocsparse_fill_mode_20rocsparse_diag_type_b.kd
    .uniform_work_group_size: 1
    .uses_dynamic_stack: false
    .vgpr_count:     26
    .vgpr_spill_count: 0
    .wavefront_size: 32
  - .args:
      - .offset:         0
        .size:           4
        .value_kind:     by_value
      - .offset:         8
        .size:           8
        .value_kind:     by_value
      - .offset:         16
        .size:           8
        .value_kind:     by_value
      - .offset:         24
        .size:           8
        .value_kind:     by_value
      - .actual_access:  read_only
        .address_space:  global
        .offset:         32
        .size:           8
        .value_kind:     global_buffer
      - .actual_access:  read_only
        .address_space:  global
        .offset:         40
        .size:           8
        .value_kind:     global_buffer
      - .actual_access:  read_only
        .address_space:  global
        .offset:         48
        .size:           8
        .value_kind:     global_buffer
      - .address_space:  global
        .offset:         56
        .size:           8
        .value_kind:     global_buffer
      - .offset:         64
        .size:           8
        .value_kind:     by_value
      - .address_space:  global
        .offset:         72
        .size:           8
        .value_kind:     global_buffer
      - .actual_access:  read_only
        .address_space:  global
        .offset:         80
        .size:           8
        .value_kind:     global_buffer
      - .address_space:  global
        .offset:         88
        .size:           8
        .value_kind:     global_buffer
      - .offset:         96
        .size:           4
        .value_kind:     by_value
      - .offset:         100
        .size:           4
        .value_kind:     by_value
      - .offset:         104
        .size:           4
        .value_kind:     by_value
      - .offset:         108
        .size:           1
        .value_kind:     by_value
    .group_segment_fixed_size: 1024
    .kernarg_segment_align: 8
    .kernarg_segment_size: 112
    .language:       OpenCL C
    .language_version:
      - 2
      - 0
    .max_flat_workgroup_size: 64
    .name:           _ZN9rocsparseL5csrsmILj64ELj64ELb1Ell21rocsparse_complex_numIfEEEv20rocsparse_operation_T3_S4_NS_24const_host_device_scalarIT4_EEPKT2_PKS4_PKS6_PS6_lPiSC_PS4_21rocsparse_index_base_20rocsparse_fill_mode_20rocsparse_diag_type_b
    .private_segment_fixed_size: 0
    .sgpr_count:     39
    .sgpr_spill_count: 0
    .symbol:         _ZN9rocsparseL5csrsmILj64ELj64ELb1Ell21rocsparse_complex_numIfEEEv20rocsparse_operation_T3_S4_NS_24const_host_device_scalarIT4_EEPKT2_PKS4_PKS6_PS6_lPiSC_PS4_21rocsparse_index_base_20rocsparse_fill_mode_20rocsparse_diag_type_b.kd
    .uniform_work_group_size: 1
    .uses_dynamic_stack: false
    .vgpr_count:     26
    .vgpr_spill_count: 0
    .wavefront_size: 32
  - .args:
      - .offset:         0
        .size:           4
        .value_kind:     by_value
      - .offset:         8
        .size:           8
        .value_kind:     by_value
      - .offset:         16
        .size:           8
        .value_kind:     by_value
      - .offset:         24
        .size:           8
        .value_kind:     by_value
      - .actual_access:  read_only
        .address_space:  global
        .offset:         32
        .size:           8
        .value_kind:     global_buffer
      - .actual_access:  read_only
        .address_space:  global
        .offset:         40
        .size:           8
        .value_kind:     global_buffer
      - .actual_access:  read_only
        .address_space:  global
        .offset:         48
        .size:           8
        .value_kind:     global_buffer
      - .address_space:  global
        .offset:         56
        .size:           8
        .value_kind:     global_buffer
      - .offset:         64
        .size:           8
        .value_kind:     by_value
      - .address_space:  global
        .offset:         72
        .size:           8
        .value_kind:     global_buffer
      - .actual_access:  read_only
        .address_space:  global
        .offset:         80
        .size:           8
        .value_kind:     global_buffer
      - .address_space:  global
        .offset:         88
        .size:           8
        .value_kind:     global_buffer
      - .offset:         96
        .size:           4
        .value_kind:     by_value
      - .offset:         100
        .size:           4
        .value_kind:     by_value
      - .offset:         104
        .size:           4
        .value_kind:     by_value
      - .offset:         108
        .size:           1
        .value_kind:     by_value
    .group_segment_fixed_size: 1024
    .kernarg_segment_align: 8
    .kernarg_segment_size: 112
    .language:       OpenCL C
    .language_version:
      - 2
      - 0
    .max_flat_workgroup_size: 64
    .name:           _ZN9rocsparseL5csrsmILj64ELj64ELb0Ell21rocsparse_complex_numIfEEEv20rocsparse_operation_T3_S4_NS_24const_host_device_scalarIT4_EEPKT2_PKS4_PKS6_PS6_lPiSC_PS4_21rocsparse_index_base_20rocsparse_fill_mode_20rocsparse_diag_type_b
    .private_segment_fixed_size: 0
    .sgpr_count:     39
    .sgpr_spill_count: 0
    .symbol:         _ZN9rocsparseL5csrsmILj64ELj64ELb0Ell21rocsparse_complex_numIfEEEv20rocsparse_operation_T3_S4_NS_24const_host_device_scalarIT4_EEPKT2_PKS4_PKS6_PS6_lPiSC_PS4_21rocsparse_index_base_20rocsparse_fill_mode_20rocsparse_diag_type_b.kd
    .uniform_work_group_size: 1
    .uses_dynamic_stack: false
    .vgpr_count:     26
    .vgpr_spill_count: 0
    .wavefront_size: 32
  - .args:
      - .offset:         0
        .size:           4
        .value_kind:     by_value
      - .offset:         8
        .size:           8
        .value_kind:     by_value
      - .offset:         16
        .size:           8
        .value_kind:     by_value
      - .offset:         24
        .size:           8
        .value_kind:     by_value
      - .actual_access:  read_only
        .address_space:  global
        .offset:         32
        .size:           8
        .value_kind:     global_buffer
      - .actual_access:  read_only
        .address_space:  global
        .offset:         40
        .size:           8
        .value_kind:     global_buffer
      - .actual_access:  read_only
        .address_space:  global
        .offset:         48
        .size:           8
        .value_kind:     global_buffer
      - .address_space:  global
        .offset:         56
        .size:           8
        .value_kind:     global_buffer
      - .offset:         64
        .size:           8
        .value_kind:     by_value
      - .address_space:  global
        .offset:         72
        .size:           8
        .value_kind:     global_buffer
      - .actual_access:  read_only
        .address_space:  global
        .offset:         80
        .size:           8
        .value_kind:     global_buffer
      - .address_space:  global
        .offset:         88
        .size:           8
        .value_kind:     global_buffer
      - .offset:         96
        .size:           4
        .value_kind:     by_value
      - .offset:         100
        .size:           4
        .value_kind:     by_value
      - .offset:         104
        .size:           4
        .value_kind:     by_value
      - .offset:         108
        .size:           1
        .value_kind:     by_value
    .group_segment_fixed_size: 2048
    .kernarg_segment_align: 8
    .kernarg_segment_size: 112
    .language:       OpenCL C
    .language_version:
      - 2
      - 0
    .max_flat_workgroup_size: 128
    .name:           _ZN9rocsparseL5csrsmILj128ELj64ELb1Ell21rocsparse_complex_numIfEEEv20rocsparse_operation_T3_S4_NS_24const_host_device_scalarIT4_EEPKT2_PKS4_PKS6_PS6_lPiSC_PS4_21rocsparse_index_base_20rocsparse_fill_mode_20rocsparse_diag_type_b
    .private_segment_fixed_size: 0
    .sgpr_count:     39
    .sgpr_spill_count: 0
    .symbol:         _ZN9rocsparseL5csrsmILj128ELj64ELb1Ell21rocsparse_complex_numIfEEEv20rocsparse_operation_T3_S4_NS_24const_host_device_scalarIT4_EEPKT2_PKS4_PKS6_PS6_lPiSC_PS4_21rocsparse_index_base_20rocsparse_fill_mode_20rocsparse_diag_type_b.kd
    .uniform_work_group_size: 1
    .uses_dynamic_stack: false
    .vgpr_count:     26
    .vgpr_spill_count: 0
    .wavefront_size: 32
  - .args:
      - .offset:         0
        .size:           4
        .value_kind:     by_value
      - .offset:         8
        .size:           8
        .value_kind:     by_value
      - .offset:         16
        .size:           8
        .value_kind:     by_value
      - .offset:         24
        .size:           8
        .value_kind:     by_value
      - .actual_access:  read_only
        .address_space:  global
        .offset:         32
        .size:           8
        .value_kind:     global_buffer
      - .actual_access:  read_only
        .address_space:  global
        .offset:         40
        .size:           8
        .value_kind:     global_buffer
      - .actual_access:  read_only
        .address_space:  global
        .offset:         48
        .size:           8
        .value_kind:     global_buffer
      - .address_space:  global
        .offset:         56
        .size:           8
        .value_kind:     global_buffer
      - .offset:         64
        .size:           8
        .value_kind:     by_value
      - .address_space:  global
        .offset:         72
        .size:           8
        .value_kind:     global_buffer
      - .actual_access:  read_only
        .address_space:  global
        .offset:         80
        .size:           8
        .value_kind:     global_buffer
      - .address_space:  global
        .offset:         88
        .size:           8
        .value_kind:     global_buffer
      - .offset:         96
        .size:           4
        .value_kind:     by_value
      - .offset:         100
        .size:           4
        .value_kind:     by_value
      - .offset:         104
        .size:           4
        .value_kind:     by_value
      - .offset:         108
        .size:           1
        .value_kind:     by_value
    .group_segment_fixed_size: 2048
    .kernarg_segment_align: 8
    .kernarg_segment_size: 112
    .language:       OpenCL C
    .language_version:
      - 2
      - 0
    .max_flat_workgroup_size: 128
    .name:           _ZN9rocsparseL5csrsmILj128ELj64ELb0Ell21rocsparse_complex_numIfEEEv20rocsparse_operation_T3_S4_NS_24const_host_device_scalarIT4_EEPKT2_PKS4_PKS6_PS6_lPiSC_PS4_21rocsparse_index_base_20rocsparse_fill_mode_20rocsparse_diag_type_b
    .private_segment_fixed_size: 0
    .sgpr_count:     39
    .sgpr_spill_count: 0
    .symbol:         _ZN9rocsparseL5csrsmILj128ELj64ELb0Ell21rocsparse_complex_numIfEEEv20rocsparse_operation_T3_S4_NS_24const_host_device_scalarIT4_EEPKT2_PKS4_PKS6_PS6_lPiSC_PS4_21rocsparse_index_base_20rocsparse_fill_mode_20rocsparse_diag_type_b.kd
    .uniform_work_group_size: 1
    .uses_dynamic_stack: false
    .vgpr_count:     26
    .vgpr_spill_count: 0
    .wavefront_size: 32
  - .args:
      - .offset:         0
        .size:           4
        .value_kind:     by_value
      - .offset:         8
        .size:           8
        .value_kind:     by_value
      - .offset:         16
        .size:           8
        .value_kind:     by_value
      - .offset:         24
        .size:           8
        .value_kind:     by_value
      - .actual_access:  read_only
        .address_space:  global
        .offset:         32
        .size:           8
        .value_kind:     global_buffer
      - .actual_access:  read_only
        .address_space:  global
        .offset:         40
        .size:           8
        .value_kind:     global_buffer
      - .actual_access:  read_only
        .address_space:  global
        .offset:         48
        .size:           8
        .value_kind:     global_buffer
      - .address_space:  global
        .offset:         56
        .size:           8
        .value_kind:     global_buffer
      - .offset:         64
        .size:           8
        .value_kind:     by_value
      - .address_space:  global
        .offset:         72
        .size:           8
        .value_kind:     global_buffer
      - .actual_access:  read_only
        .address_space:  global
        .offset:         80
        .size:           8
        .value_kind:     global_buffer
      - .address_space:  global
        .offset:         88
        .size:           8
        .value_kind:     global_buffer
      - .offset:         96
        .size:           4
        .value_kind:     by_value
      - .offset:         100
        .size:           4
        .value_kind:     by_value
      - .offset:         104
        .size:           4
        .value_kind:     by_value
      - .offset:         108
        .size:           1
        .value_kind:     by_value
    .group_segment_fixed_size: 4096
    .kernarg_segment_align: 8
    .kernarg_segment_size: 112
    .language:       OpenCL C
    .language_version:
      - 2
      - 0
    .max_flat_workgroup_size: 256
    .name:           _ZN9rocsparseL5csrsmILj256ELj64ELb1Ell21rocsparse_complex_numIfEEEv20rocsparse_operation_T3_S4_NS_24const_host_device_scalarIT4_EEPKT2_PKS4_PKS6_PS6_lPiSC_PS4_21rocsparse_index_base_20rocsparse_fill_mode_20rocsparse_diag_type_b
    .private_segment_fixed_size: 0
    .sgpr_count:     39
    .sgpr_spill_count: 0
    .symbol:         _ZN9rocsparseL5csrsmILj256ELj64ELb1Ell21rocsparse_complex_numIfEEEv20rocsparse_operation_T3_S4_NS_24const_host_device_scalarIT4_EEPKT2_PKS4_PKS6_PS6_lPiSC_PS4_21rocsparse_index_base_20rocsparse_fill_mode_20rocsparse_diag_type_b.kd
    .uniform_work_group_size: 1
    .uses_dynamic_stack: false
    .vgpr_count:     26
    .vgpr_spill_count: 0
    .wavefront_size: 32
  - .args:
      - .offset:         0
        .size:           4
        .value_kind:     by_value
      - .offset:         8
        .size:           8
        .value_kind:     by_value
      - .offset:         16
        .size:           8
        .value_kind:     by_value
      - .offset:         24
        .size:           8
        .value_kind:     by_value
      - .actual_access:  read_only
        .address_space:  global
        .offset:         32
        .size:           8
        .value_kind:     global_buffer
      - .actual_access:  read_only
        .address_space:  global
        .offset:         40
        .size:           8
        .value_kind:     global_buffer
      - .actual_access:  read_only
        .address_space:  global
        .offset:         48
        .size:           8
        .value_kind:     global_buffer
      - .address_space:  global
        .offset:         56
        .size:           8
        .value_kind:     global_buffer
      - .offset:         64
        .size:           8
        .value_kind:     by_value
      - .address_space:  global
        .offset:         72
        .size:           8
        .value_kind:     global_buffer
      - .actual_access:  read_only
        .address_space:  global
        .offset:         80
        .size:           8
        .value_kind:     global_buffer
      - .address_space:  global
        .offset:         88
        .size:           8
        .value_kind:     global_buffer
      - .offset:         96
        .size:           4
        .value_kind:     by_value
      - .offset:         100
        .size:           4
        .value_kind:     by_value
      - .offset:         104
        .size:           4
        .value_kind:     by_value
      - .offset:         108
        .size:           1
        .value_kind:     by_value
    .group_segment_fixed_size: 4096
    .kernarg_segment_align: 8
    .kernarg_segment_size: 112
    .language:       OpenCL C
    .language_version:
      - 2
      - 0
    .max_flat_workgroup_size: 256
    .name:           _ZN9rocsparseL5csrsmILj256ELj64ELb0Ell21rocsparse_complex_numIfEEEv20rocsparse_operation_T3_S4_NS_24const_host_device_scalarIT4_EEPKT2_PKS4_PKS6_PS6_lPiSC_PS4_21rocsparse_index_base_20rocsparse_fill_mode_20rocsparse_diag_type_b
    .private_segment_fixed_size: 0
    .sgpr_count:     39
    .sgpr_spill_count: 0
    .symbol:         _ZN9rocsparseL5csrsmILj256ELj64ELb0Ell21rocsparse_complex_numIfEEEv20rocsparse_operation_T3_S4_NS_24const_host_device_scalarIT4_EEPKT2_PKS4_PKS6_PS6_lPiSC_PS4_21rocsparse_index_base_20rocsparse_fill_mode_20rocsparse_diag_type_b.kd
    .uniform_work_group_size: 1
    .uses_dynamic_stack: false
    .vgpr_count:     26
    .vgpr_spill_count: 0
    .wavefront_size: 32
  - .args:
      - .offset:         0
        .size:           4
        .value_kind:     by_value
      - .offset:         8
        .size:           8
        .value_kind:     by_value
      - .offset:         16
        .size:           8
        .value_kind:     by_value
      - .offset:         24
        .size:           8
        .value_kind:     by_value
      - .actual_access:  read_only
        .address_space:  global
        .offset:         32
        .size:           8
        .value_kind:     global_buffer
      - .actual_access:  read_only
        .address_space:  global
        .offset:         40
        .size:           8
        .value_kind:     global_buffer
      - .actual_access:  read_only
        .address_space:  global
        .offset:         48
        .size:           8
        .value_kind:     global_buffer
      - .address_space:  global
        .offset:         56
        .size:           8
        .value_kind:     global_buffer
      - .offset:         64
        .size:           8
        .value_kind:     by_value
      - .address_space:  global
        .offset:         72
        .size:           8
        .value_kind:     global_buffer
      - .actual_access:  read_only
        .address_space:  global
        .offset:         80
        .size:           8
        .value_kind:     global_buffer
      - .address_space:  global
        .offset:         88
        .size:           8
        .value_kind:     global_buffer
      - .offset:         96
        .size:           4
        .value_kind:     by_value
      - .offset:         100
        .size:           4
        .value_kind:     by_value
      - .offset:         104
        .size:           4
        .value_kind:     by_value
      - .offset:         108
        .size:           1
        .value_kind:     by_value
    .group_segment_fixed_size: 8192
    .kernarg_segment_align: 8
    .kernarg_segment_size: 112
    .language:       OpenCL C
    .language_version:
      - 2
      - 0
    .max_flat_workgroup_size: 512
    .name:           _ZN9rocsparseL5csrsmILj512ELj64ELb1Ell21rocsparse_complex_numIfEEEv20rocsparse_operation_T3_S4_NS_24const_host_device_scalarIT4_EEPKT2_PKS4_PKS6_PS6_lPiSC_PS4_21rocsparse_index_base_20rocsparse_fill_mode_20rocsparse_diag_type_b
    .private_segment_fixed_size: 0
    .sgpr_count:     39
    .sgpr_spill_count: 0
    .symbol:         _ZN9rocsparseL5csrsmILj512ELj64ELb1Ell21rocsparse_complex_numIfEEEv20rocsparse_operation_T3_S4_NS_24const_host_device_scalarIT4_EEPKT2_PKS4_PKS6_PS6_lPiSC_PS4_21rocsparse_index_base_20rocsparse_fill_mode_20rocsparse_diag_type_b.kd
    .uniform_work_group_size: 1
    .uses_dynamic_stack: false
    .vgpr_count:     26
    .vgpr_spill_count: 0
    .wavefront_size: 32
  - .args:
      - .offset:         0
        .size:           4
        .value_kind:     by_value
      - .offset:         8
        .size:           8
        .value_kind:     by_value
      - .offset:         16
        .size:           8
        .value_kind:     by_value
      - .offset:         24
        .size:           8
        .value_kind:     by_value
      - .actual_access:  read_only
        .address_space:  global
        .offset:         32
        .size:           8
        .value_kind:     global_buffer
      - .actual_access:  read_only
        .address_space:  global
        .offset:         40
        .size:           8
        .value_kind:     global_buffer
      - .actual_access:  read_only
        .address_space:  global
        .offset:         48
        .size:           8
        .value_kind:     global_buffer
      - .address_space:  global
        .offset:         56
        .size:           8
        .value_kind:     global_buffer
      - .offset:         64
        .size:           8
        .value_kind:     by_value
      - .address_space:  global
        .offset:         72
        .size:           8
        .value_kind:     global_buffer
      - .actual_access:  read_only
        .address_space:  global
        .offset:         80
        .size:           8
        .value_kind:     global_buffer
      - .address_space:  global
        .offset:         88
        .size:           8
        .value_kind:     global_buffer
      - .offset:         96
        .size:           4
        .value_kind:     by_value
      - .offset:         100
        .size:           4
        .value_kind:     by_value
      - .offset:         104
        .size:           4
        .value_kind:     by_value
      - .offset:         108
        .size:           1
        .value_kind:     by_value
    .group_segment_fixed_size: 8192
    .kernarg_segment_align: 8
    .kernarg_segment_size: 112
    .language:       OpenCL C
    .language_version:
      - 2
      - 0
    .max_flat_workgroup_size: 512
    .name:           _ZN9rocsparseL5csrsmILj512ELj64ELb0Ell21rocsparse_complex_numIfEEEv20rocsparse_operation_T3_S4_NS_24const_host_device_scalarIT4_EEPKT2_PKS4_PKS6_PS6_lPiSC_PS4_21rocsparse_index_base_20rocsparse_fill_mode_20rocsparse_diag_type_b
    .private_segment_fixed_size: 0
    .sgpr_count:     39
    .sgpr_spill_count: 0
    .symbol:         _ZN9rocsparseL5csrsmILj512ELj64ELb0Ell21rocsparse_complex_numIfEEEv20rocsparse_operation_T3_S4_NS_24const_host_device_scalarIT4_EEPKT2_PKS4_PKS6_PS6_lPiSC_PS4_21rocsparse_index_base_20rocsparse_fill_mode_20rocsparse_diag_type_b.kd
    .uniform_work_group_size: 1
    .uses_dynamic_stack: false
    .vgpr_count:     26
    .vgpr_spill_count: 0
    .wavefront_size: 32
  - .args:
      - .offset:         0
        .size:           4
        .value_kind:     by_value
      - .offset:         8
        .size:           8
        .value_kind:     by_value
      - .offset:         16
        .size:           8
        .value_kind:     by_value
      - .offset:         24
        .size:           8
        .value_kind:     by_value
      - .actual_access:  read_only
        .address_space:  global
        .offset:         32
        .size:           8
        .value_kind:     global_buffer
      - .actual_access:  read_only
        .address_space:  global
        .offset:         40
        .size:           8
        .value_kind:     global_buffer
      - .actual_access:  read_only
        .address_space:  global
        .offset:         48
        .size:           8
        .value_kind:     global_buffer
      - .address_space:  global
        .offset:         56
        .size:           8
        .value_kind:     global_buffer
      - .offset:         64
        .size:           8
        .value_kind:     by_value
      - .address_space:  global
        .offset:         72
        .size:           8
        .value_kind:     global_buffer
      - .actual_access:  read_only
        .address_space:  global
        .offset:         80
        .size:           8
        .value_kind:     global_buffer
      - .address_space:  global
        .offset:         88
        .size:           8
        .value_kind:     global_buffer
      - .offset:         96
        .size:           4
        .value_kind:     by_value
      - .offset:         100
        .size:           4
        .value_kind:     by_value
      - .offset:         104
        .size:           4
        .value_kind:     by_value
      - .offset:         108
        .size:           1
        .value_kind:     by_value
    .group_segment_fixed_size: 16384
    .kernarg_segment_align: 8
    .kernarg_segment_size: 112
    .language:       OpenCL C
    .language_version:
      - 2
      - 0
    .max_flat_workgroup_size: 1024
    .name:           _ZN9rocsparseL5csrsmILj1024ELj64ELb1Ell21rocsparse_complex_numIfEEEv20rocsparse_operation_T3_S4_NS_24const_host_device_scalarIT4_EEPKT2_PKS4_PKS6_PS6_lPiSC_PS4_21rocsparse_index_base_20rocsparse_fill_mode_20rocsparse_diag_type_b
    .private_segment_fixed_size: 0
    .sgpr_count:     39
    .sgpr_spill_count: 0
    .symbol:         _ZN9rocsparseL5csrsmILj1024ELj64ELb1Ell21rocsparse_complex_numIfEEEv20rocsparse_operation_T3_S4_NS_24const_host_device_scalarIT4_EEPKT2_PKS4_PKS6_PS6_lPiSC_PS4_21rocsparse_index_base_20rocsparse_fill_mode_20rocsparse_diag_type_b.kd
    .uniform_work_group_size: 1
    .uses_dynamic_stack: false
    .vgpr_count:     28
    .vgpr_spill_count: 0
    .wavefront_size: 32
  - .args:
      - .offset:         0
        .size:           4
        .value_kind:     by_value
      - .offset:         8
        .size:           8
        .value_kind:     by_value
      - .offset:         16
        .size:           8
        .value_kind:     by_value
      - .offset:         24
        .size:           8
        .value_kind:     by_value
      - .actual_access:  read_only
        .address_space:  global
        .offset:         32
        .size:           8
        .value_kind:     global_buffer
      - .actual_access:  read_only
        .address_space:  global
        .offset:         40
        .size:           8
        .value_kind:     global_buffer
      - .actual_access:  read_only
        .address_space:  global
        .offset:         48
        .size:           8
        .value_kind:     global_buffer
      - .address_space:  global
        .offset:         56
        .size:           8
        .value_kind:     global_buffer
      - .offset:         64
        .size:           8
        .value_kind:     by_value
      - .address_space:  global
        .offset:         72
        .size:           8
        .value_kind:     global_buffer
      - .actual_access:  read_only
        .address_space:  global
        .offset:         80
        .size:           8
        .value_kind:     global_buffer
      - .address_space:  global
        .offset:         88
        .size:           8
        .value_kind:     global_buffer
      - .offset:         96
        .size:           4
        .value_kind:     by_value
      - .offset:         100
        .size:           4
        .value_kind:     by_value
      - .offset:         104
        .size:           4
        .value_kind:     by_value
      - .offset:         108
        .size:           1
        .value_kind:     by_value
    .group_segment_fixed_size: 16384
    .kernarg_segment_align: 8
    .kernarg_segment_size: 112
    .language:       OpenCL C
    .language_version:
      - 2
      - 0
    .max_flat_workgroup_size: 1024
    .name:           _ZN9rocsparseL5csrsmILj1024ELj64ELb0Ell21rocsparse_complex_numIfEEEv20rocsparse_operation_T3_S4_NS_24const_host_device_scalarIT4_EEPKT2_PKS4_PKS6_PS6_lPiSC_PS4_21rocsparse_index_base_20rocsparse_fill_mode_20rocsparse_diag_type_b
    .private_segment_fixed_size: 0
    .sgpr_count:     39
    .sgpr_spill_count: 0
    .symbol:         _ZN9rocsparseL5csrsmILj1024ELj64ELb0Ell21rocsparse_complex_numIfEEEv20rocsparse_operation_T3_S4_NS_24const_host_device_scalarIT4_EEPKT2_PKS4_PKS6_PS6_lPiSC_PS4_21rocsparse_index_base_20rocsparse_fill_mode_20rocsparse_diag_type_b.kd
    .uniform_work_group_size: 1
    .uses_dynamic_stack: false
    .vgpr_count:     28
    .vgpr_spill_count: 0
    .wavefront_size: 32
  - .args:
      - .offset:         0
        .size:           4
        .value_kind:     by_value
      - .offset:         8
        .size:           8
        .value_kind:     by_value
      - .offset:         16
        .size:           8
        .value_kind:     by_value
      - .offset:         24
        .size:           16
        .value_kind:     by_value
      - .actual_access:  read_only
        .address_space:  global
        .offset:         40
        .size:           8
        .value_kind:     global_buffer
      - .actual_access:  read_only
        .address_space:  global
        .offset:         48
        .size:           8
        .value_kind:     global_buffer
      - .actual_access:  read_only
        .address_space:  global
        .offset:         56
        .size:           8
        .value_kind:     global_buffer
      - .address_space:  global
        .offset:         64
        .size:           8
        .value_kind:     global_buffer
      - .offset:         72
        .size:           8
        .value_kind:     by_value
      - .address_space:  global
        .offset:         80
        .size:           8
        .value_kind:     global_buffer
      - .actual_access:  read_only
        .address_space:  global
        .offset:         88
        .size:           8
        .value_kind:     global_buffer
      - .address_space:  global
        .offset:         96
        .size:           8
        .value_kind:     global_buffer
      - .offset:         104
        .size:           4
        .value_kind:     by_value
      - .offset:         108
        .size:           4
        .value_kind:     by_value
      - .offset:         112
        .size:           4
        .value_kind:     by_value
      - .offset:         116
        .size:           1
        .value_kind:     by_value
    .group_segment_fixed_size: 1536
    .kernarg_segment_align: 8
    .kernarg_segment_size: 120
    .language:       OpenCL C
    .language_version:
      - 2
      - 0
    .max_flat_workgroup_size: 64
    .name:           _ZN9rocsparseL5csrsmILj64ELj64ELb1Ell21rocsparse_complex_numIdEEEv20rocsparse_operation_T3_S4_NS_24const_host_device_scalarIT4_EEPKT2_PKS4_PKS6_PS6_lPiSC_PS4_21rocsparse_index_base_20rocsparse_fill_mode_20rocsparse_diag_type_b
    .private_segment_fixed_size: 16
    .sgpr_count:     38
    .sgpr_spill_count: 0
    .symbol:         _ZN9rocsparseL5csrsmILj64ELj64ELb1Ell21rocsparse_complex_numIdEEEv20rocsparse_operation_T3_S4_NS_24const_host_device_scalarIT4_EEPKT2_PKS4_PKS6_PS6_lPiSC_PS4_21rocsparse_index_base_20rocsparse_fill_mode_20rocsparse_diag_type_b.kd
    .uniform_work_group_size: 1
    .uses_dynamic_stack: false
    .vgpr_count:     36
    .vgpr_spill_count: 0
    .wavefront_size: 32
  - .args:
      - .offset:         0
        .size:           4
        .value_kind:     by_value
      - .offset:         8
        .size:           8
        .value_kind:     by_value
      - .offset:         16
        .size:           8
        .value_kind:     by_value
      - .offset:         24
        .size:           16
        .value_kind:     by_value
      - .actual_access:  read_only
        .address_space:  global
        .offset:         40
        .size:           8
        .value_kind:     global_buffer
      - .actual_access:  read_only
        .address_space:  global
        .offset:         48
        .size:           8
        .value_kind:     global_buffer
      - .actual_access:  read_only
        .address_space:  global
        .offset:         56
        .size:           8
        .value_kind:     global_buffer
      - .address_space:  global
        .offset:         64
        .size:           8
        .value_kind:     global_buffer
      - .offset:         72
        .size:           8
        .value_kind:     by_value
      - .address_space:  global
        .offset:         80
        .size:           8
        .value_kind:     global_buffer
      - .actual_access:  read_only
        .address_space:  global
        .offset:         88
        .size:           8
        .value_kind:     global_buffer
      - .address_space:  global
        .offset:         96
        .size:           8
        .value_kind:     global_buffer
      - .offset:         104
        .size:           4
        .value_kind:     by_value
      - .offset:         108
        .size:           4
        .value_kind:     by_value
      - .offset:         112
        .size:           4
        .value_kind:     by_value
      - .offset:         116
        .size:           1
        .value_kind:     by_value
    .group_segment_fixed_size: 1536
    .kernarg_segment_align: 8
    .kernarg_segment_size: 120
    .language:       OpenCL C
    .language_version:
      - 2
      - 0
    .max_flat_workgroup_size: 64
    .name:           _ZN9rocsparseL5csrsmILj64ELj64ELb0Ell21rocsparse_complex_numIdEEEv20rocsparse_operation_T3_S4_NS_24const_host_device_scalarIT4_EEPKT2_PKS4_PKS6_PS6_lPiSC_PS4_21rocsparse_index_base_20rocsparse_fill_mode_20rocsparse_diag_type_b
    .private_segment_fixed_size: 16
    .sgpr_count:     38
    .sgpr_spill_count: 0
    .symbol:         _ZN9rocsparseL5csrsmILj64ELj64ELb0Ell21rocsparse_complex_numIdEEEv20rocsparse_operation_T3_S4_NS_24const_host_device_scalarIT4_EEPKT2_PKS4_PKS6_PS6_lPiSC_PS4_21rocsparse_index_base_20rocsparse_fill_mode_20rocsparse_diag_type_b.kd
    .uniform_work_group_size: 1
    .uses_dynamic_stack: false
    .vgpr_count:     36
    .vgpr_spill_count: 0
    .wavefront_size: 32
  - .args:
      - .offset:         0
        .size:           4
        .value_kind:     by_value
      - .offset:         8
        .size:           8
        .value_kind:     by_value
      - .offset:         16
        .size:           8
        .value_kind:     by_value
      - .offset:         24
        .size:           16
        .value_kind:     by_value
      - .actual_access:  read_only
        .address_space:  global
        .offset:         40
        .size:           8
        .value_kind:     global_buffer
      - .actual_access:  read_only
        .address_space:  global
        .offset:         48
        .size:           8
        .value_kind:     global_buffer
      - .actual_access:  read_only
        .address_space:  global
        .offset:         56
        .size:           8
        .value_kind:     global_buffer
      - .address_space:  global
        .offset:         64
        .size:           8
        .value_kind:     global_buffer
      - .offset:         72
        .size:           8
        .value_kind:     by_value
      - .address_space:  global
        .offset:         80
        .size:           8
        .value_kind:     global_buffer
      - .actual_access:  read_only
        .address_space:  global
        .offset:         88
        .size:           8
        .value_kind:     global_buffer
      - .address_space:  global
        .offset:         96
        .size:           8
        .value_kind:     global_buffer
      - .offset:         104
        .size:           4
        .value_kind:     by_value
      - .offset:         108
        .size:           4
        .value_kind:     by_value
      - .offset:         112
        .size:           4
        .value_kind:     by_value
      - .offset:         116
        .size:           1
        .value_kind:     by_value
    .group_segment_fixed_size: 3072
    .kernarg_segment_align: 8
    .kernarg_segment_size: 120
    .language:       OpenCL C
    .language_version:
      - 2
      - 0
    .max_flat_workgroup_size: 128
    .name:           _ZN9rocsparseL5csrsmILj128ELj64ELb1Ell21rocsparse_complex_numIdEEEv20rocsparse_operation_T3_S4_NS_24const_host_device_scalarIT4_EEPKT2_PKS4_PKS6_PS6_lPiSC_PS4_21rocsparse_index_base_20rocsparse_fill_mode_20rocsparse_diag_type_b
    .private_segment_fixed_size: 16
    .sgpr_count:     38
    .sgpr_spill_count: 0
    .symbol:         _ZN9rocsparseL5csrsmILj128ELj64ELb1Ell21rocsparse_complex_numIdEEEv20rocsparse_operation_T3_S4_NS_24const_host_device_scalarIT4_EEPKT2_PKS4_PKS6_PS6_lPiSC_PS4_21rocsparse_index_base_20rocsparse_fill_mode_20rocsparse_diag_type_b.kd
    .uniform_work_group_size: 1
    .uses_dynamic_stack: false
    .vgpr_count:     34
    .vgpr_spill_count: 0
    .wavefront_size: 32
  - .args:
      - .offset:         0
        .size:           4
        .value_kind:     by_value
      - .offset:         8
        .size:           8
        .value_kind:     by_value
      - .offset:         16
        .size:           8
        .value_kind:     by_value
      - .offset:         24
        .size:           16
        .value_kind:     by_value
      - .actual_access:  read_only
        .address_space:  global
        .offset:         40
        .size:           8
        .value_kind:     global_buffer
      - .actual_access:  read_only
        .address_space:  global
        .offset:         48
        .size:           8
        .value_kind:     global_buffer
      - .actual_access:  read_only
        .address_space:  global
        .offset:         56
        .size:           8
        .value_kind:     global_buffer
      - .address_space:  global
        .offset:         64
        .size:           8
        .value_kind:     global_buffer
      - .offset:         72
        .size:           8
        .value_kind:     by_value
      - .address_space:  global
        .offset:         80
        .size:           8
        .value_kind:     global_buffer
      - .actual_access:  read_only
        .address_space:  global
        .offset:         88
        .size:           8
        .value_kind:     global_buffer
      - .address_space:  global
        .offset:         96
        .size:           8
        .value_kind:     global_buffer
      - .offset:         104
        .size:           4
        .value_kind:     by_value
      - .offset:         108
        .size:           4
        .value_kind:     by_value
      - .offset:         112
        .size:           4
        .value_kind:     by_value
      - .offset:         116
        .size:           1
        .value_kind:     by_value
    .group_segment_fixed_size: 3072
    .kernarg_segment_align: 8
    .kernarg_segment_size: 120
    .language:       OpenCL C
    .language_version:
      - 2
      - 0
    .max_flat_workgroup_size: 128
    .name:           _ZN9rocsparseL5csrsmILj128ELj64ELb0Ell21rocsparse_complex_numIdEEEv20rocsparse_operation_T3_S4_NS_24const_host_device_scalarIT4_EEPKT2_PKS4_PKS6_PS6_lPiSC_PS4_21rocsparse_index_base_20rocsparse_fill_mode_20rocsparse_diag_type_b
    .private_segment_fixed_size: 16
    .sgpr_count:     38
    .sgpr_spill_count: 0
    .symbol:         _ZN9rocsparseL5csrsmILj128ELj64ELb0Ell21rocsparse_complex_numIdEEEv20rocsparse_operation_T3_S4_NS_24const_host_device_scalarIT4_EEPKT2_PKS4_PKS6_PS6_lPiSC_PS4_21rocsparse_index_base_20rocsparse_fill_mode_20rocsparse_diag_type_b.kd
    .uniform_work_group_size: 1
    .uses_dynamic_stack: false
    .vgpr_count:     34
    .vgpr_spill_count: 0
    .wavefront_size: 32
  - .args:
      - .offset:         0
        .size:           4
        .value_kind:     by_value
      - .offset:         8
        .size:           8
        .value_kind:     by_value
      - .offset:         16
        .size:           8
        .value_kind:     by_value
      - .offset:         24
        .size:           16
        .value_kind:     by_value
      - .actual_access:  read_only
        .address_space:  global
        .offset:         40
        .size:           8
        .value_kind:     global_buffer
      - .actual_access:  read_only
        .address_space:  global
        .offset:         48
        .size:           8
        .value_kind:     global_buffer
      - .actual_access:  read_only
        .address_space:  global
        .offset:         56
        .size:           8
        .value_kind:     global_buffer
      - .address_space:  global
        .offset:         64
        .size:           8
        .value_kind:     global_buffer
      - .offset:         72
        .size:           8
        .value_kind:     by_value
      - .address_space:  global
        .offset:         80
        .size:           8
        .value_kind:     global_buffer
      - .actual_access:  read_only
        .address_space:  global
        .offset:         88
        .size:           8
        .value_kind:     global_buffer
      - .address_space:  global
        .offset:         96
        .size:           8
        .value_kind:     global_buffer
      - .offset:         104
        .size:           4
        .value_kind:     by_value
      - .offset:         108
        .size:           4
        .value_kind:     by_value
      - .offset:         112
        .size:           4
        .value_kind:     by_value
      - .offset:         116
        .size:           1
        .value_kind:     by_value
    .group_segment_fixed_size: 6144
    .kernarg_segment_align: 8
    .kernarg_segment_size: 120
    .language:       OpenCL C
    .language_version:
      - 2
      - 0
    .max_flat_workgroup_size: 256
    .name:           _ZN9rocsparseL5csrsmILj256ELj64ELb1Ell21rocsparse_complex_numIdEEEv20rocsparse_operation_T3_S4_NS_24const_host_device_scalarIT4_EEPKT2_PKS4_PKS6_PS6_lPiSC_PS4_21rocsparse_index_base_20rocsparse_fill_mode_20rocsparse_diag_type_b
    .private_segment_fixed_size: 16
    .sgpr_count:     38
    .sgpr_spill_count: 0
    .symbol:         _ZN9rocsparseL5csrsmILj256ELj64ELb1Ell21rocsparse_complex_numIdEEEv20rocsparse_operation_T3_S4_NS_24const_host_device_scalarIT4_EEPKT2_PKS4_PKS6_PS6_lPiSC_PS4_21rocsparse_index_base_20rocsparse_fill_mode_20rocsparse_diag_type_b.kd
    .uniform_work_group_size: 1
    .uses_dynamic_stack: false
    .vgpr_count:     34
    .vgpr_spill_count: 0
    .wavefront_size: 32
  - .args:
      - .offset:         0
        .size:           4
        .value_kind:     by_value
      - .offset:         8
        .size:           8
        .value_kind:     by_value
      - .offset:         16
        .size:           8
        .value_kind:     by_value
      - .offset:         24
        .size:           16
        .value_kind:     by_value
      - .actual_access:  read_only
        .address_space:  global
        .offset:         40
        .size:           8
        .value_kind:     global_buffer
      - .actual_access:  read_only
        .address_space:  global
        .offset:         48
        .size:           8
        .value_kind:     global_buffer
      - .actual_access:  read_only
        .address_space:  global
        .offset:         56
        .size:           8
        .value_kind:     global_buffer
      - .address_space:  global
        .offset:         64
        .size:           8
        .value_kind:     global_buffer
      - .offset:         72
        .size:           8
        .value_kind:     by_value
      - .address_space:  global
        .offset:         80
        .size:           8
        .value_kind:     global_buffer
      - .actual_access:  read_only
        .address_space:  global
        .offset:         88
        .size:           8
        .value_kind:     global_buffer
      - .address_space:  global
        .offset:         96
        .size:           8
        .value_kind:     global_buffer
      - .offset:         104
        .size:           4
        .value_kind:     by_value
      - .offset:         108
        .size:           4
        .value_kind:     by_value
      - .offset:         112
        .size:           4
        .value_kind:     by_value
      - .offset:         116
        .size:           1
        .value_kind:     by_value
    .group_segment_fixed_size: 6144
    .kernarg_segment_align: 8
    .kernarg_segment_size: 120
    .language:       OpenCL C
    .language_version:
      - 2
      - 0
    .max_flat_workgroup_size: 256
    .name:           _ZN9rocsparseL5csrsmILj256ELj64ELb0Ell21rocsparse_complex_numIdEEEv20rocsparse_operation_T3_S4_NS_24const_host_device_scalarIT4_EEPKT2_PKS4_PKS6_PS6_lPiSC_PS4_21rocsparse_index_base_20rocsparse_fill_mode_20rocsparse_diag_type_b
    .private_segment_fixed_size: 16
    .sgpr_count:     38
    .sgpr_spill_count: 0
    .symbol:         _ZN9rocsparseL5csrsmILj256ELj64ELb0Ell21rocsparse_complex_numIdEEEv20rocsparse_operation_T3_S4_NS_24const_host_device_scalarIT4_EEPKT2_PKS4_PKS6_PS6_lPiSC_PS4_21rocsparse_index_base_20rocsparse_fill_mode_20rocsparse_diag_type_b.kd
    .uniform_work_group_size: 1
    .uses_dynamic_stack: false
    .vgpr_count:     34
    .vgpr_spill_count: 0
    .wavefront_size: 32
  - .args:
      - .offset:         0
        .size:           4
        .value_kind:     by_value
      - .offset:         8
        .size:           8
        .value_kind:     by_value
      - .offset:         16
        .size:           8
        .value_kind:     by_value
      - .offset:         24
        .size:           16
        .value_kind:     by_value
      - .actual_access:  read_only
        .address_space:  global
        .offset:         40
        .size:           8
        .value_kind:     global_buffer
      - .actual_access:  read_only
        .address_space:  global
        .offset:         48
        .size:           8
        .value_kind:     global_buffer
      - .actual_access:  read_only
        .address_space:  global
        .offset:         56
        .size:           8
        .value_kind:     global_buffer
      - .address_space:  global
        .offset:         64
        .size:           8
        .value_kind:     global_buffer
      - .offset:         72
        .size:           8
        .value_kind:     by_value
      - .address_space:  global
        .offset:         80
        .size:           8
        .value_kind:     global_buffer
      - .actual_access:  read_only
        .address_space:  global
        .offset:         88
        .size:           8
        .value_kind:     global_buffer
      - .address_space:  global
        .offset:         96
        .size:           8
        .value_kind:     global_buffer
      - .offset:         104
        .size:           4
        .value_kind:     by_value
      - .offset:         108
        .size:           4
        .value_kind:     by_value
      - .offset:         112
        .size:           4
        .value_kind:     by_value
      - .offset:         116
        .size:           1
        .value_kind:     by_value
    .group_segment_fixed_size: 12288
    .kernarg_segment_align: 8
    .kernarg_segment_size: 120
    .language:       OpenCL C
    .language_version:
      - 2
      - 0
    .max_flat_workgroup_size: 512
    .name:           _ZN9rocsparseL5csrsmILj512ELj64ELb1Ell21rocsparse_complex_numIdEEEv20rocsparse_operation_T3_S4_NS_24const_host_device_scalarIT4_EEPKT2_PKS4_PKS6_PS6_lPiSC_PS4_21rocsparse_index_base_20rocsparse_fill_mode_20rocsparse_diag_type_b
    .private_segment_fixed_size: 16
    .sgpr_count:     38
    .sgpr_spill_count: 0
    .symbol:         _ZN9rocsparseL5csrsmILj512ELj64ELb1Ell21rocsparse_complex_numIdEEEv20rocsparse_operation_T3_S4_NS_24const_host_device_scalarIT4_EEPKT2_PKS4_PKS6_PS6_lPiSC_PS4_21rocsparse_index_base_20rocsparse_fill_mode_20rocsparse_diag_type_b.kd
    .uniform_work_group_size: 1
    .uses_dynamic_stack: false
    .vgpr_count:     36
    .vgpr_spill_count: 0
    .wavefront_size: 32
  - .args:
      - .offset:         0
        .size:           4
        .value_kind:     by_value
      - .offset:         8
        .size:           8
        .value_kind:     by_value
      - .offset:         16
        .size:           8
        .value_kind:     by_value
      - .offset:         24
        .size:           16
        .value_kind:     by_value
      - .actual_access:  read_only
        .address_space:  global
        .offset:         40
        .size:           8
        .value_kind:     global_buffer
      - .actual_access:  read_only
        .address_space:  global
        .offset:         48
        .size:           8
        .value_kind:     global_buffer
      - .actual_access:  read_only
        .address_space:  global
        .offset:         56
        .size:           8
        .value_kind:     global_buffer
      - .address_space:  global
        .offset:         64
        .size:           8
        .value_kind:     global_buffer
      - .offset:         72
        .size:           8
        .value_kind:     by_value
      - .address_space:  global
        .offset:         80
        .size:           8
        .value_kind:     global_buffer
      - .actual_access:  read_only
        .address_space:  global
        .offset:         88
        .size:           8
        .value_kind:     global_buffer
      - .address_space:  global
        .offset:         96
        .size:           8
        .value_kind:     global_buffer
      - .offset:         104
        .size:           4
        .value_kind:     by_value
      - .offset:         108
        .size:           4
        .value_kind:     by_value
      - .offset:         112
        .size:           4
        .value_kind:     by_value
      - .offset:         116
        .size:           1
        .value_kind:     by_value
    .group_segment_fixed_size: 12288
    .kernarg_segment_align: 8
    .kernarg_segment_size: 120
    .language:       OpenCL C
    .language_version:
      - 2
      - 0
    .max_flat_workgroup_size: 512
    .name:           _ZN9rocsparseL5csrsmILj512ELj64ELb0Ell21rocsparse_complex_numIdEEEv20rocsparse_operation_T3_S4_NS_24const_host_device_scalarIT4_EEPKT2_PKS4_PKS6_PS6_lPiSC_PS4_21rocsparse_index_base_20rocsparse_fill_mode_20rocsparse_diag_type_b
    .private_segment_fixed_size: 16
    .sgpr_count:     38
    .sgpr_spill_count: 0
    .symbol:         _ZN9rocsparseL5csrsmILj512ELj64ELb0Ell21rocsparse_complex_numIdEEEv20rocsparse_operation_T3_S4_NS_24const_host_device_scalarIT4_EEPKT2_PKS4_PKS6_PS6_lPiSC_PS4_21rocsparse_index_base_20rocsparse_fill_mode_20rocsparse_diag_type_b.kd
    .uniform_work_group_size: 1
    .uses_dynamic_stack: false
    .vgpr_count:     36
    .vgpr_spill_count: 0
    .wavefront_size: 32
  - .args:
      - .offset:         0
        .size:           4
        .value_kind:     by_value
      - .offset:         8
        .size:           8
        .value_kind:     by_value
      - .offset:         16
        .size:           8
        .value_kind:     by_value
      - .offset:         24
        .size:           16
        .value_kind:     by_value
      - .actual_access:  read_only
        .address_space:  global
        .offset:         40
        .size:           8
        .value_kind:     global_buffer
      - .actual_access:  read_only
        .address_space:  global
        .offset:         48
        .size:           8
        .value_kind:     global_buffer
      - .actual_access:  read_only
        .address_space:  global
        .offset:         56
        .size:           8
        .value_kind:     global_buffer
      - .address_space:  global
        .offset:         64
        .size:           8
        .value_kind:     global_buffer
      - .offset:         72
        .size:           8
        .value_kind:     by_value
      - .address_space:  global
        .offset:         80
        .size:           8
        .value_kind:     global_buffer
      - .actual_access:  read_only
        .address_space:  global
        .offset:         88
        .size:           8
        .value_kind:     global_buffer
      - .address_space:  global
        .offset:         96
        .size:           8
        .value_kind:     global_buffer
      - .offset:         104
        .size:           4
        .value_kind:     by_value
      - .offset:         108
        .size:           4
        .value_kind:     by_value
      - .offset:         112
        .size:           4
        .value_kind:     by_value
      - .offset:         116
        .size:           1
        .value_kind:     by_value
    .group_segment_fixed_size: 24576
    .kernarg_segment_align: 8
    .kernarg_segment_size: 120
    .language:       OpenCL C
    .language_version:
      - 2
      - 0
    .max_flat_workgroup_size: 1024
    .name:           _ZN9rocsparseL5csrsmILj1024ELj64ELb1Ell21rocsparse_complex_numIdEEEv20rocsparse_operation_T3_S4_NS_24const_host_device_scalarIT4_EEPKT2_PKS4_PKS6_PS6_lPiSC_PS4_21rocsparse_index_base_20rocsparse_fill_mode_20rocsparse_diag_type_b
    .private_segment_fixed_size: 16
    .sgpr_count:     38
    .sgpr_spill_count: 0
    .symbol:         _ZN9rocsparseL5csrsmILj1024ELj64ELb1Ell21rocsparse_complex_numIdEEEv20rocsparse_operation_T3_S4_NS_24const_host_device_scalarIT4_EEPKT2_PKS4_PKS6_PS6_lPiSC_PS4_21rocsparse_index_base_20rocsparse_fill_mode_20rocsparse_diag_type_b.kd
    .uniform_work_group_size: 1
    .uses_dynamic_stack: false
    .vgpr_count:     38
    .vgpr_spill_count: 0
    .wavefront_size: 32
  - .args:
      - .offset:         0
        .size:           4
        .value_kind:     by_value
      - .offset:         8
        .size:           8
        .value_kind:     by_value
      - .offset:         16
        .size:           8
        .value_kind:     by_value
      - .offset:         24
        .size:           16
        .value_kind:     by_value
      - .actual_access:  read_only
        .address_space:  global
        .offset:         40
        .size:           8
        .value_kind:     global_buffer
      - .actual_access:  read_only
        .address_space:  global
        .offset:         48
        .size:           8
        .value_kind:     global_buffer
      - .actual_access:  read_only
        .address_space:  global
        .offset:         56
        .size:           8
        .value_kind:     global_buffer
      - .address_space:  global
        .offset:         64
        .size:           8
        .value_kind:     global_buffer
      - .offset:         72
        .size:           8
        .value_kind:     by_value
      - .address_space:  global
        .offset:         80
        .size:           8
        .value_kind:     global_buffer
      - .actual_access:  read_only
        .address_space:  global
        .offset:         88
        .size:           8
        .value_kind:     global_buffer
      - .address_space:  global
        .offset:         96
        .size:           8
        .value_kind:     global_buffer
      - .offset:         104
        .size:           4
        .value_kind:     by_value
      - .offset:         108
        .size:           4
        .value_kind:     by_value
      - .offset:         112
        .size:           4
        .value_kind:     by_value
      - .offset:         116
        .size:           1
        .value_kind:     by_value
    .group_segment_fixed_size: 24576
    .kernarg_segment_align: 8
    .kernarg_segment_size: 120
    .language:       OpenCL C
    .language_version:
      - 2
      - 0
    .max_flat_workgroup_size: 1024
    .name:           _ZN9rocsparseL5csrsmILj1024ELj64ELb0Ell21rocsparse_complex_numIdEEEv20rocsparse_operation_T3_S4_NS_24const_host_device_scalarIT4_EEPKT2_PKS4_PKS6_PS6_lPiSC_PS4_21rocsparse_index_base_20rocsparse_fill_mode_20rocsparse_diag_type_b
    .private_segment_fixed_size: 16
    .sgpr_count:     38
    .sgpr_spill_count: 0
    .symbol:         _ZN9rocsparseL5csrsmILj1024ELj64ELb0Ell21rocsparse_complex_numIdEEEv20rocsparse_operation_T3_S4_NS_24const_host_device_scalarIT4_EEPKT2_PKS4_PKS6_PS6_lPiSC_PS4_21rocsparse_index_base_20rocsparse_fill_mode_20rocsparse_diag_type_b.kd
    .uniform_work_group_size: 1
    .uses_dynamic_stack: false
    .vgpr_count:     38
    .vgpr_spill_count: 0
    .wavefront_size: 32
amdhsa.target:   amdgcn-amd-amdhsa--gfx1250
amdhsa.version:
  - 1
  - 2
...

	.end_amdgpu_metadata
